;; amdgpu-corpus repo=ggml-org/llama.cpp kind=compiled arch=gfx90a opt=O3
	.text
	.amdgcn_target "amdgcn-amd-amdhsa--gfx90a"
	.amdhsa_code_object_version 6
	.p2align	2                               ; -- Begin function __ockl_printf_append_string_n
	.type	__ockl_printf_append_string_n,@function
__ockl_printf_append_string_n:          ; @__ockl_printf_append_string_n
; %bb.0:
	s_waitcnt vmcnt(0) expcnt(0) lgkmcnt(0)
	v_mov_b32_e32 v7, v3
	v_mov_b32_e32 v6, v2
	;; [unrolled: 1-line block ×3, first 2 shown]
	s_mov_b64 s[6:7], 0
	v_cmp_ne_u64_e32 vcc, 0, v[6:7]
	v_mbcnt_lo_u32_b32 v2, -1, 0
	s_and_saveexec_b64 s[4:5], vcc
	s_xor_b64 s[10:11], exec, s[4:5]
	s_cbranch_execz .LBB0_86
; %bb.1:
	s_load_dwordx2 s[12:13], s[8:9], 0x50
	v_and_b32_e32 v28, 2, v3
	s_mov_b32 s22, 0
	v_mov_b32_e32 v31, 0
	v_and_b32_e32 v0, -3, v3
	v_mbcnt_hi_u32_b32 v32, -1, v2
	s_movk_i32 s23, 0xff1f
	v_mov_b32_e32 v10, 2
	v_mov_b32_e32 v11, 1
	s_branch .LBB0_3
.LBB0_2:                                ;   in Loop: Header=BB0_3 Depth=1
	s_or_b64 exec, exec, s[16:17]
	v_sub_co_u32_e32 v4, vcc, v4, v34
	v_subb_co_u32_e32 v5, vcc, v5, v35, vcc
	v_cmp_eq_u64_e32 vcc, 0, v[4:5]
	s_or_b64 s[6:7], vcc, s[6:7]
	v_add_co_u32_e32 v6, vcc, v6, v34
	v_addc_co_u32_e32 v7, vcc, v7, v35, vcc
	s_andn2_b64 exec, exec, s[6:7]
	s_cbranch_execz .LBB0_85
.LBB0_3:                                ; =>This Loop Header: Depth=1
                                        ;     Child Loop BB0_6 Depth 2
                                        ;     Child Loop BB0_14 Depth 2
	;; [unrolled: 1-line block ×11, first 2 shown]
	v_cmp_gt_u64_e32 vcc, 56, v[4:5]
	v_cndmask_b32_e32 v35, 0, v5, vcc
	v_cndmask_b32_e32 v34, 56, v4, vcc
	v_cmp_gt_u64_e32 vcc, 8, v[4:5]
                                        ; implicit-def: $vgpr2_vgpr3
                                        ; implicit-def: $sgpr14
	s_and_saveexec_b64 s[4:5], vcc
	s_xor_b64 s[4:5], exec, s[4:5]
	s_cbranch_execz .LBB0_9
; %bb.4:                                ;   in Loop: Header=BB0_3 Depth=1
	s_mov_b64 s[16:17], 0
	v_cmp_ne_u64_e32 vcc, 0, v[4:5]
	s_waitcnt vmcnt(0)
	v_pk_mov_b32 v[2:3], 0, 0
	s_and_saveexec_b64 s[14:15], vcc
	s_cbranch_execz .LBB0_8
; %bb.5:                                ;   in Loop: Header=BB0_3 Depth=1
	v_lshlrev_b64 v[8:9], 3, v[34:35]
	v_pk_mov_b32 v[2:3], 0, 0
	v_pk_mov_b32 v[12:13], v[6:7], v[6:7] op_sel:[0,1]
	s_mov_b64 s[18:19], 0
.LBB0_6:                                ;   Parent Loop BB0_3 Depth=1
                                        ; =>  This Inner Loop Header: Depth=2
	flat_load_ubyte v9, v[12:13]
	v_mov_b32_e32 v15, s22
	v_add_co_u32_e32 v12, vcc, 1, v12
	v_addc_co_u32_e32 v13, vcc, 0, v13, vcc
	s_waitcnt vmcnt(0) lgkmcnt(0)
	v_and_b32_e32 v14, 0xffff, v9
	v_lshlrev_b64 v[14:15], s18, v[14:15]
	s_add_u32 s18, s18, 8
	s_addc_u32 s19, s19, 0
	v_cmp_eq_u32_e32 vcc, s18, v8
	v_or_b32_e32 v3, v15, v3
	s_or_b64 s[16:17], vcc, s[16:17]
	v_or_b32_e32 v2, v14, v2
	s_andn2_b64 exec, exec, s[16:17]
	s_cbranch_execnz .LBB0_6
; %bb.7:                                ;   in Loop: Header=BB0_3 Depth=1
	s_or_b64 exec, exec, s[16:17]
.LBB0_8:                                ;   in Loop: Header=BB0_3 Depth=1
	s_or_b64 exec, exec, s[14:15]
	s_mov_b32 s14, 0
.LBB0_9:                                ;   in Loop: Header=BB0_3 Depth=1
	s_or_saveexec_b64 s[4:5], s[4:5]
	v_mov_b32_e32 v14, s14
	v_pk_mov_b32 v[8:9], v[6:7], v[6:7] op_sel:[0,1]
	s_xor_b64 exec, exec, s[4:5]
	s_cbranch_execz .LBB0_11
; %bb.10:                               ;   in Loop: Header=BB0_3 Depth=1
	s_waitcnt vmcnt(0)
	flat_load_dwordx2 v[2:3], v[6:7]
	v_add_u32_e32 v14, -8, v34
	s_waitcnt vmcnt(0) lgkmcnt(0)
	v_and_b32_e32 v8, 0xff, v3
	v_and_b32_e32 v9, 0xff00, v3
	;; [unrolled: 1-line block ×4, first 2 shown]
	v_or_b32_e32 v8, v8, v9
	v_or3_b32 v3, v8, v12, v3
	v_add_co_u32_e32 v8, vcc, 8, v6
	v_or3_b32 v2, v2, 0, 0
	v_addc_co_u32_e32 v9, vcc, 0, v7, vcc
.LBB0_11:                               ;   in Loop: Header=BB0_3 Depth=1
	s_or_b64 exec, exec, s[4:5]
	v_cmp_gt_u32_e32 vcc, 8, v14
                                        ; implicit-def: $vgpr12_vgpr13
                                        ; implicit-def: $sgpr14
	s_and_saveexec_b64 s[4:5], vcc
	s_xor_b64 s[4:5], exec, s[4:5]
	s_cbranch_execz .LBB0_17
; %bb.12:                               ;   in Loop: Header=BB0_3 Depth=1
	v_cmp_ne_u32_e32 vcc, 0, v14
	v_pk_mov_b32 v[12:13], 0, 0
	s_and_saveexec_b64 s[14:15], vcc
	s_cbranch_execz .LBB0_16
; %bb.13:                               ;   in Loop: Header=BB0_3 Depth=1
	s_mov_b64 s[16:17], 0
	v_pk_mov_b32 v[12:13], 0, 0
	s_mov_b64 s[18:19], 0
	s_mov_b64 s[20:21], 0
.LBB0_14:                               ;   Parent Loop BB0_3 Depth=1
                                        ; =>  This Inner Loop Header: Depth=2
	v_mov_b32_e32 v15, s21
	v_add_co_u32_e32 v16, vcc, s20, v8
	v_addc_co_u32_e32 v17, vcc, v9, v15, vcc
	flat_load_ubyte v15, v[16:17]
	s_add_u32 s20, s20, 1
	v_mov_b32_e32 v17, s22
	s_addc_u32 s21, s21, 0
	v_cmp_eq_u32_e32 vcc, s20, v14
	s_waitcnt vmcnt(0) lgkmcnt(0)
	v_and_b32_e32 v16, 0xffff, v15
	v_lshlrev_b64 v[16:17], s18, v[16:17]
	s_add_u32 s18, s18, 8
	s_addc_u32 s19, s19, 0
	v_or_b32_e32 v13, v17, v13
	s_or_b64 s[16:17], vcc, s[16:17]
	v_or_b32_e32 v12, v16, v12
	s_andn2_b64 exec, exec, s[16:17]
	s_cbranch_execnz .LBB0_14
; %bb.15:                               ;   in Loop: Header=BB0_3 Depth=1
	s_or_b64 exec, exec, s[16:17]
.LBB0_16:                               ;   in Loop: Header=BB0_3 Depth=1
	s_or_b64 exec, exec, s[14:15]
	s_mov_b32 s14, 0
                                        ; implicit-def: $vgpr14
.LBB0_17:                               ;   in Loop: Header=BB0_3 Depth=1
	s_or_saveexec_b64 s[4:5], s[4:5]
	v_mov_b32_e32 v16, s14
	s_xor_b64 exec, exec, s[4:5]
	s_cbranch_execz .LBB0_19
; %bb.18:                               ;   in Loop: Header=BB0_3 Depth=1
	flat_load_dwordx2 v[12:13], v[8:9]
	v_add_u32_e32 v16, -8, v14
	v_add_co_u32_e32 v8, vcc, 8, v8
	v_addc_co_u32_e32 v9, vcc, 0, v9, vcc
	s_waitcnt vmcnt(0) lgkmcnt(0)
	v_and_b32_e32 v14, 0xff, v13
	v_and_b32_e32 v15, 0xff00, v13
	;; [unrolled: 1-line block ×4, first 2 shown]
	v_or_b32_e32 v14, v14, v15
	v_or3_b32 v12, v12, 0, 0
	v_or3_b32 v13, v14, v17, v13
.LBB0_19:                               ;   in Loop: Header=BB0_3 Depth=1
	s_or_b64 exec, exec, s[4:5]
	v_cmp_gt_u32_e32 vcc, 8, v16
                                        ; implicit-def: $sgpr14
	s_and_saveexec_b64 s[4:5], vcc
	s_xor_b64 s[4:5], exec, s[4:5]
	s_cbranch_execz .LBB0_25
; %bb.20:                               ;   in Loop: Header=BB0_3 Depth=1
	v_cmp_ne_u32_e32 vcc, 0, v16
	v_pk_mov_b32 v[14:15], 0, 0
	s_and_saveexec_b64 s[14:15], vcc
	s_cbranch_execz .LBB0_24
; %bb.21:                               ;   in Loop: Header=BB0_3 Depth=1
	s_mov_b64 s[16:17], 0
	v_pk_mov_b32 v[14:15], 0, 0
	s_mov_b64 s[18:19], 0
	s_mov_b64 s[20:21], 0
.LBB0_22:                               ;   Parent Loop BB0_3 Depth=1
                                        ; =>  This Inner Loop Header: Depth=2
	v_mov_b32_e32 v17, s21
	v_add_co_u32_e32 v18, vcc, s20, v8
	v_addc_co_u32_e32 v19, vcc, v9, v17, vcc
	flat_load_ubyte v17, v[18:19]
	s_add_u32 s20, s20, 1
	v_mov_b32_e32 v19, s22
	s_addc_u32 s21, s21, 0
	v_cmp_eq_u32_e32 vcc, s20, v16
	s_waitcnt vmcnt(0) lgkmcnt(0)
	v_and_b32_e32 v18, 0xffff, v17
	v_lshlrev_b64 v[18:19], s18, v[18:19]
	s_add_u32 s18, s18, 8
	s_addc_u32 s19, s19, 0
	v_or_b32_e32 v15, v19, v15
	s_or_b64 s[16:17], vcc, s[16:17]
	v_or_b32_e32 v14, v18, v14
	s_andn2_b64 exec, exec, s[16:17]
	s_cbranch_execnz .LBB0_22
; %bb.23:                               ;   in Loop: Header=BB0_3 Depth=1
	s_or_b64 exec, exec, s[16:17]
.LBB0_24:                               ;   in Loop: Header=BB0_3 Depth=1
	s_or_b64 exec, exec, s[14:15]
	s_mov_b32 s14, 0
                                        ; implicit-def: $vgpr16
.LBB0_25:                               ;   in Loop: Header=BB0_3 Depth=1
	s_or_saveexec_b64 s[4:5], s[4:5]
	v_mov_b32_e32 v18, s14
	s_xor_b64 exec, exec, s[4:5]
	s_cbranch_execz .LBB0_27
; %bb.26:                               ;   in Loop: Header=BB0_3 Depth=1
	flat_load_dwordx2 v[14:15], v[8:9]
	v_add_u32_e32 v18, -8, v16
	v_add_co_u32_e32 v8, vcc, 8, v8
	v_addc_co_u32_e32 v9, vcc, 0, v9, vcc
	s_waitcnt vmcnt(0) lgkmcnt(0)
	v_and_b32_e32 v16, 0xff, v15
	v_and_b32_e32 v17, 0xff00, v15
	;; [unrolled: 1-line block ×4, first 2 shown]
	v_or_b32_e32 v16, v16, v17
	v_or3_b32 v14, v14, 0, 0
	v_or3_b32 v15, v16, v19, v15
.LBB0_27:                               ;   in Loop: Header=BB0_3 Depth=1
	s_or_b64 exec, exec, s[4:5]
	v_cmp_gt_u32_e32 vcc, 8, v18
                                        ; implicit-def: $vgpr16_vgpr17
                                        ; implicit-def: $sgpr14
	s_and_saveexec_b64 s[4:5], vcc
	s_xor_b64 s[4:5], exec, s[4:5]
	s_cbranch_execz .LBB0_33
; %bb.28:                               ;   in Loop: Header=BB0_3 Depth=1
	v_cmp_ne_u32_e32 vcc, 0, v18
	v_pk_mov_b32 v[16:17], 0, 0
	s_and_saveexec_b64 s[14:15], vcc
	s_cbranch_execz .LBB0_32
; %bb.29:                               ;   in Loop: Header=BB0_3 Depth=1
	s_mov_b64 s[16:17], 0
	v_pk_mov_b32 v[16:17], 0, 0
	s_mov_b64 s[18:19], 0
	s_mov_b64 s[20:21], 0
.LBB0_30:                               ;   Parent Loop BB0_3 Depth=1
                                        ; =>  This Inner Loop Header: Depth=2
	v_mov_b32_e32 v19, s21
	v_add_co_u32_e32 v20, vcc, s20, v8
	v_addc_co_u32_e32 v21, vcc, v9, v19, vcc
	flat_load_ubyte v19, v[20:21]
	s_add_u32 s20, s20, 1
	v_mov_b32_e32 v21, s22
	s_addc_u32 s21, s21, 0
	v_cmp_eq_u32_e32 vcc, s20, v18
	s_waitcnt vmcnt(0) lgkmcnt(0)
	v_and_b32_e32 v20, 0xffff, v19
	v_lshlrev_b64 v[20:21], s18, v[20:21]
	s_add_u32 s18, s18, 8
	s_addc_u32 s19, s19, 0
	v_or_b32_e32 v17, v21, v17
	s_or_b64 s[16:17], vcc, s[16:17]
	v_or_b32_e32 v16, v20, v16
	s_andn2_b64 exec, exec, s[16:17]
	s_cbranch_execnz .LBB0_30
; %bb.31:                               ;   in Loop: Header=BB0_3 Depth=1
	s_or_b64 exec, exec, s[16:17]
.LBB0_32:                               ;   in Loop: Header=BB0_3 Depth=1
	s_or_b64 exec, exec, s[14:15]
	s_mov_b32 s14, 0
                                        ; implicit-def: $vgpr18
.LBB0_33:                               ;   in Loop: Header=BB0_3 Depth=1
	s_or_saveexec_b64 s[4:5], s[4:5]
	v_mov_b32_e32 v20, s14
	s_xor_b64 exec, exec, s[4:5]
	s_cbranch_execz .LBB0_35
; %bb.34:                               ;   in Loop: Header=BB0_3 Depth=1
	flat_load_dwordx2 v[16:17], v[8:9]
	v_add_u32_e32 v20, -8, v18
	v_add_co_u32_e32 v8, vcc, 8, v8
	v_addc_co_u32_e32 v9, vcc, 0, v9, vcc
	s_waitcnt vmcnt(0) lgkmcnt(0)
	v_and_b32_e32 v18, 0xff, v17
	v_and_b32_e32 v19, 0xff00, v17
	;; [unrolled: 1-line block ×4, first 2 shown]
	v_or_b32_e32 v18, v18, v19
	v_or3_b32 v16, v16, 0, 0
	v_or3_b32 v17, v18, v21, v17
.LBB0_35:                               ;   in Loop: Header=BB0_3 Depth=1
	s_or_b64 exec, exec, s[4:5]
	v_cmp_gt_u32_e32 vcc, 8, v20
                                        ; implicit-def: $sgpr14
	s_and_saveexec_b64 s[4:5], vcc
	s_xor_b64 s[4:5], exec, s[4:5]
	s_cbranch_execz .LBB0_41
; %bb.36:                               ;   in Loop: Header=BB0_3 Depth=1
	v_cmp_ne_u32_e32 vcc, 0, v20
	v_pk_mov_b32 v[18:19], 0, 0
	s_and_saveexec_b64 s[14:15], vcc
	s_cbranch_execz .LBB0_40
; %bb.37:                               ;   in Loop: Header=BB0_3 Depth=1
	s_mov_b64 s[16:17], 0
	v_pk_mov_b32 v[18:19], 0, 0
	s_mov_b64 s[18:19], 0
	s_mov_b64 s[20:21], 0
.LBB0_38:                               ;   Parent Loop BB0_3 Depth=1
                                        ; =>  This Inner Loop Header: Depth=2
	v_mov_b32_e32 v21, s21
	v_add_co_u32_e32 v22, vcc, s20, v8
	v_addc_co_u32_e32 v23, vcc, v9, v21, vcc
	flat_load_ubyte v21, v[22:23]
	s_add_u32 s20, s20, 1
	v_mov_b32_e32 v23, s22
	s_addc_u32 s21, s21, 0
	v_cmp_eq_u32_e32 vcc, s20, v20
	s_waitcnt vmcnt(0) lgkmcnt(0)
	v_and_b32_e32 v22, 0xffff, v21
	v_lshlrev_b64 v[22:23], s18, v[22:23]
	s_add_u32 s18, s18, 8
	s_addc_u32 s19, s19, 0
	v_or_b32_e32 v19, v23, v19
	s_or_b64 s[16:17], vcc, s[16:17]
	v_or_b32_e32 v18, v22, v18
	s_andn2_b64 exec, exec, s[16:17]
	s_cbranch_execnz .LBB0_38
; %bb.39:                               ;   in Loop: Header=BB0_3 Depth=1
	s_or_b64 exec, exec, s[16:17]
.LBB0_40:                               ;   in Loop: Header=BB0_3 Depth=1
	s_or_b64 exec, exec, s[14:15]
	s_mov_b32 s14, 0
                                        ; implicit-def: $vgpr20
.LBB0_41:                               ;   in Loop: Header=BB0_3 Depth=1
	s_or_saveexec_b64 s[4:5], s[4:5]
	v_mov_b32_e32 v22, s14
	s_xor_b64 exec, exec, s[4:5]
	s_cbranch_execz .LBB0_43
; %bb.42:                               ;   in Loop: Header=BB0_3 Depth=1
	flat_load_dwordx2 v[18:19], v[8:9]
	v_add_u32_e32 v22, -8, v20
	v_add_co_u32_e32 v8, vcc, 8, v8
	v_addc_co_u32_e32 v9, vcc, 0, v9, vcc
	s_waitcnt vmcnt(0) lgkmcnt(0)
	v_and_b32_e32 v20, 0xff, v19
	v_and_b32_e32 v21, 0xff00, v19
	v_and_b32_e32 v23, 0xff0000, v19
	v_and_b32_e32 v19, 0xff000000, v19
	v_or_b32_e32 v20, v20, v21
	v_or3_b32 v18, v18, 0, 0
	v_or3_b32 v19, v20, v23, v19
.LBB0_43:                               ;   in Loop: Header=BB0_3 Depth=1
	s_or_b64 exec, exec, s[4:5]
	v_cmp_gt_u32_e32 vcc, 8, v22
                                        ; implicit-def: $vgpr20_vgpr21
                                        ; implicit-def: $sgpr14
	s_and_saveexec_b64 s[4:5], vcc
	s_xor_b64 s[4:5], exec, s[4:5]
	s_cbranch_execz .LBB0_49
; %bb.44:                               ;   in Loop: Header=BB0_3 Depth=1
	v_cmp_ne_u32_e32 vcc, 0, v22
	v_pk_mov_b32 v[20:21], 0, 0
	s_and_saveexec_b64 s[14:15], vcc
	s_cbranch_execz .LBB0_48
; %bb.45:                               ;   in Loop: Header=BB0_3 Depth=1
	s_mov_b64 s[16:17], 0
	v_pk_mov_b32 v[20:21], 0, 0
	s_mov_b64 s[18:19], 0
	s_mov_b64 s[20:21], 0
.LBB0_46:                               ;   Parent Loop BB0_3 Depth=1
                                        ; =>  This Inner Loop Header: Depth=2
	v_mov_b32_e32 v23, s21
	v_add_co_u32_e32 v24, vcc, s20, v8
	v_addc_co_u32_e32 v25, vcc, v9, v23, vcc
	flat_load_ubyte v23, v[24:25]
	s_add_u32 s20, s20, 1
	v_mov_b32_e32 v25, s22
	s_addc_u32 s21, s21, 0
	v_cmp_eq_u32_e32 vcc, s20, v22
	s_waitcnt vmcnt(0) lgkmcnt(0)
	v_and_b32_e32 v24, 0xffff, v23
	v_lshlrev_b64 v[24:25], s18, v[24:25]
	s_add_u32 s18, s18, 8
	s_addc_u32 s19, s19, 0
	v_or_b32_e32 v21, v25, v21
	s_or_b64 s[16:17], vcc, s[16:17]
	v_or_b32_e32 v20, v24, v20
	s_andn2_b64 exec, exec, s[16:17]
	s_cbranch_execnz .LBB0_46
; %bb.47:                               ;   in Loop: Header=BB0_3 Depth=1
	s_or_b64 exec, exec, s[16:17]
.LBB0_48:                               ;   in Loop: Header=BB0_3 Depth=1
	s_or_b64 exec, exec, s[14:15]
	s_mov_b32 s14, 0
                                        ; implicit-def: $vgpr22
.LBB0_49:                               ;   in Loop: Header=BB0_3 Depth=1
	s_or_saveexec_b64 s[4:5], s[4:5]
	v_mov_b32_e32 v24, s14
	s_xor_b64 exec, exec, s[4:5]
	s_cbranch_execz .LBB0_51
; %bb.50:                               ;   in Loop: Header=BB0_3 Depth=1
	flat_load_dwordx2 v[20:21], v[8:9]
	v_add_u32_e32 v24, -8, v22
	v_add_co_u32_e32 v8, vcc, 8, v8
	v_addc_co_u32_e32 v9, vcc, 0, v9, vcc
	s_waitcnt vmcnt(0) lgkmcnt(0)
	v_and_b32_e32 v22, 0xff, v21
	v_and_b32_e32 v23, 0xff00, v21
	;; [unrolled: 1-line block ×4, first 2 shown]
	v_or_b32_e32 v22, v22, v23
	v_or3_b32 v20, v20, 0, 0
	v_or3_b32 v21, v22, v25, v21
.LBB0_51:                               ;   in Loop: Header=BB0_3 Depth=1
	s_or_b64 exec, exec, s[4:5]
	v_cmp_gt_u32_e32 vcc, 8, v24
	s_and_saveexec_b64 s[4:5], vcc
	s_xor_b64 s[4:5], exec, s[4:5]
	s_cbranch_execz .LBB0_57
; %bb.52:                               ;   in Loop: Header=BB0_3 Depth=1
	v_cmp_ne_u32_e32 vcc, 0, v24
	v_pk_mov_b32 v[22:23], 0, 0
	s_and_saveexec_b64 s[14:15], vcc
	s_cbranch_execz .LBB0_56
; %bb.53:                               ;   in Loop: Header=BB0_3 Depth=1
	s_mov_b64 s[16:17], 0
	v_pk_mov_b32 v[22:23], 0, 0
	s_mov_b64 s[18:19], 0
.LBB0_54:                               ;   Parent Loop BB0_3 Depth=1
                                        ; =>  This Inner Loop Header: Depth=2
	flat_load_ubyte v25, v[8:9]
	v_mov_b32_e32 v27, s22
	v_add_co_u32_e32 v8, vcc, 1, v8
	v_add_u32_e32 v24, -1, v24
	v_addc_co_u32_e32 v9, vcc, 0, v9, vcc
	v_cmp_eq_u32_e32 vcc, 0, v24
	s_waitcnt vmcnt(0) lgkmcnt(0)
	v_and_b32_e32 v26, 0xffff, v25
	v_lshlrev_b64 v[26:27], s18, v[26:27]
	s_add_u32 s18, s18, 8
	s_addc_u32 s19, s19, 0
	v_or_b32_e32 v23, v27, v23
	s_or_b64 s[16:17], vcc, s[16:17]
	v_or_b32_e32 v22, v26, v22
	s_andn2_b64 exec, exec, s[16:17]
	s_cbranch_execnz .LBB0_54
; %bb.55:                               ;   in Loop: Header=BB0_3 Depth=1
	s_or_b64 exec, exec, s[16:17]
.LBB0_56:                               ;   in Loop: Header=BB0_3 Depth=1
	s_or_b64 exec, exec, s[14:15]
                                        ; implicit-def: $vgpr8_vgpr9
.LBB0_57:                               ;   in Loop: Header=BB0_3 Depth=1
	s_andn2_saveexec_b64 s[4:5], s[4:5]
	s_cbranch_execz .LBB0_59
; %bb.58:                               ;   in Loop: Header=BB0_3 Depth=1
	flat_load_dwordx2 v[8:9], v[8:9]
	s_waitcnt vmcnt(0) lgkmcnt(0)
	v_and_b32_e32 v22, 0xff, v9
	v_and_b32_e32 v23, 0xff00, v9
	;; [unrolled: 1-line block ×4, first 2 shown]
	v_or_b32_e32 v22, v22, v23
	v_or3_b32 v23, v22, v24, v9
	v_or3_b32 v22, v8, 0, 0
.LBB0_59:                               ;   in Loop: Header=BB0_3 Depth=1
	s_or_b64 exec, exec, s[4:5]
	v_readfirstlane_b32 s4, v32
	v_cmp_eq_u32_e64 s[4:5], s4, v32
	v_pk_mov_b32 v[8:9], 0, 0
	s_and_saveexec_b64 s[14:15], s[4:5]
	s_cbranch_execz .LBB0_65
; %bb.60:                               ;   in Loop: Header=BB0_3 Depth=1
	s_waitcnt lgkmcnt(0)
	global_load_dwordx2 v[26:27], v31, s[12:13] offset:24 glc
	s_waitcnt vmcnt(0)
	buffer_invl2
	buffer_wbinvl1_vol
	global_load_dwordx2 v[8:9], v31, s[12:13] offset:40
	global_load_dwordx2 v[24:25], v31, s[12:13]
	s_waitcnt vmcnt(1)
	v_and_b32_e32 v8, v8, v26
	v_and_b32_e32 v9, v9, v27
	v_mul_lo_u32 v9, v9, 24
	v_mul_hi_u32 v29, v8, 24
	v_mul_lo_u32 v8, v8, 24
	v_add_u32_e32 v9, v29, v9
	s_waitcnt vmcnt(0)
	v_add_co_u32_e32 v8, vcc, v24, v8
	v_addc_co_u32_e32 v9, vcc, v25, v9, vcc
	global_load_dwordx2 v[24:25], v[8:9], off glc
	s_waitcnt vmcnt(0)
	global_atomic_cmpswap_x2 v[8:9], v31, v[24:27], s[12:13] offset:24 glc
	s_waitcnt vmcnt(0)
	buffer_invl2
	buffer_wbinvl1_vol
	v_cmp_ne_u64_e32 vcc, v[8:9], v[26:27]
	s_and_saveexec_b64 s[16:17], vcc
	s_cbranch_execz .LBB0_64
; %bb.61:                               ;   in Loop: Header=BB0_3 Depth=1
	s_mov_b64 s[18:19], 0
.LBB0_62:                               ;   Parent Loop BB0_3 Depth=1
                                        ; =>  This Inner Loop Header: Depth=2
	s_sleep 1
	global_load_dwordx2 v[24:25], v31, s[12:13] offset:40
	global_load_dwordx2 v[36:37], v31, s[12:13]
	v_pk_mov_b32 v[26:27], v[8:9], v[8:9] op_sel:[0,1]
	s_waitcnt vmcnt(1)
	v_and_b32_e32 v8, v24, v26
	s_waitcnt vmcnt(0)
	v_mad_u64_u32 v[8:9], s[20:21], v8, 24, v[36:37]
	v_and_b32_e32 v25, v25, v27
	v_mov_b32_e32 v24, v9
	v_mad_u64_u32 v[24:25], s[20:21], v25, 24, v[24:25]
	v_mov_b32_e32 v9, v24
	global_load_dwordx2 v[24:25], v[8:9], off glc
	s_waitcnt vmcnt(0)
	global_atomic_cmpswap_x2 v[8:9], v31, v[24:27], s[12:13] offset:24 glc
	s_waitcnt vmcnt(0)
	buffer_invl2
	buffer_wbinvl1_vol
	v_cmp_eq_u64_e32 vcc, v[8:9], v[26:27]
	s_or_b64 s[18:19], vcc, s[18:19]
	s_andn2_b64 exec, exec, s[18:19]
	s_cbranch_execnz .LBB0_62
; %bb.63:                               ;   in Loop: Header=BB0_3 Depth=1
	s_or_b64 exec, exec, s[18:19]
.LBB0_64:                               ;   in Loop: Header=BB0_3 Depth=1
	s_or_b64 exec, exec, s[16:17]
.LBB0_65:                               ;   in Loop: Header=BB0_3 Depth=1
	s_or_b64 exec, exec, s[14:15]
	s_waitcnt lgkmcnt(0)
	global_load_dwordx2 v[36:37], v31, s[12:13] offset:40
	global_load_dwordx4 v[24:27], v31, s[12:13]
	v_readfirstlane_b32 s14, v8
	v_readfirstlane_b32 s15, v9
	s_mov_b64 s[16:17], exec
	s_waitcnt vmcnt(1)
	v_readfirstlane_b32 s18, v36
	v_readfirstlane_b32 s19, v37
	s_and_b64 s[18:19], s[14:15], s[18:19]
	s_mul_i32 s20, s19, 24
	s_mul_hi_u32 s21, s18, 24
	s_mul_i32 s24, s18, 24
	s_add_i32 s20, s21, s20
	v_mov_b32_e32 v8, s20
	s_waitcnt vmcnt(0)
	v_add_co_u32_e32 v36, vcc, s24, v24
	v_addc_co_u32_e32 v37, vcc, v25, v8, vcc
	s_and_saveexec_b64 s[20:21], s[4:5]
	s_cbranch_execz .LBB0_67
; %bb.66:                               ;   in Loop: Header=BB0_3 Depth=1
	v_pk_mov_b32 v[8:9], s[16:17], s[16:17] op_sel:[0,1]
	global_store_dwordx4 v[36:37], v[8:11], off offset:8
.LBB0_67:                               ;   in Loop: Header=BB0_3 Depth=1
	s_or_b64 exec, exec, s[20:21]
	s_lshl_b64 s[16:17], s[18:19], 12
	v_mov_b32_e32 v9, s17
	v_add_co_u32_e32 v8, vcc, s16, v26
	v_addc_co_u32_e32 v9, vcc, v27, v9, vcc
	v_or_b32_e32 v26, 0, v1
	v_cmp_lt_u64_e32 vcc, 56, v[4:5]
	v_or_b32_e32 v27, v0, v28
	v_cndmask_b32_e32 v1, v26, v1, vcc
	v_lshl_add_u32 v26, v34, 2, 28
	v_cndmask_b32_e32 v0, v27, v0, vcc
	v_and_b32_e32 v26, 0x1e0, v26
	v_and_or_b32 v0, v0, s23, v26
	v_lshlrev_b32_e32 v26, 6, v32
	v_readfirstlane_b32 s16, v8
	v_readfirstlane_b32 s17, v9
	s_nop 4
	global_store_dwordx4 v26, v[0:3], s[16:17]
	global_store_dwordx4 v26, v[12:15], s[16:17] offset:16
	global_store_dwordx4 v26, v[16:19], s[16:17] offset:32
	;; [unrolled: 1-line block ×3, first 2 shown]
	s_and_saveexec_b64 s[16:17], s[4:5]
	s_cbranch_execz .LBB0_75
; %bb.68:                               ;   in Loop: Header=BB0_3 Depth=1
	global_load_dwordx2 v[16:17], v31, s[12:13] offset:32 glc
	global_load_dwordx2 v[0:1], v31, s[12:13] offset:40
	v_mov_b32_e32 v14, s14
	v_mov_b32_e32 v15, s15
	s_waitcnt vmcnt(0)
	v_readfirstlane_b32 s18, v0
	v_readfirstlane_b32 s19, v1
	s_and_b64 s[18:19], s[18:19], s[14:15]
	s_mul_i32 s19, s19, 24
	s_mul_hi_u32 s20, s18, 24
	s_mul_i32 s18, s18, 24
	s_add_i32 s19, s20, s19
	v_mov_b32_e32 v0, s19
	v_add_co_u32_e32 v12, vcc, s18, v24
	v_addc_co_u32_e32 v13, vcc, v25, v0, vcc
	global_store_dwordx2 v[12:13], v[16:17], off
	buffer_wbl2
	s_waitcnt vmcnt(0)
	global_atomic_cmpswap_x2 v[2:3], v31, v[14:17], s[12:13] offset:32 glc
	s_waitcnt vmcnt(0)
	v_cmp_ne_u64_e32 vcc, v[2:3], v[16:17]
	s_and_saveexec_b64 s[18:19], vcc
	s_cbranch_execz .LBB0_71
; %bb.69:                               ;   in Loop: Header=BB0_3 Depth=1
	s_mov_b64 s[20:21], 0
.LBB0_70:                               ;   Parent Loop BB0_3 Depth=1
                                        ; =>  This Inner Loop Header: Depth=2
	s_sleep 1
	global_store_dwordx2 v[12:13], v[2:3], off
	v_mov_b32_e32 v0, s14
	v_mov_b32_e32 v1, s15
	buffer_wbl2
	s_waitcnt vmcnt(0)
	global_atomic_cmpswap_x2 v[0:1], v31, v[0:3], s[12:13] offset:32 glc
	s_waitcnt vmcnt(0)
	v_cmp_eq_u64_e32 vcc, v[0:1], v[2:3]
	s_or_b64 s[20:21], vcc, s[20:21]
	v_pk_mov_b32 v[2:3], v[0:1], v[0:1] op_sel:[0,1]
	s_andn2_b64 exec, exec, s[20:21]
	s_cbranch_execnz .LBB0_70
.LBB0_71:                               ;   in Loop: Header=BB0_3 Depth=1
	s_or_b64 exec, exec, s[18:19]
	global_load_dwordx2 v[0:1], v31, s[12:13] offset:16
	s_mov_b64 s[20:21], exec
	v_mbcnt_lo_u32_b32 v2, s20, 0
	v_mbcnt_hi_u32_b32 v2, s21, v2
	v_cmp_eq_u32_e32 vcc, 0, v2
	s_and_saveexec_b64 s[18:19], vcc
	s_cbranch_execz .LBB0_73
; %bb.72:                               ;   in Loop: Header=BB0_3 Depth=1
	s_bcnt1_i32_b64 s20, s[20:21]
	v_mov_b32_e32 v30, s20
	buffer_wbl2
	s_waitcnt vmcnt(0)
	global_atomic_add_x2 v[0:1], v[30:31], off offset:8
.LBB0_73:                               ;   in Loop: Header=BB0_3 Depth=1
	s_or_b64 exec, exec, s[18:19]
	s_waitcnt vmcnt(0)
	global_load_dwordx2 v[2:3], v[0:1], off offset:16
	s_waitcnt vmcnt(0)
	v_cmp_eq_u64_e32 vcc, 0, v[2:3]
	s_cbranch_vccnz .LBB0_75
; %bb.74:                               ;   in Loop: Header=BB0_3 Depth=1
	global_load_dword v30, v[0:1], off offset:24
	s_waitcnt vmcnt(0)
	v_and_b32_e32 v0, 0xffffff, v30
	v_readfirstlane_b32 m0, v0
	buffer_wbl2
	global_store_dwordx2 v[2:3], v[30:31], off
	s_sendmsg sendmsg(MSG_INTERRUPT)
.LBB0_75:                               ;   in Loop: Header=BB0_3 Depth=1
	s_or_b64 exec, exec, s[16:17]
	v_add_co_u32_e32 v0, vcc, v8, v26
	v_addc_co_u32_e32 v1, vcc, 0, v9, vcc
	s_branch .LBB0_79
.LBB0_76:                               ;   in Loop: Header=BB0_79 Depth=2
	s_or_b64 exec, exec, s[16:17]
	v_readfirstlane_b32 s16, v2
	s_cmp_eq_u32 s16, 0
	s_cbranch_scc1 .LBB0_78
; %bb.77:                               ;   in Loop: Header=BB0_79 Depth=2
	s_sleep 1
	s_cbranch_execnz .LBB0_79
	s_branch .LBB0_81
.LBB0_78:                               ;   in Loop: Header=BB0_3 Depth=1
	s_branch .LBB0_81
.LBB0_79:                               ;   Parent Loop BB0_3 Depth=1
                                        ; =>  This Inner Loop Header: Depth=2
	v_mov_b32_e32 v2, 1
	s_and_saveexec_b64 s[16:17], s[4:5]
	s_cbranch_execz .LBB0_76
; %bb.80:                               ;   in Loop: Header=BB0_79 Depth=2
	global_load_dword v2, v[36:37], off offset:20 glc
	s_waitcnt vmcnt(0)
	buffer_invl2
	buffer_wbinvl1_vol
	v_and_b32_e32 v2, 1, v2
	s_branch .LBB0_76
.LBB0_81:                               ;   in Loop: Header=BB0_3 Depth=1
	global_load_dwordx4 v[0:3], v[0:1], off
	s_and_saveexec_b64 s[16:17], s[4:5]
	s_cbranch_execz .LBB0_2
; %bb.82:                               ;   in Loop: Header=BB0_3 Depth=1
	global_load_dwordx2 v[2:3], v31, s[12:13] offset:40
	global_load_dwordx2 v[8:9], v31, s[12:13] offset:24 glc
	global_load_dwordx2 v[16:17], v31, s[12:13]
	v_mov_b32_e32 v13, s15
	s_waitcnt vmcnt(2)
	v_add_co_u32_e32 v15, vcc, 1, v2
	v_addc_co_u32_e32 v18, vcc, 0, v3, vcc
	v_add_co_u32_e32 v12, vcc, s14, v15
	v_addc_co_u32_e32 v13, vcc, v18, v13, vcc
	v_cmp_eq_u64_e32 vcc, 0, v[12:13]
	v_cndmask_b32_e32 v13, v13, v18, vcc
	v_cndmask_b32_e32 v12, v12, v15, vcc
	v_and_b32_e32 v3, v13, v3
	v_and_b32_e32 v2, v12, v2
	v_mul_lo_u32 v3, v3, 24
	v_mul_hi_u32 v15, v2, 24
	v_mul_lo_u32 v2, v2, 24
	v_add_u32_e32 v3, v15, v3
	s_waitcnt vmcnt(0)
	v_add_co_u32_e32 v2, vcc, v16, v2
	v_addc_co_u32_e32 v3, vcc, v17, v3, vcc
	v_mov_b32_e32 v14, v8
	global_store_dwordx2 v[2:3], v[8:9], off
	v_mov_b32_e32 v15, v9
	buffer_wbl2
	s_waitcnt vmcnt(0)
	global_atomic_cmpswap_x2 v[14:15], v31, v[12:15], s[12:13] offset:24 glc
	s_waitcnt vmcnt(0)
	v_cmp_ne_u64_e32 vcc, v[14:15], v[8:9]
	s_and_b64 exec, exec, vcc
	s_cbranch_execz .LBB0_2
; %bb.83:                               ;   in Loop: Header=BB0_3 Depth=1
	s_mov_b64 s[4:5], 0
.LBB0_84:                               ;   Parent Loop BB0_3 Depth=1
                                        ; =>  This Inner Loop Header: Depth=2
	s_sleep 1
	global_store_dwordx2 v[2:3], v[14:15], off
	buffer_wbl2
	s_waitcnt vmcnt(0)
	global_atomic_cmpswap_x2 v[8:9], v31, v[12:15], s[12:13] offset:24 glc
	s_waitcnt vmcnt(0)
	v_cmp_eq_u64_e32 vcc, v[8:9], v[14:15]
	s_or_b64 s[4:5], vcc, s[4:5]
	v_pk_mov_b32 v[14:15], v[8:9], v[8:9] op_sel:[0,1]
	s_andn2_b64 exec, exec, s[4:5]
	s_cbranch_execnz .LBB0_84
	s_branch .LBB0_2
.LBB0_85:
	s_or_b64 exec, exec, s[6:7]
                                        ; implicit-def: $vgpr3
                                        ; implicit-def: $vgpr2
.LBB0_86:
	s_andn2_saveexec_b64 s[6:7], s[10:11]
	s_cbranch_execz .LBB0_109
; %bb.87:
	s_load_dwordx2 s[8:9], s[8:9], 0x50
	s_waitcnt vmcnt(0)
	v_mbcnt_hi_u32_b32 v10, -1, v2
	v_readfirstlane_b32 s4, v10
	v_cmp_eq_u32_e64 s[4:5], s4, v10
	v_pk_mov_b32 v[8:9], 0, 0
	s_and_saveexec_b64 s[10:11], s[4:5]
	s_cbranch_execz .LBB0_93
; %bb.88:
	v_mov_b32_e32 v0, 0
	s_waitcnt lgkmcnt(0)
	global_load_dwordx2 v[6:7], v0, s[8:9] offset:24 glc
	s_waitcnt vmcnt(0)
	buffer_invl2
	buffer_wbinvl1_vol
	global_load_dwordx2 v[4:5], v0, s[8:9] offset:40
	global_load_dwordx2 v[8:9], v0, s[8:9]
	s_waitcnt vmcnt(1)
	v_and_b32_e32 v2, v4, v6
	v_and_b32_e32 v4, v5, v7
	v_mul_lo_u32 v4, v4, 24
	v_mul_hi_u32 v5, v2, 24
	v_mul_lo_u32 v2, v2, 24
	v_add_u32_e32 v5, v5, v4
	s_waitcnt vmcnt(0)
	v_add_co_u32_e32 v4, vcc, v8, v2
	v_addc_co_u32_e32 v5, vcc, v9, v5, vcc
	global_load_dwordx2 v[4:5], v[4:5], off glc
	s_waitcnt vmcnt(0)
	global_atomic_cmpswap_x2 v[8:9], v0, v[4:7], s[8:9] offset:24 glc
	s_waitcnt vmcnt(0)
	buffer_invl2
	buffer_wbinvl1_vol
	v_cmp_ne_u64_e32 vcc, v[8:9], v[6:7]
	s_and_saveexec_b64 s[12:13], vcc
	s_cbranch_execz .LBB0_92
; %bb.89:
	s_mov_b64 s[14:15], 0
.LBB0_90:                               ; =>This Inner Loop Header: Depth=1
	s_sleep 1
	global_load_dwordx2 v[4:5], v0, s[8:9] offset:40
	global_load_dwordx2 v[12:13], v0, s[8:9]
	v_pk_mov_b32 v[6:7], v[8:9], v[8:9] op_sel:[0,1]
	s_waitcnt vmcnt(1)
	v_and_b32_e32 v2, v4, v6
	v_and_b32_e32 v8, v5, v7
	s_waitcnt vmcnt(0)
	v_mad_u64_u32 v[4:5], s[16:17], v2, 24, v[12:13]
	v_mov_b32_e32 v2, v5
	v_mad_u64_u32 v[8:9], s[16:17], v8, 24, v[2:3]
	v_mov_b32_e32 v5, v8
	global_load_dwordx2 v[4:5], v[4:5], off glc
	s_waitcnt vmcnt(0)
	global_atomic_cmpswap_x2 v[8:9], v0, v[4:7], s[8:9] offset:24 glc
	s_waitcnt vmcnt(0)
	buffer_invl2
	buffer_wbinvl1_vol
	v_cmp_eq_u64_e32 vcc, v[8:9], v[6:7]
	s_or_b64 s[14:15], vcc, s[14:15]
	s_andn2_b64 exec, exec, s[14:15]
	s_cbranch_execnz .LBB0_90
; %bb.91:
	s_or_b64 exec, exec, s[14:15]
.LBB0_92:
	s_or_b64 exec, exec, s[12:13]
.LBB0_93:
	s_or_b64 exec, exec, s[10:11]
	v_mov_b32_e32 v2, 0
	s_waitcnt lgkmcnt(0)
	global_load_dwordx2 v[12:13], v2, s[8:9] offset:40
	global_load_dwordx4 v[4:7], v2, s[8:9]
	v_readfirstlane_b32 s10, v8
	v_readfirstlane_b32 s11, v9
	s_mov_b64 s[12:13], exec
	s_waitcnt vmcnt(1)
	v_readfirstlane_b32 s14, v12
	v_readfirstlane_b32 s15, v13
	s_and_b64 s[14:15], s[10:11], s[14:15]
	s_mul_i32 s16, s15, 24
	s_mul_hi_u32 s17, s14, 24
	s_mul_i32 s18, s14, 24
	s_add_i32 s16, s17, s16
	v_mov_b32_e32 v0, s16
	s_waitcnt vmcnt(0)
	v_add_co_u32_e32 v8, vcc, s18, v4
	v_addc_co_u32_e32 v9, vcc, v5, v0, vcc
	s_and_saveexec_b64 s[16:17], s[4:5]
	s_cbranch_execz .LBB0_95
; %bb.94:
	v_pk_mov_b32 v[12:13], s[12:13], s[12:13] op_sel:[0,1]
	v_mov_b32_e32 v14, 2
	v_mov_b32_e32 v15, 1
	global_store_dwordx4 v[8:9], v[12:15], off offset:8
.LBB0_95:
	s_or_b64 exec, exec, s[16:17]
	s_lshl_b64 s[12:13], s[14:15], 12
	v_mov_b32_e32 v0, s13
	v_add_co_u32_e32 v12, vcc, s12, v6
	s_movk_i32 s12, 0xff1f
	v_addc_co_u32_e32 v11, vcc, v7, v0, vcc
	v_and_or_b32 v0, v3, s12, 32
	s_mov_b32 s12, 0
	v_lshlrev_b32_e32 v10, 6, v10
	v_mov_b32_e32 v3, v2
	v_readfirstlane_b32 s16, v12
	v_readfirstlane_b32 s17, v11
	s_mov_b32 s13, s12
	v_add_co_u32_e32 v6, vcc, v12, v10
	s_mov_b32 s14, s12
	s_mov_b32 s15, s12
	s_nop 0
	global_store_dwordx4 v10, v[0:3], s[16:17]
	v_addc_co_u32_e32 v7, vcc, 0, v11, vcc
	v_pk_mov_b32 v[0:1], s[12:13], s[12:13] op_sel:[0,1]
	v_pk_mov_b32 v[2:3], s[14:15], s[14:15] op_sel:[0,1]
	global_store_dwordx4 v10, v[0:3], s[16:17] offset:16
	global_store_dwordx4 v10, v[0:3], s[16:17] offset:32
	;; [unrolled: 1-line block ×3, first 2 shown]
	s_and_saveexec_b64 s[12:13], s[4:5]
	s_cbranch_execz .LBB0_103
; %bb.96:
	v_mov_b32_e32 v10, 0
	global_load_dwordx2 v[14:15], v10, s[8:9] offset:32 glc
	global_load_dwordx2 v[0:1], v10, s[8:9] offset:40
	v_mov_b32_e32 v12, s10
	v_mov_b32_e32 v13, s11
	s_waitcnt vmcnt(0)
	v_and_b32_e32 v0, s10, v0
	v_and_b32_e32 v1, s11, v1
	v_mul_lo_u32 v1, v1, 24
	v_mul_hi_u32 v2, v0, 24
	v_mul_lo_u32 v0, v0, 24
	v_add_u32_e32 v1, v2, v1
	v_add_co_u32_e32 v4, vcc, v4, v0
	v_addc_co_u32_e32 v5, vcc, v5, v1, vcc
	global_store_dwordx2 v[4:5], v[14:15], off
	buffer_wbl2
	s_waitcnt vmcnt(0)
	global_atomic_cmpswap_x2 v[2:3], v10, v[12:15], s[8:9] offset:32 glc
	s_waitcnt vmcnt(0)
	v_cmp_ne_u64_e32 vcc, v[2:3], v[14:15]
	s_and_saveexec_b64 s[14:15], vcc
	s_cbranch_execz .LBB0_99
; %bb.97:
	s_mov_b64 s[16:17], 0
.LBB0_98:                               ; =>This Inner Loop Header: Depth=1
	s_sleep 1
	global_store_dwordx2 v[4:5], v[2:3], off
	v_mov_b32_e32 v0, s10
	v_mov_b32_e32 v1, s11
	buffer_wbl2
	s_waitcnt vmcnt(0)
	global_atomic_cmpswap_x2 v[0:1], v10, v[0:3], s[8:9] offset:32 glc
	s_waitcnt vmcnt(0)
	v_cmp_eq_u64_e32 vcc, v[0:1], v[2:3]
	s_or_b64 s[16:17], vcc, s[16:17]
	v_pk_mov_b32 v[2:3], v[0:1], v[0:1] op_sel:[0,1]
	s_andn2_b64 exec, exec, s[16:17]
	s_cbranch_execnz .LBB0_98
.LBB0_99:
	s_or_b64 exec, exec, s[14:15]
	v_mov_b32_e32 v3, 0
	global_load_dwordx2 v[0:1], v3, s[8:9] offset:16
	s_mov_b64 s[14:15], exec
	v_mbcnt_lo_u32_b32 v2, s14, 0
	v_mbcnt_hi_u32_b32 v2, s15, v2
	v_cmp_eq_u32_e32 vcc, 0, v2
	s_and_saveexec_b64 s[16:17], vcc
	s_cbranch_execz .LBB0_101
; %bb.100:
	s_bcnt1_i32_b64 s14, s[14:15]
	v_mov_b32_e32 v2, s14
	buffer_wbl2
	s_waitcnt vmcnt(0)
	global_atomic_add_x2 v[0:1], v[2:3], off offset:8
.LBB0_101:
	s_or_b64 exec, exec, s[16:17]
	s_waitcnt vmcnt(0)
	global_load_dwordx2 v[2:3], v[0:1], off offset:16
	s_waitcnt vmcnt(0)
	v_cmp_eq_u64_e32 vcc, 0, v[2:3]
	s_cbranch_vccnz .LBB0_103
; %bb.102:
	global_load_dword v0, v[0:1], off offset:24
	v_mov_b32_e32 v1, 0
	buffer_wbl2
	s_waitcnt vmcnt(0)
	global_store_dwordx2 v[2:3], v[0:1], off
	v_and_b32_e32 v0, 0xffffff, v0
	v_readfirstlane_b32 m0, v0
	s_sendmsg sendmsg(MSG_INTERRUPT)
.LBB0_103:
	s_or_b64 exec, exec, s[12:13]
	s_branch .LBB0_107
.LBB0_104:                              ;   in Loop: Header=BB0_107 Depth=1
	s_or_b64 exec, exec, s[12:13]
	v_readfirstlane_b32 s12, v0
	s_cmp_eq_u32 s12, 0
	s_cbranch_scc1 .LBB0_106
; %bb.105:                              ;   in Loop: Header=BB0_107 Depth=1
	s_sleep 1
	s_cbranch_execnz .LBB0_107
	s_branch .LBB0_110
.LBB0_106:
	s_branch .LBB0_110
.LBB0_107:                              ; =>This Inner Loop Header: Depth=1
	v_mov_b32_e32 v0, 1
	s_and_saveexec_b64 s[12:13], s[4:5]
	s_cbranch_execz .LBB0_104
; %bb.108:                              ;   in Loop: Header=BB0_107 Depth=1
	global_load_dword v0, v[8:9], off offset:20 glc
	s_waitcnt vmcnt(0)
	buffer_invl2
	buffer_wbinvl1_vol
	v_and_b32_e32 v0, 1, v0
	s_branch .LBB0_104
.LBB0_109:
	s_or_b64 exec, exec, s[6:7]
	s_waitcnt vmcnt(0) lgkmcnt(0)
	s_setpc_b64 s[30:31]
.LBB0_110:
	global_load_dwordx2 v[0:1], v[6:7], off
	s_and_saveexec_b64 s[12:13], s[4:5]
	s_cbranch_execz .LBB0_113
; %bb.111:
	v_mov_b32_e32 v8, 0
	global_load_dwordx2 v[6:7], v8, s[8:9] offset:40
	global_load_dwordx2 v[10:11], v8, s[8:9] offset:24 glc
	global_load_dwordx2 v[12:13], v8, s[8:9]
	v_mov_b32_e32 v3, s11
	s_mov_b64 s[4:5], 0
	s_waitcnt vmcnt(2)
	v_add_co_u32_e32 v5, vcc, 1, v6
	v_addc_co_u32_e32 v9, vcc, 0, v7, vcc
	v_add_co_u32_e32 v2, vcc, s10, v5
	v_addc_co_u32_e32 v3, vcc, v9, v3, vcc
	v_cmp_eq_u64_e32 vcc, 0, v[2:3]
	v_cndmask_b32_e32 v3, v3, v9, vcc
	v_cndmask_b32_e32 v2, v2, v5, vcc
	v_and_b32_e32 v5, v3, v7
	v_and_b32_e32 v6, v2, v6
	v_mul_lo_u32 v5, v5, 24
	v_mul_hi_u32 v7, v6, 24
	v_mul_lo_u32 v6, v6, 24
	v_add_u32_e32 v5, v7, v5
	s_waitcnt vmcnt(0)
	v_add_co_u32_e32 v6, vcc, v12, v6
	v_addc_co_u32_e32 v7, vcc, v13, v5, vcc
	v_mov_b32_e32 v4, v10
	global_store_dwordx2 v[6:7], v[10:11], off
	v_mov_b32_e32 v5, v11
	buffer_wbl2
	s_waitcnt vmcnt(0)
	global_atomic_cmpswap_x2 v[4:5], v8, v[2:5], s[8:9] offset:24 glc
	s_waitcnt vmcnt(0)
	v_cmp_ne_u64_e32 vcc, v[4:5], v[10:11]
	s_and_b64 exec, exec, vcc
	s_cbranch_execz .LBB0_113
.LBB0_112:                              ; =>This Inner Loop Header: Depth=1
	s_sleep 1
	global_store_dwordx2 v[6:7], v[4:5], off
	buffer_wbl2
	s_waitcnt vmcnt(0)
	global_atomic_cmpswap_x2 v[10:11], v8, v[2:5], s[8:9] offset:24 glc
	s_waitcnt vmcnt(0)
	v_cmp_eq_u64_e32 vcc, v[10:11], v[4:5]
	s_or_b64 s[4:5], vcc, s[4:5]
	v_pk_mov_b32 v[4:5], v[10:11], v[10:11] op_sel:[0,1]
	s_andn2_b64 exec, exec, s[4:5]
	s_cbranch_execnz .LBB0_112
.LBB0_113:
	s_or_b64 exec, exec, s[12:13]
	s_or_b64 exec, exec, s[6:7]
	s_waitcnt vmcnt(0) lgkmcnt(0)
	s_setpc_b64 s[30:31]
.Lfunc_end0:
	.size	__ockl_printf_append_string_n, .Lfunc_end0-__ockl_printf_append_string_n
                                        ; -- End function
	.section	.AMDGPU.csdata,"",@progbits
; Function info:
; codeLenInByte = 4376
; NumSgprs: 36
; NumVgprs: 38
; NumAgprs: 0
; TotalNumVgprs: 38
; ScratchSize: 0
; MemoryBound: 0
	.text
	.p2align	2                               ; -- Begin function __ockl_printf_append_args
	.type	__ockl_printf_append_args,@function
__ockl_printf_append_args:              ; @__ockl_printf_append_args
; %bb.0:
	s_waitcnt vmcnt(0) expcnt(0) lgkmcnt(0)
	s_load_dwordx2 s[6:7], s[8:9], 0x50
	v_mbcnt_lo_u32_b32 v5, -1, 0
	v_mbcnt_hi_u32_b32 v5, -1, v5
	v_readfirstlane_b32 s4, v5
	v_cmp_eq_u32_e64 s[4:5], s4, v5
	v_pk_mov_b32 v[10:11], 0, 0
	s_and_saveexec_b64 s[8:9], s[4:5]
	s_cbranch_execz .LBB1_6
; %bb.1:
	v_mov_b32_e32 v6, 0
	s_waitcnt lgkmcnt(0)
	global_load_dwordx2 v[12:13], v6, s[6:7] offset:24 glc
	s_waitcnt vmcnt(0)
	buffer_invl2
	buffer_wbinvl1_vol
	global_load_dwordx2 v[8:9], v6, s[6:7] offset:40
	global_load_dwordx2 v[10:11], v6, s[6:7]
	s_waitcnt vmcnt(1)
	v_and_b32_e32 v7, v8, v12
	v_and_b32_e32 v8, v9, v13
	v_mul_lo_u32 v8, v8, 24
	v_mul_hi_u32 v9, v7, 24
	v_mul_lo_u32 v7, v7, 24
	v_add_u32_e32 v9, v9, v8
	s_waitcnt vmcnt(0)
	v_add_co_u32_e32 v8, vcc, v10, v7
	v_addc_co_u32_e32 v9, vcc, v11, v9, vcc
	global_load_dwordx2 v[10:11], v[8:9], off glc
	s_waitcnt vmcnt(0)
	global_atomic_cmpswap_x2 v[10:11], v6, v[10:13], s[6:7] offset:24 glc
	s_waitcnt vmcnt(0)
	buffer_invl2
	buffer_wbinvl1_vol
	v_cmp_ne_u64_e32 vcc, v[10:11], v[12:13]
	s_and_saveexec_b64 s[10:11], vcc
	s_cbranch_execz .LBB1_5
; %bb.2:
	s_mov_b64 s[12:13], 0
.LBB1_3:                                ; =>This Inner Loop Header: Depth=1
	s_sleep 1
	global_load_dwordx2 v[8:9], v6, s[6:7] offset:40
	global_load_dwordx2 v[14:15], v6, s[6:7]
	v_pk_mov_b32 v[12:13], v[10:11], v[10:11] op_sel:[0,1]
	s_waitcnt vmcnt(1)
	v_and_b32_e32 v8, v8, v12
	v_and_b32_e32 v7, v9, v13
	s_waitcnt vmcnt(0)
	v_mad_u64_u32 v[8:9], s[14:15], v8, 24, v[14:15]
	v_mov_b32_e32 v10, v9
	v_mad_u64_u32 v[10:11], s[14:15], v7, 24, v[10:11]
	v_mov_b32_e32 v9, v10
	global_load_dwordx2 v[10:11], v[8:9], off glc
	s_waitcnt vmcnt(0)
	global_atomic_cmpswap_x2 v[10:11], v6, v[10:13], s[6:7] offset:24 glc
	s_waitcnt vmcnt(0)
	buffer_invl2
	buffer_wbinvl1_vol
	v_cmp_eq_u64_e32 vcc, v[10:11], v[12:13]
	s_or_b64 s[12:13], vcc, s[12:13]
	s_andn2_b64 exec, exec, s[12:13]
	s_cbranch_execnz .LBB1_3
; %bb.4:
	s_or_b64 exec, exec, s[12:13]
.LBB1_5:
	s_or_b64 exec, exec, s[10:11]
.LBB1_6:
	s_or_b64 exec, exec, s[8:9]
	v_mov_b32_e32 v14, 0
	s_waitcnt lgkmcnt(0)
	global_load_dwordx2 v[12:13], v14, s[6:7] offset:40
	global_load_dwordx4 v[6:9], v14, s[6:7]
	v_readfirstlane_b32 s8, v10
	v_readfirstlane_b32 s9, v11
	s_mov_b64 s[10:11], exec
	s_waitcnt vmcnt(1)
	v_readfirstlane_b32 s12, v12
	v_readfirstlane_b32 s13, v13
	s_and_b64 s[12:13], s[8:9], s[12:13]
	s_mul_i32 s14, s13, 24
	s_mul_hi_u32 s15, s12, 24
	s_mul_i32 s16, s12, 24
	s_add_i32 s14, s15, s14
	v_mov_b32_e32 v11, s14
	s_waitcnt vmcnt(0)
	v_add_co_u32_e32 v10, vcc, s16, v6
	v_addc_co_u32_e32 v11, vcc, v7, v11, vcc
	s_and_saveexec_b64 s[14:15], s[4:5]
	s_cbranch_execz .LBB1_8
; %bb.7:
	v_pk_mov_b32 v[12:13], s[10:11], s[10:11] op_sel:[0,1]
	v_mov_b32_e32 v14, 2
	v_mov_b32_e32 v15, 1
	global_store_dwordx4 v[10:11], v[12:15], off offset:8
.LBB1_8:
	s_or_b64 exec, exec, s[14:15]
	s_lshl_b64 s[10:11], s[12:13], 12
	v_mov_b32_e32 v12, s11
	v_add_co_u32_e32 v8, vcc, s10, v8
	v_addc_co_u32_e32 v9, vcc, v9, v12, vcc
	v_or_b32_e32 v12, 2, v0
	v_cmp_eq_u32_e32 vcc, 0, v4
	s_mov_b32 s12, 0
	v_cndmask_b32_e32 v0, v12, v0, vcc
	s_movk_i32 s10, 0xff1f
	v_and_or_b32 v0, v0, s10, 32
	v_lshlrev_b32_e32 v4, 6, v5
	v_readfirstlane_b32 s10, v8
	v_readfirstlane_b32 s11, v9
	s_mov_b32 s13, s12
	s_mov_b32 s14, s12
	;; [unrolled: 1-line block ×3, first 2 shown]
	s_nop 1
	global_store_dwordx4 v4, v[0:3], s[10:11]
	s_nop 0
	v_pk_mov_b32 v[0:1], s[12:13], s[12:13] op_sel:[0,1]
	v_pk_mov_b32 v[2:3], s[14:15], s[14:15] op_sel:[0,1]
	global_store_dwordx4 v4, v[0:3], s[10:11] offset:16
	global_store_dwordx4 v4, v[0:3], s[10:11] offset:32
	;; [unrolled: 1-line block ×3, first 2 shown]
	s_and_saveexec_b64 s[10:11], s[4:5]
	s_cbranch_execz .LBB1_16
; %bb.9:
	v_mov_b32_e32 v8, 0
	global_load_dwordx2 v[14:15], v8, s[6:7] offset:32 glc
	global_load_dwordx2 v[0:1], v8, s[6:7] offset:40
	v_mov_b32_e32 v12, s8
	v_mov_b32_e32 v13, s9
	s_waitcnt vmcnt(0)
	v_and_b32_e32 v0, s8, v0
	v_and_b32_e32 v1, s9, v1
	v_mul_lo_u32 v1, v1, 24
	v_mul_hi_u32 v2, v0, 24
	v_mul_lo_u32 v0, v0, 24
	v_add_u32_e32 v1, v2, v1
	v_add_co_u32_e32 v4, vcc, v6, v0
	v_addc_co_u32_e32 v5, vcc, v7, v1, vcc
	global_store_dwordx2 v[4:5], v[14:15], off
	buffer_wbl2
	s_waitcnt vmcnt(0)
	global_atomic_cmpswap_x2 v[2:3], v8, v[12:15], s[6:7] offset:32 glc
	s_waitcnt vmcnt(0)
	v_cmp_ne_u64_e32 vcc, v[2:3], v[14:15]
	s_and_saveexec_b64 s[12:13], vcc
	s_cbranch_execz .LBB1_12
; %bb.10:
	s_mov_b64 s[14:15], 0
.LBB1_11:                               ; =>This Inner Loop Header: Depth=1
	s_sleep 1
	global_store_dwordx2 v[4:5], v[2:3], off
	v_mov_b32_e32 v0, s8
	v_mov_b32_e32 v1, s9
	buffer_wbl2
	s_waitcnt vmcnt(0)
	global_atomic_cmpswap_x2 v[0:1], v8, v[0:3], s[6:7] offset:32 glc
	s_waitcnt vmcnt(0)
	v_cmp_eq_u64_e32 vcc, v[0:1], v[2:3]
	s_or_b64 s[14:15], vcc, s[14:15]
	v_pk_mov_b32 v[2:3], v[0:1], v[0:1] op_sel:[0,1]
	s_andn2_b64 exec, exec, s[14:15]
	s_cbranch_execnz .LBB1_11
.LBB1_12:
	s_or_b64 exec, exec, s[12:13]
	v_mov_b32_e32 v3, 0
	global_load_dwordx2 v[0:1], v3, s[6:7] offset:16
	s_mov_b64 s[12:13], exec
	v_mbcnt_lo_u32_b32 v2, s12, 0
	v_mbcnt_hi_u32_b32 v2, s13, v2
	v_cmp_eq_u32_e32 vcc, 0, v2
	s_and_saveexec_b64 s[14:15], vcc
	s_cbranch_execz .LBB1_14
; %bb.13:
	s_bcnt1_i32_b64 s12, s[12:13]
	v_mov_b32_e32 v2, s12
	buffer_wbl2
	s_waitcnt vmcnt(0)
	global_atomic_add_x2 v[0:1], v[2:3], off offset:8
.LBB1_14:
	s_or_b64 exec, exec, s[14:15]
	s_waitcnt vmcnt(0)
	global_load_dwordx2 v[2:3], v[0:1], off offset:16
	s_waitcnt vmcnt(0)
	v_cmp_eq_u64_e32 vcc, 0, v[2:3]
	s_cbranch_vccnz .LBB1_16
; %bb.15:
	global_load_dword v0, v[0:1], off offset:24
	v_mov_b32_e32 v1, 0
	buffer_wbl2
	s_waitcnt vmcnt(0)
	global_store_dwordx2 v[2:3], v[0:1], off
	v_and_b32_e32 v0, 0xffffff, v0
	v_readfirstlane_b32 m0, v0
	s_sendmsg sendmsg(MSG_INTERRUPT)
.LBB1_16:
	s_or_b64 exec, exec, s[10:11]
	s_branch .LBB1_20
.LBB1_17:                               ;   in Loop: Header=BB1_20 Depth=1
	s_or_b64 exec, exec, s[10:11]
	v_readfirstlane_b32 s10, v0
	s_cmp_eq_u32 s10, 0
	s_cbranch_scc1 .LBB1_19
; %bb.18:                               ;   in Loop: Header=BB1_20 Depth=1
	s_sleep 1
	s_cbranch_execnz .LBB1_20
	s_branch .LBB1_22
.LBB1_19:
	s_branch .LBB1_22
.LBB1_20:                               ; =>This Inner Loop Header: Depth=1
	v_mov_b32_e32 v0, 1
	s_and_saveexec_b64 s[10:11], s[4:5]
	s_cbranch_execz .LBB1_17
; %bb.21:                               ;   in Loop: Header=BB1_20 Depth=1
	global_load_dword v0, v[10:11], off offset:20 glc
	s_waitcnt vmcnt(0)
	buffer_invl2
	buffer_wbinvl1_vol
	v_and_b32_e32 v0, 1, v0
	s_branch .LBB1_17
.LBB1_22:
	s_and_saveexec_b64 s[10:11], s[4:5]
	s_cbranch_execz .LBB1_25
; %bb.23:
	v_mov_b32_e32 v6, 0
	global_load_dwordx2 v[4:5], v6, s[6:7] offset:40
	global_load_dwordx2 v[8:9], v6, s[6:7] offset:24 glc
	global_load_dwordx2 v[10:11], v6, s[6:7]
	v_mov_b32_e32 v1, s9
	s_mov_b64 s[4:5], 0
	s_waitcnt vmcnt(2)
	v_add_co_u32_e32 v3, vcc, 1, v4
	v_addc_co_u32_e32 v7, vcc, 0, v5, vcc
	v_add_co_u32_e32 v0, vcc, s8, v3
	v_addc_co_u32_e32 v1, vcc, v7, v1, vcc
	v_cmp_eq_u64_e32 vcc, 0, v[0:1]
	v_cndmask_b32_e32 v1, v1, v7, vcc
	v_cndmask_b32_e32 v0, v0, v3, vcc
	v_and_b32_e32 v3, v1, v5
	v_and_b32_e32 v4, v0, v4
	v_mul_lo_u32 v3, v3, 24
	v_mul_hi_u32 v5, v4, 24
	v_mul_lo_u32 v4, v4, 24
	v_add_u32_e32 v3, v5, v3
	s_waitcnt vmcnt(0)
	v_add_co_u32_e32 v4, vcc, v10, v4
	v_addc_co_u32_e32 v5, vcc, v11, v3, vcc
	v_mov_b32_e32 v2, v8
	global_store_dwordx2 v[4:5], v[8:9], off
	v_mov_b32_e32 v3, v9
	buffer_wbl2
	s_waitcnt vmcnt(0)
	global_atomic_cmpswap_x2 v[2:3], v6, v[0:3], s[6:7] offset:24 glc
	s_waitcnt vmcnt(0)
	v_cmp_ne_u64_e32 vcc, v[2:3], v[8:9]
	s_and_b64 exec, exec, vcc
	s_cbranch_execz .LBB1_25
.LBB1_24:                               ; =>This Inner Loop Header: Depth=1
	s_sleep 1
	global_store_dwordx2 v[4:5], v[2:3], off
	buffer_wbl2
	s_waitcnt vmcnt(0)
	global_atomic_cmpswap_x2 v[8:9], v6, v[0:3], s[6:7] offset:24 glc
	s_waitcnt vmcnt(0)
	v_cmp_eq_u64_e32 vcc, v[8:9], v[2:3]
	s_or_b64 s[4:5], vcc, s[4:5]
	v_pk_mov_b32 v[2:3], v[8:9], v[8:9] op_sel:[0,1]
	s_andn2_b64 exec, exec, s[4:5]
	s_cbranch_execnz .LBB1_24
.LBB1_25:
	s_or_b64 exec, exec, s[10:11]
	s_waitcnt vmcnt(0) lgkmcnt(0)
	s_setpc_b64 s[30:31]
.Lfunc_end1:
	.size	__ockl_printf_append_args, .Lfunc_end1-__ockl_printf_append_args
                                        ; -- End function
	.section	.AMDGPU.csdata,"",@progbits
; Function info:
; codeLenInByte = 1284
; NumSgprs: 36
; NumVgprs: 16
; NumAgprs: 0
; TotalNumVgprs: 16
; ScratchSize: 0
; MemoryBound: 0
	.text
	.p2align	2                               ; -- Begin function _ZL14no_device_codePKciS0_iS0_
	.type	_ZL14no_device_codePKciS0_iS0_,@function
_ZL14no_device_codePKciS0_iS0_:         ; @_ZL14no_device_codePKciS0_iS0_
; %bb.0:
	s_waitcnt vmcnt(0) expcnt(0) lgkmcnt(0)
	s_mov_b32 s25, s33
	s_mov_b32 s33, s32
	s_or_saveexec_b64 s[4:5], -1
	buffer_store_dword v40, off, s[0:3], s33 ; 4-byte Folded Spill
	s_mov_b64 exec, s[4:5]
	v_writelane_b32 v40, s30, 0
	s_addk_i32 s32, 0x400
	v_writelane_b32 v40, s31, 1
	s_load_dwordx2 s[6:7], s[8:9], 0x50
	v_mov_b32_e32 v3, v2
	v_mov_b32_e32 v2, v1
	v_mbcnt_lo_u32_b32 v1, -1, 0
	v_mbcnt_hi_u32_b32 v39, -1, v1
	v_readfirstlane_b32 s4, v39
	s_mov_b64 s[26:27], s[8:9]
	v_cmp_eq_u32_e64 s[4:5], s4, v39
	v_pk_mov_b32 v[10:11], 0, 0
	s_and_saveexec_b64 s[10:11], s[4:5]
	s_cbranch_execz .LBB2_6
; %bb.1:
	v_mov_b32_e32 v1, 0
	s_waitcnt lgkmcnt(0)
	global_load_dwordx2 v[6:7], v1, s[6:7] offset:24 glc
	s_waitcnt vmcnt(0)
	buffer_invl2
	buffer_wbinvl1_vol
	global_load_dwordx2 v[4:5], v1, s[6:7] offset:40
	global_load_dwordx2 v[8:9], v1, s[6:7]
	s_waitcnt vmcnt(1)
	v_and_b32_e32 v4, v4, v6
	v_and_b32_e32 v5, v5, v7
	v_mul_lo_u32 v5, v5, 24
	v_mul_hi_u32 v10, v4, 24
	v_mul_lo_u32 v4, v4, 24
	v_add_u32_e32 v5, v10, v5
	s_waitcnt vmcnt(0)
	v_add_co_u32_e32 v4, vcc, v8, v4
	v_addc_co_u32_e32 v5, vcc, v9, v5, vcc
	global_load_dwordx2 v[4:5], v[4:5], off glc
	s_waitcnt vmcnt(0)
	global_atomic_cmpswap_x2 v[10:11], v1, v[4:7], s[6:7] offset:24 glc
	s_waitcnt vmcnt(0)
	buffer_invl2
	buffer_wbinvl1_vol
	v_cmp_ne_u64_e32 vcc, v[10:11], v[6:7]
	s_and_saveexec_b64 s[12:13], vcc
	s_cbranch_execz .LBB2_5
; %bb.2:
	s_mov_b64 s[14:15], 0
.LBB2_3:                                ; =>This Inner Loop Header: Depth=1
	s_sleep 1
	global_load_dwordx2 v[4:5], v1, s[6:7] offset:40
	global_load_dwordx2 v[8:9], v1, s[6:7]
	v_pk_mov_b32 v[6:7], v[10:11], v[10:11] op_sel:[0,1]
	s_waitcnt vmcnt(1)
	v_and_b32_e32 v4, v4, v6
	v_and_b32_e32 v10, v5, v7
	s_waitcnt vmcnt(0)
	v_mad_u64_u32 v[4:5], s[16:17], v4, 24, v[8:9]
	v_mov_b32_e32 v8, v5
	v_mad_u64_u32 v[8:9], s[16:17], v10, 24, v[8:9]
	v_mov_b32_e32 v5, v8
	global_load_dwordx2 v[4:5], v[4:5], off glc
	s_waitcnt vmcnt(0)
	global_atomic_cmpswap_x2 v[10:11], v1, v[4:7], s[6:7] offset:24 glc
	s_waitcnt vmcnt(0)
	buffer_invl2
	buffer_wbinvl1_vol
	v_cmp_eq_u64_e32 vcc, v[10:11], v[6:7]
	s_or_b64 s[14:15], vcc, s[14:15]
	s_andn2_b64 exec, exec, s[14:15]
	s_cbranch_execnz .LBB2_3
; %bb.4:
	s_or_b64 exec, exec, s[14:15]
.LBB2_5:
	s_or_b64 exec, exec, s[12:13]
.LBB2_6:
	s_or_b64 exec, exec, s[10:11]
	v_mov_b32_e32 v9, 0
	s_waitcnt lgkmcnt(0)
	global_load_dwordx2 v[12:13], v9, s[6:7] offset:40
	global_load_dwordx4 v[4:7], v9, s[6:7]
	v_readfirstlane_b32 s10, v10
	v_readfirstlane_b32 s11, v11
	s_mov_b64 s[12:13], exec
	s_waitcnt vmcnt(1)
	v_readfirstlane_b32 s14, v12
	v_readfirstlane_b32 s15, v13
	s_and_b64 s[14:15], s[10:11], s[14:15]
	s_mul_i32 s16, s15, 24
	s_mul_hi_u32 s17, s14, 24
	s_mul_i32 s18, s14, 24
	s_add_i32 s16, s17, s16
	v_mov_b32_e32 v1, s16
	s_waitcnt vmcnt(0)
	v_add_co_u32_e32 v12, vcc, s18, v4
	v_addc_co_u32_e32 v13, vcc, v5, v1, vcc
	s_and_saveexec_b64 s[16:17], s[4:5]
	s_cbranch_execz .LBB2_8
; %bb.7:
	v_pk_mov_b32 v[14:15], s[12:13], s[12:13] op_sel:[0,1]
	v_mov_b32_e32 v16, 2
	v_mov_b32_e32 v17, 1
	global_store_dwordx4 v[12:13], v[14:17], off offset:8
.LBB2_8:
	s_or_b64 exec, exec, s[16:17]
	s_lshl_b64 s[12:13], s[14:15], 12
	v_mov_b32_e32 v1, s13
	v_add_co_u32_e32 v6, vcc, s12, v6
	v_addc_co_u32_e32 v1, vcc, v7, v1, vcc
	s_mov_b32 s12, 0
	v_lshlrev_b32_e32 v38, 6, v39
	v_mov_b32_e32 v8, 33
	v_mov_b32_e32 v10, v9
	;; [unrolled: 1-line block ×3, first 2 shown]
	v_readfirstlane_b32 s16, v6
	v_readfirstlane_b32 s17, v1
	s_mov_b32 s13, s12
	v_add_co_u32_e32 v14, vcc, v6, v38
	s_mov_b32 s14, s12
	s_mov_b32 s15, s12
	s_nop 0
	global_store_dwordx4 v38, v[8:11], s[16:17]
	v_pk_mov_b32 v[6:7], s[12:13], s[12:13] op_sel:[0,1]
	v_addc_co_u32_e32 v15, vcc, 0, v1, vcc
	v_pk_mov_b32 v[8:9], s[14:15], s[14:15] op_sel:[0,1]
	global_store_dwordx4 v38, v[6:9], s[16:17] offset:16
	global_store_dwordx4 v38, v[6:9], s[16:17] offset:32
	;; [unrolled: 1-line block ×3, first 2 shown]
	s_and_saveexec_b64 s[12:13], s[4:5]
	s_cbranch_execz .LBB2_16
; %bb.9:
	v_mov_b32_e32 v1, 0
	global_load_dwordx2 v[18:19], v1, s[6:7] offset:32 glc
	global_load_dwordx2 v[6:7], v1, s[6:7] offset:40
	v_mov_b32_e32 v16, s10
	v_mov_b32_e32 v17, s11
	s_waitcnt vmcnt(0)
	v_and_b32_e32 v6, s10, v6
	v_and_b32_e32 v7, s11, v7
	v_mul_lo_u32 v7, v7, 24
	v_mul_hi_u32 v8, v6, 24
	v_mul_lo_u32 v6, v6, 24
	v_add_u32_e32 v7, v8, v7
	v_add_co_u32_e32 v8, vcc, v4, v6
	v_addc_co_u32_e32 v9, vcc, v5, v7, vcc
	global_store_dwordx2 v[8:9], v[18:19], off
	buffer_wbl2
	s_waitcnt vmcnt(0)
	global_atomic_cmpswap_x2 v[6:7], v1, v[16:19], s[6:7] offset:32 glc
	s_waitcnt vmcnt(0)
	v_cmp_ne_u64_e32 vcc, v[6:7], v[18:19]
	s_and_saveexec_b64 s[14:15], vcc
	s_cbranch_execz .LBB2_12
; %bb.10:
	s_mov_b64 s[16:17], 0
.LBB2_11:                               ; =>This Inner Loop Header: Depth=1
	s_sleep 1
	global_store_dwordx2 v[8:9], v[6:7], off
	v_mov_b32_e32 v4, s10
	v_mov_b32_e32 v5, s11
	buffer_wbl2
	s_waitcnt vmcnt(0)
	global_atomic_cmpswap_x2 v[4:5], v1, v[4:7], s[6:7] offset:32 glc
	s_waitcnt vmcnt(0)
	v_cmp_eq_u64_e32 vcc, v[4:5], v[6:7]
	s_or_b64 s[16:17], vcc, s[16:17]
	v_pk_mov_b32 v[6:7], v[4:5], v[4:5] op_sel:[0,1]
	s_andn2_b64 exec, exec, s[16:17]
	s_cbranch_execnz .LBB2_11
.LBB2_12:
	s_or_b64 exec, exec, s[14:15]
	v_mov_b32_e32 v7, 0
	global_load_dwordx2 v[4:5], v7, s[6:7] offset:16
	s_mov_b64 s[14:15], exec
	v_mbcnt_lo_u32_b32 v1, s14, 0
	v_mbcnt_hi_u32_b32 v1, s15, v1
	v_cmp_eq_u32_e32 vcc, 0, v1
	s_and_saveexec_b64 s[16:17], vcc
	s_cbranch_execz .LBB2_14
; %bb.13:
	s_bcnt1_i32_b64 s14, s[14:15]
	v_mov_b32_e32 v6, s14
	buffer_wbl2
	s_waitcnt vmcnt(0)
	global_atomic_add_x2 v[4:5], v[6:7], off offset:8
.LBB2_14:
	s_or_b64 exec, exec, s[16:17]
	s_waitcnt vmcnt(0)
	global_load_dwordx2 v[6:7], v[4:5], off offset:16
	s_waitcnt vmcnt(0)
	v_cmp_eq_u64_e32 vcc, 0, v[6:7]
	s_cbranch_vccnz .LBB2_16
; %bb.15:
	global_load_dword v4, v[4:5], off offset:24
	v_mov_b32_e32 v5, 0
	s_waitcnt vmcnt(0)
	v_and_b32_e32 v1, 0xffffff, v4
	v_readfirstlane_b32 m0, v1
	buffer_wbl2
	global_store_dwordx2 v[6:7], v[4:5], off
	s_sendmsg sendmsg(MSG_INTERRUPT)
.LBB2_16:
	s_or_b64 exec, exec, s[12:13]
	s_branch .LBB2_20
.LBB2_17:                               ;   in Loop: Header=BB2_20 Depth=1
	s_or_b64 exec, exec, s[12:13]
	v_readfirstlane_b32 s12, v1
	s_cmp_eq_u32 s12, 0
	s_cbranch_scc1 .LBB2_19
; %bb.18:                               ;   in Loop: Header=BB2_20 Depth=1
	s_sleep 1
	s_cbranch_execnz .LBB2_20
	s_branch .LBB2_22
.LBB2_19:
	s_branch .LBB2_22
.LBB2_20:                               ; =>This Inner Loop Header: Depth=1
	v_mov_b32_e32 v1, 1
	s_and_saveexec_b64 s[12:13], s[4:5]
	s_cbranch_execz .LBB2_17
; %bb.21:                               ;   in Loop: Header=BB2_20 Depth=1
	global_load_dword v1, v[12:13], off offset:20 glc
	s_waitcnt vmcnt(0)
	buffer_invl2
	buffer_wbinvl1_vol
	v_and_b32_e32 v1, 1, v1
	s_branch .LBB2_17
.LBB2_22:
	global_load_dwordx2 v[8:9], v[14:15], off
	s_and_saveexec_b64 s[12:13], s[4:5]
	s_cbranch_execz .LBB2_25
; %bb.23:
	v_mov_b32_e32 v1, 0
	global_load_dwordx2 v[10:11], v1, s[6:7] offset:40
	global_load_dwordx2 v[12:13], v1, s[6:7] offset:24 glc
	global_load_dwordx2 v[14:15], v1, s[6:7]
	v_mov_b32_e32 v5, s11
	s_mov_b64 s[4:5], 0
	s_waitcnt vmcnt(2)
	v_add_co_u32_e32 v7, vcc, 1, v10
	v_addc_co_u32_e32 v16, vcc, 0, v11, vcc
	v_add_co_u32_e32 v4, vcc, s10, v7
	v_addc_co_u32_e32 v5, vcc, v16, v5, vcc
	v_cmp_eq_u64_e32 vcc, 0, v[4:5]
	v_cndmask_b32_e32 v5, v5, v16, vcc
	v_cndmask_b32_e32 v4, v4, v7, vcc
	v_and_b32_e32 v7, v5, v11
	v_and_b32_e32 v10, v4, v10
	v_mul_lo_u32 v7, v7, 24
	v_mul_hi_u32 v11, v10, 24
	v_mul_lo_u32 v10, v10, 24
	v_add_u32_e32 v7, v11, v7
	s_waitcnt vmcnt(0)
	v_add_co_u32_e32 v10, vcc, v14, v10
	v_addc_co_u32_e32 v11, vcc, v15, v7, vcc
	v_mov_b32_e32 v6, v12
	global_store_dwordx2 v[10:11], v[12:13], off
	v_mov_b32_e32 v7, v13
	buffer_wbl2
	s_waitcnt vmcnt(0)
	global_atomic_cmpswap_x2 v[6:7], v1, v[4:7], s[6:7] offset:24 glc
	s_waitcnt vmcnt(0)
	v_cmp_ne_u64_e32 vcc, v[6:7], v[12:13]
	s_and_b64 exec, exec, vcc
	s_cbranch_execz .LBB2_25
.LBB2_24:                               ; =>This Inner Loop Header: Depth=1
	s_sleep 1
	global_store_dwordx2 v[10:11], v[6:7], off
	buffer_wbl2
	s_waitcnt vmcnt(0)
	global_atomic_cmpswap_x2 v[12:13], v1, v[4:7], s[6:7] offset:24 glc
	s_waitcnt vmcnt(0)
	v_cmp_eq_u64_e32 vcc, v[12:13], v[6:7]
	s_or_b64 s[4:5], vcc, s[4:5]
	v_pk_mov_b32 v[6:7], v[12:13], v[12:13] op_sel:[0,1]
	s_andn2_b64 exec, exec, s[4:5]
	s_cbranch_execnz .LBB2_24
.LBB2_25:
	s_or_b64 exec, exec, s[12:13]
	s_getpc_b64 s[10:11]
	s_add_u32 s10, s10, .str.2@rel32@lo+4
	s_addc_u32 s11, s11, .str.2@rel32@hi+12
	s_cmp_lg_u64 s[10:11], 0
	s_cbranch_scc0 .LBB2_109
; %bb.26:
	s_waitcnt vmcnt(0)
	v_and_b32_e32 v30, 2, v8
	v_mov_b32_e32 v33, 0
	v_and_b32_e32 v4, -3, v8
	v_mov_b32_e32 v5, v9
	s_mov_b64 s[12:13], 0x4d
	v_mov_b32_e32 v12, 2
	v_mov_b32_e32 v13, 1
	s_branch .LBB2_28
.LBB2_27:                               ;   in Loop: Header=BB2_28 Depth=1
	s_or_b64 exec, exec, s[18:19]
	s_sub_u32 s12, s12, s14
	s_subb_u32 s13, s13, s15
	s_add_u32 s10, s10, s14
	s_addc_u32 s11, s11, s15
	s_cmp_lg_u64 s[12:13], 0
	s_cbranch_scc0 .LBB2_110
.LBB2_28:                               ; =>This Loop Header: Depth=1
                                        ;     Child Loop BB2_31 Depth 2
                                        ;     Child Loop BB2_38 Depth 2
	;; [unrolled: 1-line block ×11, first 2 shown]
	v_cmp_lt_u64_e64 s[4:5], s[12:13], 56
	s_and_b64 s[4:5], s[4:5], exec
	v_cmp_gt_u64_e64 s[4:5], s[12:13], 7
	s_cselect_b32 s15, s13, 0
	s_cselect_b32 s14, s12, 56
	s_and_b64 vcc, exec, s[4:5]
	s_cbranch_vccnz .LBB2_33
; %bb.29:                               ;   in Loop: Header=BB2_28 Depth=1
	s_mov_b64 s[4:5], 0
	s_cmp_eq_u64 s[12:13], 0
	s_waitcnt vmcnt(0)
	v_pk_mov_b32 v[6:7], 0, 0
	s_cbranch_scc1 .LBB2_32
; %bb.30:                               ;   in Loop: Header=BB2_28 Depth=1
	s_lshl_b64 s[16:17], s[14:15], 3
	s_mov_b64 s[18:19], 0
	v_pk_mov_b32 v[6:7], 0, 0
	s_mov_b64 s[20:21], s[10:11]
.LBB2_31:                               ;   Parent Loop BB2_28 Depth=1
                                        ; =>  This Inner Loop Header: Depth=2
	global_load_ubyte v1, v33, s[20:21]
	s_waitcnt vmcnt(0)
	v_and_b32_e32 v32, 0xffff, v1
	v_lshlrev_b64 v[10:11], s18, v[32:33]
	s_add_u32 s18, s18, 8
	s_addc_u32 s19, s19, 0
	s_add_u32 s20, s20, 1
	s_addc_u32 s21, s21, 0
	v_or_b32_e32 v6, v10, v6
	s_cmp_lg_u32 s16, s18
	v_or_b32_e32 v7, v11, v7
	s_cbranch_scc1 .LBB2_31
.LBB2_32:                               ;   in Loop: Header=BB2_28 Depth=1
	s_mov_b32 s20, 0
	s_andn2_b64 vcc, exec, s[4:5]
	s_mov_b64 s[4:5], s[10:11]
	s_cbranch_vccz .LBB2_34
	s_branch .LBB2_35
.LBB2_33:                               ;   in Loop: Header=BB2_28 Depth=1
                                        ; implicit-def: $vgpr6_vgpr7
                                        ; implicit-def: $sgpr20
	s_mov_b64 s[4:5], s[10:11]
.LBB2_34:                               ;   in Loop: Header=BB2_28 Depth=1
	global_load_dwordx2 v[6:7], v33, s[10:11]
	s_add_i32 s20, s14, -8
	s_add_u32 s4, s10, 8
	s_addc_u32 s5, s11, 0
.LBB2_35:                               ;   in Loop: Header=BB2_28 Depth=1
	s_cmp_gt_u32 s20, 7
	s_cbranch_scc1 .LBB2_39
; %bb.36:                               ;   in Loop: Header=BB2_28 Depth=1
	s_cmp_eq_u32 s20, 0
	s_cbranch_scc1 .LBB2_40
; %bb.37:                               ;   in Loop: Header=BB2_28 Depth=1
	s_mov_b64 s[16:17], 0
	v_pk_mov_b32 v[14:15], 0, 0
	s_mov_b64 s[18:19], 0
.LBB2_38:                               ;   Parent Loop BB2_28 Depth=1
                                        ; =>  This Inner Loop Header: Depth=2
	s_add_u32 s22, s4, s18
	s_addc_u32 s23, s5, s19
	global_load_ubyte v1, v33, s[22:23]
	s_add_u32 s18, s18, 1
	s_addc_u32 s19, s19, 0
	s_waitcnt vmcnt(0)
	v_and_b32_e32 v32, 0xffff, v1
	v_lshlrev_b64 v[10:11], s16, v[32:33]
	s_add_u32 s16, s16, 8
	s_addc_u32 s17, s17, 0
	v_or_b32_e32 v14, v10, v14
	s_cmp_lg_u32 s20, s18
	v_or_b32_e32 v15, v11, v15
	s_cbranch_scc1 .LBB2_38
	s_branch .LBB2_41
.LBB2_39:                               ;   in Loop: Header=BB2_28 Depth=1
                                        ; implicit-def: $vgpr14_vgpr15
                                        ; implicit-def: $sgpr21
	s_branch .LBB2_42
.LBB2_40:                               ;   in Loop: Header=BB2_28 Depth=1
	v_pk_mov_b32 v[14:15], 0, 0
.LBB2_41:                               ;   in Loop: Header=BB2_28 Depth=1
	s_mov_b32 s21, 0
	s_cbranch_execnz .LBB2_43
.LBB2_42:                               ;   in Loop: Header=BB2_28 Depth=1
	global_load_dwordx2 v[14:15], v33, s[4:5]
	s_add_i32 s21, s20, -8
	s_add_u32 s4, s4, 8
	s_addc_u32 s5, s5, 0
.LBB2_43:                               ;   in Loop: Header=BB2_28 Depth=1
	s_cmp_gt_u32 s21, 7
	s_cbranch_scc1 .LBB2_47
; %bb.44:                               ;   in Loop: Header=BB2_28 Depth=1
	s_cmp_eq_u32 s21, 0
	s_cbranch_scc1 .LBB2_48
; %bb.45:                               ;   in Loop: Header=BB2_28 Depth=1
	s_mov_b64 s[16:17], 0
	v_pk_mov_b32 v[16:17], 0, 0
	s_mov_b64 s[18:19], 0
.LBB2_46:                               ;   Parent Loop BB2_28 Depth=1
                                        ; =>  This Inner Loop Header: Depth=2
	s_add_u32 s22, s4, s18
	s_addc_u32 s23, s5, s19
	global_load_ubyte v1, v33, s[22:23]
	s_add_u32 s18, s18, 1
	s_addc_u32 s19, s19, 0
	s_waitcnt vmcnt(0)
	v_and_b32_e32 v32, 0xffff, v1
	v_lshlrev_b64 v[10:11], s16, v[32:33]
	s_add_u32 s16, s16, 8
	s_addc_u32 s17, s17, 0
	v_or_b32_e32 v16, v10, v16
	s_cmp_lg_u32 s21, s18
	v_or_b32_e32 v17, v11, v17
	s_cbranch_scc1 .LBB2_46
	s_branch .LBB2_49
.LBB2_47:                               ;   in Loop: Header=BB2_28 Depth=1
                                        ; implicit-def: $sgpr20
	s_branch .LBB2_50
.LBB2_48:                               ;   in Loop: Header=BB2_28 Depth=1
	v_pk_mov_b32 v[16:17], 0, 0
.LBB2_49:                               ;   in Loop: Header=BB2_28 Depth=1
	s_mov_b32 s20, 0
	s_cbranch_execnz .LBB2_51
.LBB2_50:                               ;   in Loop: Header=BB2_28 Depth=1
	global_load_dwordx2 v[16:17], v33, s[4:5]
	s_add_i32 s20, s21, -8
	s_add_u32 s4, s4, 8
	s_addc_u32 s5, s5, 0
.LBB2_51:                               ;   in Loop: Header=BB2_28 Depth=1
	s_cmp_gt_u32 s20, 7
	s_cbranch_scc1 .LBB2_55
; %bb.52:                               ;   in Loop: Header=BB2_28 Depth=1
	s_cmp_eq_u32 s20, 0
	s_cbranch_scc1 .LBB2_56
; %bb.53:                               ;   in Loop: Header=BB2_28 Depth=1
	s_mov_b64 s[16:17], 0
	v_pk_mov_b32 v[18:19], 0, 0
	s_mov_b64 s[18:19], 0
.LBB2_54:                               ;   Parent Loop BB2_28 Depth=1
                                        ; =>  This Inner Loop Header: Depth=2
	s_add_u32 s22, s4, s18
	s_addc_u32 s23, s5, s19
	global_load_ubyte v1, v33, s[22:23]
	s_add_u32 s18, s18, 1
	s_addc_u32 s19, s19, 0
	s_waitcnt vmcnt(0)
	v_and_b32_e32 v32, 0xffff, v1
	v_lshlrev_b64 v[10:11], s16, v[32:33]
	s_add_u32 s16, s16, 8
	s_addc_u32 s17, s17, 0
	v_or_b32_e32 v18, v10, v18
	s_cmp_lg_u32 s20, s18
	v_or_b32_e32 v19, v11, v19
	s_cbranch_scc1 .LBB2_54
	s_branch .LBB2_57
.LBB2_55:                               ;   in Loop: Header=BB2_28 Depth=1
                                        ; implicit-def: $vgpr18_vgpr19
                                        ; implicit-def: $sgpr21
	s_branch .LBB2_58
.LBB2_56:                               ;   in Loop: Header=BB2_28 Depth=1
	v_pk_mov_b32 v[18:19], 0, 0
.LBB2_57:                               ;   in Loop: Header=BB2_28 Depth=1
	s_mov_b32 s21, 0
	s_cbranch_execnz .LBB2_59
.LBB2_58:                               ;   in Loop: Header=BB2_28 Depth=1
	global_load_dwordx2 v[18:19], v33, s[4:5]
	s_add_i32 s21, s20, -8
	s_add_u32 s4, s4, 8
	s_addc_u32 s5, s5, 0
.LBB2_59:                               ;   in Loop: Header=BB2_28 Depth=1
	s_cmp_gt_u32 s21, 7
	s_cbranch_scc1 .LBB2_63
; %bb.60:                               ;   in Loop: Header=BB2_28 Depth=1
	s_cmp_eq_u32 s21, 0
	s_cbranch_scc1 .LBB2_64
; %bb.61:                               ;   in Loop: Header=BB2_28 Depth=1
	s_mov_b64 s[16:17], 0
	v_pk_mov_b32 v[20:21], 0, 0
	s_mov_b64 s[18:19], 0
.LBB2_62:                               ;   Parent Loop BB2_28 Depth=1
                                        ; =>  This Inner Loop Header: Depth=2
	s_add_u32 s22, s4, s18
	s_addc_u32 s23, s5, s19
	global_load_ubyte v1, v33, s[22:23]
	s_add_u32 s18, s18, 1
	s_addc_u32 s19, s19, 0
	s_waitcnt vmcnt(0)
	v_and_b32_e32 v32, 0xffff, v1
	v_lshlrev_b64 v[10:11], s16, v[32:33]
	s_add_u32 s16, s16, 8
	s_addc_u32 s17, s17, 0
	v_or_b32_e32 v20, v10, v20
	s_cmp_lg_u32 s21, s18
	v_or_b32_e32 v21, v11, v21
	s_cbranch_scc1 .LBB2_62
	s_branch .LBB2_65
.LBB2_63:                               ;   in Loop: Header=BB2_28 Depth=1
                                        ; implicit-def: $sgpr20
	s_branch .LBB2_66
.LBB2_64:                               ;   in Loop: Header=BB2_28 Depth=1
	v_pk_mov_b32 v[20:21], 0, 0
.LBB2_65:                               ;   in Loop: Header=BB2_28 Depth=1
	s_mov_b32 s20, 0
	s_cbranch_execnz .LBB2_67
.LBB2_66:                               ;   in Loop: Header=BB2_28 Depth=1
	global_load_dwordx2 v[20:21], v33, s[4:5]
	s_add_i32 s20, s21, -8
	s_add_u32 s4, s4, 8
	s_addc_u32 s5, s5, 0
.LBB2_67:                               ;   in Loop: Header=BB2_28 Depth=1
	s_cmp_gt_u32 s20, 7
	s_cbranch_scc1 .LBB2_71
; %bb.68:                               ;   in Loop: Header=BB2_28 Depth=1
	s_cmp_eq_u32 s20, 0
	s_cbranch_scc1 .LBB2_72
; %bb.69:                               ;   in Loop: Header=BB2_28 Depth=1
	s_mov_b64 s[16:17], 0
	v_pk_mov_b32 v[22:23], 0, 0
	s_mov_b64 s[18:19], 0
.LBB2_70:                               ;   Parent Loop BB2_28 Depth=1
                                        ; =>  This Inner Loop Header: Depth=2
	s_add_u32 s22, s4, s18
	s_addc_u32 s23, s5, s19
	global_load_ubyte v1, v33, s[22:23]
	s_add_u32 s18, s18, 1
	s_addc_u32 s19, s19, 0
	s_waitcnt vmcnt(0)
	v_and_b32_e32 v32, 0xffff, v1
	v_lshlrev_b64 v[10:11], s16, v[32:33]
	s_add_u32 s16, s16, 8
	s_addc_u32 s17, s17, 0
	v_or_b32_e32 v22, v10, v22
	s_cmp_lg_u32 s20, s18
	v_or_b32_e32 v23, v11, v23
	s_cbranch_scc1 .LBB2_70
	s_branch .LBB2_73
.LBB2_71:                               ;   in Loop: Header=BB2_28 Depth=1
                                        ; implicit-def: $vgpr22_vgpr23
                                        ; implicit-def: $sgpr21
	s_branch .LBB2_74
.LBB2_72:                               ;   in Loop: Header=BB2_28 Depth=1
	v_pk_mov_b32 v[22:23], 0, 0
.LBB2_73:                               ;   in Loop: Header=BB2_28 Depth=1
	s_mov_b32 s21, 0
	s_cbranch_execnz .LBB2_75
.LBB2_74:                               ;   in Loop: Header=BB2_28 Depth=1
	global_load_dwordx2 v[22:23], v33, s[4:5]
	s_add_i32 s21, s20, -8
	s_add_u32 s4, s4, 8
	s_addc_u32 s5, s5, 0
.LBB2_75:                               ;   in Loop: Header=BB2_28 Depth=1
	s_cmp_gt_u32 s21, 7
	s_cbranch_scc1 .LBB2_79
; %bb.76:                               ;   in Loop: Header=BB2_28 Depth=1
	s_cmp_eq_u32 s21, 0
	s_cbranch_scc1 .LBB2_80
; %bb.77:                               ;   in Loop: Header=BB2_28 Depth=1
	s_mov_b64 s[16:17], 0
	v_pk_mov_b32 v[24:25], 0, 0
	s_mov_b64 s[18:19], s[4:5]
.LBB2_78:                               ;   Parent Loop BB2_28 Depth=1
                                        ; =>  This Inner Loop Header: Depth=2
	global_load_ubyte v1, v33, s[18:19]
	s_add_i32 s21, s21, -1
	s_waitcnt vmcnt(0)
	v_and_b32_e32 v32, 0xffff, v1
	v_lshlrev_b64 v[10:11], s16, v[32:33]
	s_add_u32 s16, s16, 8
	s_addc_u32 s17, s17, 0
	s_add_u32 s18, s18, 1
	s_addc_u32 s19, s19, 0
	v_or_b32_e32 v24, v10, v24
	s_cmp_lg_u32 s21, 0
	v_or_b32_e32 v25, v11, v25
	s_cbranch_scc1 .LBB2_78
	s_branch .LBB2_81
.LBB2_79:                               ;   in Loop: Header=BB2_28 Depth=1
	s_branch .LBB2_82
.LBB2_80:                               ;   in Loop: Header=BB2_28 Depth=1
	v_pk_mov_b32 v[24:25], 0, 0
.LBB2_81:                               ;   in Loop: Header=BB2_28 Depth=1
	s_cbranch_execnz .LBB2_83
.LBB2_82:                               ;   in Loop: Header=BB2_28 Depth=1
	global_load_dwordx2 v[24:25], v33, s[4:5]
.LBB2_83:                               ;   in Loop: Header=BB2_28 Depth=1
	v_readfirstlane_b32 s4, v39
	v_cmp_eq_u32_e64 s[4:5], s4, v39
	v_pk_mov_b32 v[10:11], 0, 0
	s_and_saveexec_b64 s[16:17], s[4:5]
	s_cbranch_execz .LBB2_89
; %bb.84:                               ;   in Loop: Header=BB2_28 Depth=1
	global_load_dwordx2 v[28:29], v33, s[6:7] offset:24 glc
	s_waitcnt vmcnt(0)
	buffer_invl2
	buffer_wbinvl1_vol
	global_load_dwordx2 v[10:11], v33, s[6:7] offset:40
	global_load_dwordx2 v[26:27], v33, s[6:7]
	s_waitcnt vmcnt(1)
	v_and_b32_e32 v1, v10, v28
	v_and_b32_e32 v10, v11, v29
	v_mul_lo_u32 v10, v10, 24
	v_mul_hi_u32 v11, v1, 24
	v_mul_lo_u32 v1, v1, 24
	v_add_u32_e32 v11, v11, v10
	s_waitcnt vmcnt(0)
	v_add_co_u32_e32 v10, vcc, v26, v1
	v_addc_co_u32_e32 v11, vcc, v27, v11, vcc
	global_load_dwordx2 v[26:27], v[10:11], off glc
	s_waitcnt vmcnt(0)
	global_atomic_cmpswap_x2 v[10:11], v33, v[26:29], s[6:7] offset:24 glc
	s_waitcnt vmcnt(0)
	buffer_invl2
	buffer_wbinvl1_vol
	v_cmp_ne_u64_e32 vcc, v[10:11], v[28:29]
	s_and_saveexec_b64 s[18:19], vcc
	s_cbranch_execz .LBB2_88
; %bb.85:                               ;   in Loop: Header=BB2_28 Depth=1
	s_mov_b64 s[20:21], 0
.LBB2_86:                               ;   Parent Loop BB2_28 Depth=1
                                        ; =>  This Inner Loop Header: Depth=2
	s_sleep 1
	global_load_dwordx2 v[26:27], v33, s[6:7] offset:40
	global_load_dwordx2 v[34:35], v33, s[6:7]
	v_pk_mov_b32 v[28:29], v[10:11], v[10:11] op_sel:[0,1]
	s_waitcnt vmcnt(1)
	v_and_b32_e32 v10, v26, v28
	s_waitcnt vmcnt(0)
	v_mad_u64_u32 v[10:11], s[22:23], v10, 24, v[34:35]
	v_and_b32_e32 v1, v27, v29
	v_mov_b32_e32 v26, v11
	v_mad_u64_u32 v[26:27], s[22:23], v1, 24, v[26:27]
	v_mov_b32_e32 v11, v26
	global_load_dwordx2 v[26:27], v[10:11], off glc
	s_waitcnt vmcnt(0)
	global_atomic_cmpswap_x2 v[10:11], v33, v[26:29], s[6:7] offset:24 glc
	s_waitcnt vmcnt(0)
	buffer_invl2
	buffer_wbinvl1_vol
	v_cmp_eq_u64_e32 vcc, v[10:11], v[28:29]
	s_or_b64 s[20:21], vcc, s[20:21]
	s_andn2_b64 exec, exec, s[20:21]
	s_cbranch_execnz .LBB2_86
; %bb.87:                               ;   in Loop: Header=BB2_28 Depth=1
	s_or_b64 exec, exec, s[20:21]
.LBB2_88:                               ;   in Loop: Header=BB2_28 Depth=1
	s_or_b64 exec, exec, s[18:19]
.LBB2_89:                               ;   in Loop: Header=BB2_28 Depth=1
	s_or_b64 exec, exec, s[16:17]
	global_load_dwordx2 v[34:35], v33, s[6:7] offset:40
	global_load_dwordx4 v[26:29], v33, s[6:7]
	v_readfirstlane_b32 s16, v10
	v_readfirstlane_b32 s17, v11
	s_mov_b64 s[18:19], exec
	s_waitcnt vmcnt(1)
	v_readfirstlane_b32 s20, v34
	v_readfirstlane_b32 s21, v35
	s_and_b64 s[20:21], s[16:17], s[20:21]
	s_mul_i32 s22, s21, 24
	s_mul_hi_u32 s23, s20, 24
	s_mul_i32 s24, s20, 24
	s_add_i32 s22, s23, s22
	v_mov_b32_e32 v1, s22
	s_waitcnt vmcnt(0)
	v_add_co_u32_e32 v34, vcc, s24, v26
	v_addc_co_u32_e32 v35, vcc, v27, v1, vcc
	s_and_saveexec_b64 s[22:23], s[4:5]
	s_cbranch_execz .LBB2_91
; %bb.90:                               ;   in Loop: Header=BB2_28 Depth=1
	v_pk_mov_b32 v[10:11], s[18:19], s[18:19] op_sel:[0,1]
	global_store_dwordx4 v[34:35], v[10:13], off offset:8
.LBB2_91:                               ;   in Loop: Header=BB2_28 Depth=1
	s_or_b64 exec, exec, s[22:23]
	s_lshl_b64 s[18:19], s[20:21], 12
	v_mov_b32_e32 v1, s19
	v_add_co_u32_e32 v10, vcc, s18, v28
	v_addc_co_u32_e32 v1, vcc, v29, v1, vcc
	v_or_b32_e32 v28, v4, v30
	v_cmp_gt_u64_e64 vcc, s[12:13], 56
	s_lshl_b32 s18, s14, 2
	v_cndmask_b32_e32 v4, v28, v4, vcc
	s_add_i32 s18, s18, 28
	v_or_b32_e32 v11, 0, v5
	s_and_b32 s18, s18, 0x1e0
	v_and_b32_e32 v4, 0xffffff1f, v4
	v_cndmask_b32_e32 v5, v11, v5, vcc
	v_or_b32_e32 v4, s18, v4
	v_readfirstlane_b32 s18, v10
	v_readfirstlane_b32 s19, v1
	s_nop 4
	global_store_dwordx4 v38, v[4:7], s[18:19]
	global_store_dwordx4 v38, v[14:17], s[18:19] offset:16
	global_store_dwordx4 v38, v[18:21], s[18:19] offset:32
	;; [unrolled: 1-line block ×3, first 2 shown]
	s_and_saveexec_b64 s[18:19], s[4:5]
	s_cbranch_execz .LBB2_99
; %bb.92:                               ;   in Loop: Header=BB2_28 Depth=1
	global_load_dwordx2 v[18:19], v33, s[6:7] offset:32 glc
	global_load_dwordx2 v[4:5], v33, s[6:7] offset:40
	v_mov_b32_e32 v16, s16
	v_mov_b32_e32 v17, s17
	s_waitcnt vmcnt(0)
	v_readfirstlane_b32 s20, v4
	v_readfirstlane_b32 s21, v5
	s_and_b64 s[20:21], s[20:21], s[16:17]
	s_mul_i32 s21, s21, 24
	s_mul_hi_u32 s22, s20, 24
	s_mul_i32 s20, s20, 24
	s_add_i32 s21, s22, s21
	v_mov_b32_e32 v4, s21
	v_add_co_u32_e32 v14, vcc, s20, v26
	v_addc_co_u32_e32 v15, vcc, v27, v4, vcc
	global_store_dwordx2 v[14:15], v[18:19], off
	buffer_wbl2
	s_waitcnt vmcnt(0)
	global_atomic_cmpswap_x2 v[6:7], v33, v[16:19], s[6:7] offset:32 glc
	s_waitcnt vmcnt(0)
	v_cmp_ne_u64_e32 vcc, v[6:7], v[18:19]
	s_and_saveexec_b64 s[20:21], vcc
	s_cbranch_execz .LBB2_95
; %bb.93:                               ;   in Loop: Header=BB2_28 Depth=1
	s_mov_b64 s[22:23], 0
.LBB2_94:                               ;   Parent Loop BB2_28 Depth=1
                                        ; =>  This Inner Loop Header: Depth=2
	s_sleep 1
	global_store_dwordx2 v[14:15], v[6:7], off
	v_mov_b32_e32 v4, s16
	v_mov_b32_e32 v5, s17
	buffer_wbl2
	s_waitcnt vmcnt(0)
	global_atomic_cmpswap_x2 v[4:5], v33, v[4:7], s[6:7] offset:32 glc
	s_waitcnt vmcnt(0)
	v_cmp_eq_u64_e32 vcc, v[4:5], v[6:7]
	s_or_b64 s[22:23], vcc, s[22:23]
	v_pk_mov_b32 v[6:7], v[4:5], v[4:5] op_sel:[0,1]
	s_andn2_b64 exec, exec, s[22:23]
	s_cbranch_execnz .LBB2_94
.LBB2_95:                               ;   in Loop: Header=BB2_28 Depth=1
	s_or_b64 exec, exec, s[20:21]
	global_load_dwordx2 v[4:5], v33, s[6:7] offset:16
	s_mov_b64 s[22:23], exec
	v_mbcnt_lo_u32_b32 v6, s22, 0
	v_mbcnt_hi_u32_b32 v6, s23, v6
	v_cmp_eq_u32_e32 vcc, 0, v6
	s_and_saveexec_b64 s[20:21], vcc
	s_cbranch_execz .LBB2_97
; %bb.96:                               ;   in Loop: Header=BB2_28 Depth=1
	s_bcnt1_i32_b64 s22, s[22:23]
	v_mov_b32_e32 v32, s22
	buffer_wbl2
	s_waitcnt vmcnt(0)
	global_atomic_add_x2 v[4:5], v[32:33], off offset:8
.LBB2_97:                               ;   in Loop: Header=BB2_28 Depth=1
	s_or_b64 exec, exec, s[20:21]
	s_waitcnt vmcnt(0)
	global_load_dwordx2 v[6:7], v[4:5], off offset:16
	s_waitcnt vmcnt(0)
	v_cmp_eq_u64_e32 vcc, 0, v[6:7]
	s_cbranch_vccnz .LBB2_99
; %bb.98:                               ;   in Loop: Header=BB2_28 Depth=1
	global_load_dword v32, v[4:5], off offset:24
	s_waitcnt vmcnt(0)
	v_and_b32_e32 v4, 0xffffff, v32
	v_readfirstlane_b32 m0, v4
	buffer_wbl2
	global_store_dwordx2 v[6:7], v[32:33], off
	s_sendmsg sendmsg(MSG_INTERRUPT)
.LBB2_99:                               ;   in Loop: Header=BB2_28 Depth=1
	s_or_b64 exec, exec, s[18:19]
	v_add_co_u32_e32 v4, vcc, v10, v38
	v_addc_co_u32_e32 v5, vcc, 0, v1, vcc
	s_branch .LBB2_103
.LBB2_100:                              ;   in Loop: Header=BB2_103 Depth=2
	s_or_b64 exec, exec, s[18:19]
	v_readfirstlane_b32 s18, v1
	s_cmp_eq_u32 s18, 0
	s_cbranch_scc1 .LBB2_102
; %bb.101:                              ;   in Loop: Header=BB2_103 Depth=2
	s_sleep 1
	s_cbranch_execnz .LBB2_103
	s_branch .LBB2_105
.LBB2_102:                              ;   in Loop: Header=BB2_28 Depth=1
	s_branch .LBB2_105
.LBB2_103:                              ;   Parent Loop BB2_28 Depth=1
                                        ; =>  This Inner Loop Header: Depth=2
	v_mov_b32_e32 v1, 1
	s_and_saveexec_b64 s[18:19], s[4:5]
	s_cbranch_execz .LBB2_100
; %bb.104:                              ;   in Loop: Header=BB2_103 Depth=2
	global_load_dword v1, v[34:35], off offset:20 glc
	s_waitcnt vmcnt(0)
	buffer_invl2
	buffer_wbinvl1_vol
	v_and_b32_e32 v1, 1, v1
	s_branch .LBB2_100
.LBB2_105:                              ;   in Loop: Header=BB2_28 Depth=1
	global_load_dwordx4 v[4:7], v[4:5], off
	s_and_saveexec_b64 s[18:19], s[4:5]
	s_cbranch_execz .LBB2_27
; %bb.106:                              ;   in Loop: Header=BB2_28 Depth=1
	global_load_dwordx2 v[6:7], v33, s[6:7] offset:40
	global_load_dwordx2 v[10:11], v33, s[6:7] offset:24 glc
	global_load_dwordx2 v[18:19], v33, s[6:7]
	v_mov_b32_e32 v1, s17
	s_waitcnt vmcnt(2)
	v_add_co_u32_e32 v17, vcc, 1, v6
	v_addc_co_u32_e32 v20, vcc, 0, v7, vcc
	v_add_co_u32_e32 v14, vcc, s16, v17
	v_addc_co_u32_e32 v15, vcc, v20, v1, vcc
	v_cmp_eq_u64_e32 vcc, 0, v[14:15]
	v_cndmask_b32_e32 v15, v15, v20, vcc
	v_cndmask_b32_e32 v14, v14, v17, vcc
	v_and_b32_e32 v1, v15, v7
	v_and_b32_e32 v6, v14, v6
	v_mul_lo_u32 v1, v1, 24
	v_mul_hi_u32 v7, v6, 24
	v_mul_lo_u32 v6, v6, 24
	v_add_u32_e32 v1, v7, v1
	s_waitcnt vmcnt(0)
	v_add_co_u32_e32 v6, vcc, v18, v6
	v_addc_co_u32_e32 v7, vcc, v19, v1, vcc
	v_mov_b32_e32 v16, v10
	global_store_dwordx2 v[6:7], v[10:11], off
	v_mov_b32_e32 v17, v11
	buffer_wbl2
	s_waitcnt vmcnt(0)
	global_atomic_cmpswap_x2 v[16:17], v33, v[14:17], s[6:7] offset:24 glc
	s_waitcnt vmcnt(0)
	v_cmp_ne_u64_e32 vcc, v[16:17], v[10:11]
	s_and_b64 exec, exec, vcc
	s_cbranch_execz .LBB2_27
; %bb.107:                              ;   in Loop: Header=BB2_28 Depth=1
	s_mov_b64 s[4:5], 0
.LBB2_108:                              ;   Parent Loop BB2_28 Depth=1
                                        ; =>  This Inner Loop Header: Depth=2
	s_sleep 1
	global_store_dwordx2 v[6:7], v[16:17], off
	buffer_wbl2
	s_waitcnt vmcnt(0)
	global_atomic_cmpswap_x2 v[10:11], v33, v[14:17], s[6:7] offset:24 glc
	s_waitcnt vmcnt(0)
	v_cmp_eq_u64_e32 vcc, v[10:11], v[16:17]
	s_or_b64 s[4:5], vcc, s[4:5]
	v_pk_mov_b32 v[16:17], v[10:11], v[10:11] op_sel:[0,1]
	s_andn2_b64 exec, exec, s[4:5]
	s_cbranch_execnz .LBB2_108
	s_branch .LBB2_27
.LBB2_109:
                                        ; implicit-def: $vgpr4_vgpr5
	s_cbranch_execnz .LBB2_111
	s_branch .LBB2_137
.LBB2_110:
	s_branch .LBB2_137
.LBB2_111:
	v_readfirstlane_b32 s4, v39
	v_cmp_eq_u32_e64 s[4:5], s4, v39
	v_pk_mov_b32 v[12:13], 0, 0
	s_and_saveexec_b64 s[10:11], s[4:5]
	s_cbranch_execz .LBB2_117
; %bb.112:
	v_mov_b32_e32 v1, 0
	global_load_dwordx2 v[6:7], v1, s[6:7] offset:24 glc
	s_waitcnt vmcnt(0)
	buffer_invl2
	buffer_wbinvl1_vol
	global_load_dwordx2 v[4:5], v1, s[6:7] offset:40
	global_load_dwordx2 v[10:11], v1, s[6:7]
	s_waitcnt vmcnt(1)
	v_and_b32_e32 v4, v4, v6
	v_and_b32_e32 v5, v5, v7
	v_mul_lo_u32 v5, v5, 24
	v_mul_hi_u32 v12, v4, 24
	v_mul_lo_u32 v4, v4, 24
	v_add_u32_e32 v5, v12, v5
	s_waitcnt vmcnt(0)
	v_add_co_u32_e32 v4, vcc, v10, v4
	v_addc_co_u32_e32 v5, vcc, v11, v5, vcc
	global_load_dwordx2 v[4:5], v[4:5], off glc
	s_waitcnt vmcnt(0)
	global_atomic_cmpswap_x2 v[12:13], v1, v[4:7], s[6:7] offset:24 glc
	s_waitcnt vmcnt(0)
	buffer_invl2
	buffer_wbinvl1_vol
	v_cmp_ne_u64_e32 vcc, v[12:13], v[6:7]
	s_and_saveexec_b64 s[12:13], vcc
	s_cbranch_execz .LBB2_116
; %bb.113:
	s_mov_b64 s[14:15], 0
.LBB2_114:                              ; =>This Inner Loop Header: Depth=1
	s_sleep 1
	global_load_dwordx2 v[4:5], v1, s[6:7] offset:40
	global_load_dwordx2 v[10:11], v1, s[6:7]
	v_pk_mov_b32 v[6:7], v[12:13], v[12:13] op_sel:[0,1]
	s_waitcnt vmcnt(1)
	v_and_b32_e32 v4, v4, v6
	v_and_b32_e32 v12, v5, v7
	s_waitcnt vmcnt(0)
	v_mad_u64_u32 v[4:5], s[16:17], v4, 24, v[10:11]
	v_mov_b32_e32 v10, v5
	v_mad_u64_u32 v[10:11], s[16:17], v12, 24, v[10:11]
	v_mov_b32_e32 v5, v10
	global_load_dwordx2 v[4:5], v[4:5], off glc
	s_waitcnt vmcnt(0)
	global_atomic_cmpswap_x2 v[12:13], v1, v[4:7], s[6:7] offset:24 glc
	s_waitcnt vmcnt(0)
	buffer_invl2
	buffer_wbinvl1_vol
	v_cmp_eq_u64_e32 vcc, v[12:13], v[6:7]
	s_or_b64 s[14:15], vcc, s[14:15]
	s_andn2_b64 exec, exec, s[14:15]
	s_cbranch_execnz .LBB2_114
; %bb.115:
	s_or_b64 exec, exec, s[14:15]
.LBB2_116:
	s_or_b64 exec, exec, s[12:13]
.LBB2_117:
	s_or_b64 exec, exec, s[10:11]
	v_mov_b32_e32 v10, 0
	global_load_dwordx2 v[14:15], v10, s[6:7] offset:40
	global_load_dwordx4 v[4:7], v10, s[6:7]
	v_readfirstlane_b32 s10, v12
	v_readfirstlane_b32 s11, v13
	s_mov_b64 s[12:13], exec
	s_waitcnt vmcnt(1)
	v_readfirstlane_b32 s14, v14
	v_readfirstlane_b32 s15, v15
	s_and_b64 s[14:15], s[10:11], s[14:15]
	s_mul_i32 s16, s15, 24
	s_mul_hi_u32 s17, s14, 24
	s_mul_i32 s18, s14, 24
	s_add_i32 s16, s17, s16
	v_mov_b32_e32 v1, s16
	s_waitcnt vmcnt(0)
	v_add_co_u32_e32 v12, vcc, s18, v4
	v_addc_co_u32_e32 v13, vcc, v5, v1, vcc
	s_and_saveexec_b64 s[16:17], s[4:5]
	s_cbranch_execz .LBB2_119
; %bb.118:
	v_pk_mov_b32 v[14:15], s[12:13], s[12:13] op_sel:[0,1]
	v_mov_b32_e32 v16, 2
	v_mov_b32_e32 v17, 1
	global_store_dwordx4 v[12:13], v[14:17], off offset:8
.LBB2_119:
	s_or_b64 exec, exec, s[16:17]
	s_lshl_b64 s[12:13], s[14:15], 12
	v_mov_b32_e32 v1, s13
	v_add_co_u32_e32 v6, vcc, s12, v6
	s_movk_i32 s12, 0xff1f
	v_addc_co_u32_e32 v1, vcc, v7, v1, vcc
	v_and_or_b32 v8, v8, s12, 32
	s_mov_b32 s12, 0
	v_mov_b32_e32 v11, v10
	v_readfirstlane_b32 s16, v6
	v_readfirstlane_b32 s17, v1
	s_mov_b32 s13, s12
	v_add_co_u32_e32 v14, vcc, v6, v38
	s_mov_b32 s14, s12
	s_mov_b32 s15, s12
	s_nop 0
	global_store_dwordx4 v38, v[8:11], s[16:17]
	v_pk_mov_b32 v[6:7], s[12:13], s[12:13] op_sel:[0,1]
	v_addc_co_u32_e32 v15, vcc, 0, v1, vcc
	v_pk_mov_b32 v[8:9], s[14:15], s[14:15] op_sel:[0,1]
	global_store_dwordx4 v38, v[6:9], s[16:17] offset:16
	global_store_dwordx4 v38, v[6:9], s[16:17] offset:32
	;; [unrolled: 1-line block ×3, first 2 shown]
	s_and_saveexec_b64 s[12:13], s[4:5]
	s_cbranch_execz .LBB2_127
; %bb.120:
	v_mov_b32_e32 v1, 0
	global_load_dwordx2 v[18:19], v1, s[6:7] offset:32 glc
	global_load_dwordx2 v[6:7], v1, s[6:7] offset:40
	v_mov_b32_e32 v16, s10
	v_mov_b32_e32 v17, s11
	s_waitcnt vmcnt(0)
	v_readfirstlane_b32 s14, v6
	v_readfirstlane_b32 s15, v7
	s_and_b64 s[14:15], s[14:15], s[10:11]
	s_mul_i32 s15, s15, 24
	s_mul_hi_u32 s16, s14, 24
	s_mul_i32 s14, s14, 24
	s_add_i32 s15, s16, s15
	v_mov_b32_e32 v6, s15
	v_add_co_u32_e32 v8, vcc, s14, v4
	v_addc_co_u32_e32 v9, vcc, v5, v6, vcc
	global_store_dwordx2 v[8:9], v[18:19], off
	buffer_wbl2
	s_waitcnt vmcnt(0)
	global_atomic_cmpswap_x2 v[6:7], v1, v[16:19], s[6:7] offset:32 glc
	s_waitcnt vmcnt(0)
	v_cmp_ne_u64_e32 vcc, v[6:7], v[18:19]
	s_and_saveexec_b64 s[14:15], vcc
	s_cbranch_execz .LBB2_123
; %bb.121:
	s_mov_b64 s[16:17], 0
.LBB2_122:                              ; =>This Inner Loop Header: Depth=1
	s_sleep 1
	global_store_dwordx2 v[8:9], v[6:7], off
	v_mov_b32_e32 v4, s10
	v_mov_b32_e32 v5, s11
	buffer_wbl2
	s_waitcnt vmcnt(0)
	global_atomic_cmpswap_x2 v[4:5], v1, v[4:7], s[6:7] offset:32 glc
	s_waitcnt vmcnt(0)
	v_cmp_eq_u64_e32 vcc, v[4:5], v[6:7]
	s_or_b64 s[16:17], vcc, s[16:17]
	v_pk_mov_b32 v[6:7], v[4:5], v[4:5] op_sel:[0,1]
	s_andn2_b64 exec, exec, s[16:17]
	s_cbranch_execnz .LBB2_122
.LBB2_123:
	s_or_b64 exec, exec, s[14:15]
	v_mov_b32_e32 v7, 0
	global_load_dwordx2 v[4:5], v7, s[6:7] offset:16
	s_mov_b64 s[14:15], exec
	v_mbcnt_lo_u32_b32 v1, s14, 0
	v_mbcnt_hi_u32_b32 v1, s15, v1
	v_cmp_eq_u32_e32 vcc, 0, v1
	s_and_saveexec_b64 s[16:17], vcc
	s_cbranch_execz .LBB2_125
; %bb.124:
	s_bcnt1_i32_b64 s14, s[14:15]
	v_mov_b32_e32 v6, s14
	buffer_wbl2
	s_waitcnt vmcnt(0)
	global_atomic_add_x2 v[4:5], v[6:7], off offset:8
.LBB2_125:
	s_or_b64 exec, exec, s[16:17]
	s_waitcnt vmcnt(0)
	global_load_dwordx2 v[6:7], v[4:5], off offset:16
	s_waitcnt vmcnt(0)
	v_cmp_eq_u64_e32 vcc, 0, v[6:7]
	s_cbranch_vccnz .LBB2_127
; %bb.126:
	global_load_dword v4, v[4:5], off offset:24
	v_mov_b32_e32 v5, 0
	s_waitcnt vmcnt(0)
	v_and_b32_e32 v1, 0xffffff, v4
	v_readfirstlane_b32 m0, v1
	buffer_wbl2
	global_store_dwordx2 v[6:7], v[4:5], off
	s_sendmsg sendmsg(MSG_INTERRUPT)
.LBB2_127:
	s_or_b64 exec, exec, s[12:13]
	s_branch .LBB2_131
.LBB2_128:                              ;   in Loop: Header=BB2_131 Depth=1
	s_or_b64 exec, exec, s[12:13]
	v_readfirstlane_b32 s12, v1
	s_cmp_eq_u32 s12, 0
	s_cbranch_scc1 .LBB2_130
; %bb.129:                              ;   in Loop: Header=BB2_131 Depth=1
	s_sleep 1
	s_cbranch_execnz .LBB2_131
	s_branch .LBB2_133
.LBB2_130:
	s_branch .LBB2_133
.LBB2_131:                              ; =>This Inner Loop Header: Depth=1
	v_mov_b32_e32 v1, 1
	s_and_saveexec_b64 s[12:13], s[4:5]
	s_cbranch_execz .LBB2_128
; %bb.132:                              ;   in Loop: Header=BB2_131 Depth=1
	global_load_dword v1, v[12:13], off offset:20 glc
	s_waitcnt vmcnt(0)
	buffer_invl2
	buffer_wbinvl1_vol
	v_and_b32_e32 v1, 1, v1
	s_branch .LBB2_128
.LBB2_133:
	global_load_dwordx2 v[4:5], v[14:15], off
	s_and_saveexec_b64 s[12:13], s[4:5]
	s_cbranch_execz .LBB2_136
; %bb.134:
	v_mov_b32_e32 v1, 0
	global_load_dwordx2 v[10:11], v1, s[6:7] offset:40
	global_load_dwordx2 v[12:13], v1, s[6:7] offset:24 glc
	global_load_dwordx2 v[14:15], v1, s[6:7]
	v_mov_b32_e32 v7, s11
	s_mov_b64 s[4:5], 0
	s_waitcnt vmcnt(2)
	v_add_co_u32_e32 v9, vcc, 1, v10
	v_addc_co_u32_e32 v16, vcc, 0, v11, vcc
	v_add_co_u32_e32 v6, vcc, s10, v9
	v_addc_co_u32_e32 v7, vcc, v16, v7, vcc
	v_cmp_eq_u64_e32 vcc, 0, v[6:7]
	v_cndmask_b32_e32 v7, v7, v16, vcc
	v_cndmask_b32_e32 v6, v6, v9, vcc
	v_and_b32_e32 v9, v7, v11
	v_and_b32_e32 v10, v6, v10
	v_mul_lo_u32 v9, v9, 24
	v_mul_hi_u32 v11, v10, 24
	v_mul_lo_u32 v10, v10, 24
	v_add_u32_e32 v9, v11, v9
	s_waitcnt vmcnt(0)
	v_add_co_u32_e32 v10, vcc, v14, v10
	v_addc_co_u32_e32 v11, vcc, v15, v9, vcc
	v_mov_b32_e32 v8, v12
	global_store_dwordx2 v[10:11], v[12:13], off
	v_mov_b32_e32 v9, v13
	buffer_wbl2
	s_waitcnt vmcnt(0)
	global_atomic_cmpswap_x2 v[8:9], v1, v[6:9], s[6:7] offset:24 glc
	s_waitcnt vmcnt(0)
	v_cmp_ne_u64_e32 vcc, v[8:9], v[12:13]
	s_and_b64 exec, exec, vcc
	s_cbranch_execz .LBB2_136
.LBB2_135:                              ; =>This Inner Loop Header: Depth=1
	s_sleep 1
	global_store_dwordx2 v[10:11], v[8:9], off
	buffer_wbl2
	s_waitcnt vmcnt(0)
	global_atomic_cmpswap_x2 v[12:13], v1, v[6:9], s[6:7] offset:24 glc
	s_waitcnt vmcnt(0)
	v_cmp_eq_u64_e32 vcc, v[12:13], v[8:9]
	s_or_b64 s[4:5], vcc, s[4:5]
	v_pk_mov_b32 v[8:9], v[12:13], v[12:13] op_sel:[0,1]
	s_andn2_b64 exec, exec, s[4:5]
	s_cbranch_execnz .LBB2_135
.LBB2_136:
	s_or_b64 exec, exec, s[12:13]
.LBB2_137:
	s_getpc_b64 s[10:11]
	s_add_u32 s10, s10, .str@rel32@lo+4
	s_addc_u32 s11, s11, .str@rel32@hi+12
	s_cmp_lg_u64 s[10:11], 0
	s_cselect_b64 s[4:5], -1, 0
	s_cmp_eq_u64 s[10:11], 0
	s_mov_b64 s[10:11], 0
	s_cbranch_scc1 .LBB2_141
; %bb.138:
	v_mov_b32_e32 v1, 0
	s_getpc_b64 s[10:11]
	s_add_u32 s10, s10, .str@rel32@lo+3
	s_addc_u32 s11, s11, .str@rel32@hi+11
.LBB2_139:                              ; =>This Inner Loop Header: Depth=1
	global_load_ubyte v6, v1, s[10:11] offset:1
	s_add_u32 s12, s10, 1
	s_addc_u32 s13, s11, 0
	s_mov_b64 s[10:11], s[12:13]
	s_waitcnt vmcnt(0)
	v_cmp_ne_u16_e32 vcc, 0, v6
	s_cbranch_vccnz .LBB2_139
; %bb.140:
	s_getpc_b64 s[10:11]
	s_add_u32 s10, s10, .str@rel32@lo+4
	s_addc_u32 s11, s11, .str@rel32@hi+12
	s_sub_u32 s10, s12, s10
	s_subb_u32 s11, s13, s11
	s_add_u32 s10, s10, 1
	s_addc_u32 s11, s11, 0
.LBB2_141:
	s_and_b64 vcc, exec, s[4:5]
	s_cbranch_vccz .LBB2_225
; %bb.142:
	s_waitcnt vmcnt(0)
	v_and_b32_e32 v32, 2, v4
	v_mov_b32_e32 v35, 0
	v_and_b32_e32 v6, -3, v4
	v_mov_b32_e32 v7, v5
	v_mov_b32_e32 v10, 2
	;; [unrolled: 1-line block ×3, first 2 shown]
	s_getpc_b64 s[12:13]
	s_add_u32 s12, s12, .str@rel32@lo+4
	s_addc_u32 s13, s13, .str@rel32@hi+12
	s_branch .LBB2_144
.LBB2_143:                              ;   in Loop: Header=BB2_144 Depth=1
	s_or_b64 exec, exec, s[18:19]
	s_sub_u32 s10, s10, s14
	s_subb_u32 s11, s11, s15
	s_add_u32 s12, s12, s14
	s_addc_u32 s13, s13, s15
	s_cmp_lg_u64 s[10:11], 0
	s_cbranch_scc0 .LBB2_226
.LBB2_144:                              ; =>This Loop Header: Depth=1
                                        ;     Child Loop BB2_147 Depth 2
                                        ;     Child Loop BB2_154 Depth 2
	;; [unrolled: 1-line block ×11, first 2 shown]
	v_cmp_lt_u64_e64 s[4:5], s[10:11], 56
	s_and_b64 s[4:5], s[4:5], exec
	v_cmp_gt_u64_e64 s[4:5], s[10:11], 7
	s_cselect_b32 s15, s11, 0
	s_cselect_b32 s14, s10, 56
	s_and_b64 vcc, exec, s[4:5]
	s_cbranch_vccnz .LBB2_149
; %bb.145:                              ;   in Loop: Header=BB2_144 Depth=1
	s_mov_b64 s[4:5], 0
	s_cmp_eq_u64 s[10:11], 0
	v_pk_mov_b32 v[14:15], 0, 0
	s_cbranch_scc1 .LBB2_148
; %bb.146:                              ;   in Loop: Header=BB2_144 Depth=1
	s_lshl_b64 s[16:17], s[14:15], 3
	s_mov_b64 s[18:19], 0
	v_pk_mov_b32 v[14:15], 0, 0
	s_mov_b64 s[20:21], s[12:13]
.LBB2_147:                              ;   Parent Loop BB2_144 Depth=1
                                        ; =>  This Inner Loop Header: Depth=2
	global_load_ubyte v1, v35, s[20:21]
	s_waitcnt vmcnt(0)
	v_and_b32_e32 v34, 0xffff, v1
	v_lshlrev_b64 v[8:9], s18, v[34:35]
	s_add_u32 s18, s18, 8
	s_addc_u32 s19, s19, 0
	s_add_u32 s20, s20, 1
	s_addc_u32 s21, s21, 0
	v_or_b32_e32 v14, v8, v14
	s_cmp_lg_u32 s16, s18
	v_or_b32_e32 v15, v9, v15
	s_cbranch_scc1 .LBB2_147
.LBB2_148:                              ;   in Loop: Header=BB2_144 Depth=1
	s_mov_b32 s20, 0
	s_andn2_b64 vcc, exec, s[4:5]
	s_mov_b64 s[4:5], s[12:13]
	s_cbranch_vccz .LBB2_150
	s_branch .LBB2_151
.LBB2_149:                              ;   in Loop: Header=BB2_144 Depth=1
                                        ; implicit-def: $vgpr14_vgpr15
                                        ; implicit-def: $sgpr20
	s_mov_b64 s[4:5], s[12:13]
.LBB2_150:                              ;   in Loop: Header=BB2_144 Depth=1
	global_load_dwordx2 v[14:15], v35, s[12:13]
	s_add_i32 s20, s14, -8
	s_add_u32 s4, s12, 8
	s_addc_u32 s5, s13, 0
.LBB2_151:                              ;   in Loop: Header=BB2_144 Depth=1
	s_cmp_gt_u32 s20, 7
	s_cbranch_scc1 .LBB2_155
; %bb.152:                              ;   in Loop: Header=BB2_144 Depth=1
	s_cmp_eq_u32 s20, 0
	s_cbranch_scc1 .LBB2_156
; %bb.153:                              ;   in Loop: Header=BB2_144 Depth=1
	s_mov_b64 s[16:17], 0
	v_pk_mov_b32 v[16:17], 0, 0
	s_mov_b64 s[18:19], 0
.LBB2_154:                              ;   Parent Loop BB2_144 Depth=1
                                        ; =>  This Inner Loop Header: Depth=2
	s_add_u32 s22, s4, s18
	s_addc_u32 s23, s5, s19
	global_load_ubyte v1, v35, s[22:23]
	s_add_u32 s18, s18, 1
	s_addc_u32 s19, s19, 0
	s_waitcnt vmcnt(0)
	v_and_b32_e32 v34, 0xffff, v1
	v_lshlrev_b64 v[8:9], s16, v[34:35]
	s_add_u32 s16, s16, 8
	s_addc_u32 s17, s17, 0
	v_or_b32_e32 v16, v8, v16
	s_cmp_lg_u32 s20, s18
	v_or_b32_e32 v17, v9, v17
	s_cbranch_scc1 .LBB2_154
	s_branch .LBB2_157
.LBB2_155:                              ;   in Loop: Header=BB2_144 Depth=1
                                        ; implicit-def: $vgpr16_vgpr17
                                        ; implicit-def: $sgpr21
	s_branch .LBB2_158
.LBB2_156:                              ;   in Loop: Header=BB2_144 Depth=1
	v_pk_mov_b32 v[16:17], 0, 0
.LBB2_157:                              ;   in Loop: Header=BB2_144 Depth=1
	s_mov_b32 s21, 0
	s_cbranch_execnz .LBB2_159
.LBB2_158:                              ;   in Loop: Header=BB2_144 Depth=1
	global_load_dwordx2 v[16:17], v35, s[4:5]
	s_add_i32 s21, s20, -8
	s_add_u32 s4, s4, 8
	s_addc_u32 s5, s5, 0
.LBB2_159:                              ;   in Loop: Header=BB2_144 Depth=1
	s_cmp_gt_u32 s21, 7
	s_cbranch_scc1 .LBB2_163
; %bb.160:                              ;   in Loop: Header=BB2_144 Depth=1
	s_cmp_eq_u32 s21, 0
	s_cbranch_scc1 .LBB2_164
; %bb.161:                              ;   in Loop: Header=BB2_144 Depth=1
	s_mov_b64 s[16:17], 0
	v_pk_mov_b32 v[18:19], 0, 0
	s_mov_b64 s[18:19], 0
.LBB2_162:                              ;   Parent Loop BB2_144 Depth=1
                                        ; =>  This Inner Loop Header: Depth=2
	s_add_u32 s22, s4, s18
	s_addc_u32 s23, s5, s19
	global_load_ubyte v1, v35, s[22:23]
	s_add_u32 s18, s18, 1
	s_addc_u32 s19, s19, 0
	s_waitcnt vmcnt(0)
	v_and_b32_e32 v34, 0xffff, v1
	v_lshlrev_b64 v[8:9], s16, v[34:35]
	s_add_u32 s16, s16, 8
	s_addc_u32 s17, s17, 0
	v_or_b32_e32 v18, v8, v18
	s_cmp_lg_u32 s21, s18
	v_or_b32_e32 v19, v9, v19
	s_cbranch_scc1 .LBB2_162
	s_branch .LBB2_165
.LBB2_163:                              ;   in Loop: Header=BB2_144 Depth=1
                                        ; implicit-def: $sgpr20
	s_branch .LBB2_166
.LBB2_164:                              ;   in Loop: Header=BB2_144 Depth=1
	v_pk_mov_b32 v[18:19], 0, 0
.LBB2_165:                              ;   in Loop: Header=BB2_144 Depth=1
	s_mov_b32 s20, 0
	s_cbranch_execnz .LBB2_167
.LBB2_166:                              ;   in Loop: Header=BB2_144 Depth=1
	global_load_dwordx2 v[18:19], v35, s[4:5]
	s_add_i32 s20, s21, -8
	s_add_u32 s4, s4, 8
	s_addc_u32 s5, s5, 0
.LBB2_167:                              ;   in Loop: Header=BB2_144 Depth=1
	s_cmp_gt_u32 s20, 7
	s_cbranch_scc1 .LBB2_171
; %bb.168:                              ;   in Loop: Header=BB2_144 Depth=1
	s_cmp_eq_u32 s20, 0
	s_cbranch_scc1 .LBB2_172
; %bb.169:                              ;   in Loop: Header=BB2_144 Depth=1
	s_mov_b64 s[16:17], 0
	v_pk_mov_b32 v[20:21], 0, 0
	s_mov_b64 s[18:19], 0
.LBB2_170:                              ;   Parent Loop BB2_144 Depth=1
                                        ; =>  This Inner Loop Header: Depth=2
	s_add_u32 s22, s4, s18
	s_addc_u32 s23, s5, s19
	global_load_ubyte v1, v35, s[22:23]
	s_add_u32 s18, s18, 1
	s_addc_u32 s19, s19, 0
	s_waitcnt vmcnt(0)
	v_and_b32_e32 v34, 0xffff, v1
	v_lshlrev_b64 v[8:9], s16, v[34:35]
	s_add_u32 s16, s16, 8
	s_addc_u32 s17, s17, 0
	v_or_b32_e32 v20, v8, v20
	s_cmp_lg_u32 s20, s18
	v_or_b32_e32 v21, v9, v21
	s_cbranch_scc1 .LBB2_170
	s_branch .LBB2_173
.LBB2_171:                              ;   in Loop: Header=BB2_144 Depth=1
                                        ; implicit-def: $vgpr20_vgpr21
                                        ; implicit-def: $sgpr21
	s_branch .LBB2_174
.LBB2_172:                              ;   in Loop: Header=BB2_144 Depth=1
	v_pk_mov_b32 v[20:21], 0, 0
.LBB2_173:                              ;   in Loop: Header=BB2_144 Depth=1
	s_mov_b32 s21, 0
	s_cbranch_execnz .LBB2_175
.LBB2_174:                              ;   in Loop: Header=BB2_144 Depth=1
	global_load_dwordx2 v[20:21], v35, s[4:5]
	s_add_i32 s21, s20, -8
	s_add_u32 s4, s4, 8
	s_addc_u32 s5, s5, 0
.LBB2_175:                              ;   in Loop: Header=BB2_144 Depth=1
	s_cmp_gt_u32 s21, 7
	s_cbranch_scc1 .LBB2_179
; %bb.176:                              ;   in Loop: Header=BB2_144 Depth=1
	s_cmp_eq_u32 s21, 0
	s_cbranch_scc1 .LBB2_180
; %bb.177:                              ;   in Loop: Header=BB2_144 Depth=1
	s_mov_b64 s[16:17], 0
	v_pk_mov_b32 v[22:23], 0, 0
	s_mov_b64 s[18:19], 0
.LBB2_178:                              ;   Parent Loop BB2_144 Depth=1
                                        ; =>  This Inner Loop Header: Depth=2
	s_add_u32 s22, s4, s18
	s_addc_u32 s23, s5, s19
	global_load_ubyte v1, v35, s[22:23]
	s_add_u32 s18, s18, 1
	s_addc_u32 s19, s19, 0
	s_waitcnt vmcnt(0)
	v_and_b32_e32 v34, 0xffff, v1
	v_lshlrev_b64 v[8:9], s16, v[34:35]
	s_add_u32 s16, s16, 8
	s_addc_u32 s17, s17, 0
	v_or_b32_e32 v22, v8, v22
	s_cmp_lg_u32 s21, s18
	v_or_b32_e32 v23, v9, v23
	s_cbranch_scc1 .LBB2_178
	s_branch .LBB2_181
.LBB2_179:                              ;   in Loop: Header=BB2_144 Depth=1
                                        ; implicit-def: $sgpr20
	s_branch .LBB2_182
.LBB2_180:                              ;   in Loop: Header=BB2_144 Depth=1
	v_pk_mov_b32 v[22:23], 0, 0
.LBB2_181:                              ;   in Loop: Header=BB2_144 Depth=1
	s_mov_b32 s20, 0
	s_cbranch_execnz .LBB2_183
.LBB2_182:                              ;   in Loop: Header=BB2_144 Depth=1
	global_load_dwordx2 v[22:23], v35, s[4:5]
	s_add_i32 s20, s21, -8
	s_add_u32 s4, s4, 8
	s_addc_u32 s5, s5, 0
.LBB2_183:                              ;   in Loop: Header=BB2_144 Depth=1
	s_cmp_gt_u32 s20, 7
	s_cbranch_scc1 .LBB2_187
; %bb.184:                              ;   in Loop: Header=BB2_144 Depth=1
	s_cmp_eq_u32 s20, 0
	s_cbranch_scc1 .LBB2_188
; %bb.185:                              ;   in Loop: Header=BB2_144 Depth=1
	s_mov_b64 s[16:17], 0
	v_pk_mov_b32 v[24:25], 0, 0
	s_mov_b64 s[18:19], 0
.LBB2_186:                              ;   Parent Loop BB2_144 Depth=1
                                        ; =>  This Inner Loop Header: Depth=2
	s_add_u32 s22, s4, s18
	s_addc_u32 s23, s5, s19
	global_load_ubyte v1, v35, s[22:23]
	s_add_u32 s18, s18, 1
	s_addc_u32 s19, s19, 0
	s_waitcnt vmcnt(0)
	v_and_b32_e32 v34, 0xffff, v1
	v_lshlrev_b64 v[8:9], s16, v[34:35]
	s_add_u32 s16, s16, 8
	s_addc_u32 s17, s17, 0
	v_or_b32_e32 v24, v8, v24
	s_cmp_lg_u32 s20, s18
	v_or_b32_e32 v25, v9, v25
	s_cbranch_scc1 .LBB2_186
	s_branch .LBB2_189
.LBB2_187:                              ;   in Loop: Header=BB2_144 Depth=1
                                        ; implicit-def: $vgpr24_vgpr25
                                        ; implicit-def: $sgpr21
	s_branch .LBB2_190
.LBB2_188:                              ;   in Loop: Header=BB2_144 Depth=1
	v_pk_mov_b32 v[24:25], 0, 0
.LBB2_189:                              ;   in Loop: Header=BB2_144 Depth=1
	s_mov_b32 s21, 0
	s_cbranch_execnz .LBB2_191
.LBB2_190:                              ;   in Loop: Header=BB2_144 Depth=1
	global_load_dwordx2 v[24:25], v35, s[4:5]
	s_add_i32 s21, s20, -8
	s_add_u32 s4, s4, 8
	s_addc_u32 s5, s5, 0
.LBB2_191:                              ;   in Loop: Header=BB2_144 Depth=1
	s_cmp_gt_u32 s21, 7
	s_cbranch_scc1 .LBB2_195
; %bb.192:                              ;   in Loop: Header=BB2_144 Depth=1
	s_cmp_eq_u32 s21, 0
	s_cbranch_scc1 .LBB2_196
; %bb.193:                              ;   in Loop: Header=BB2_144 Depth=1
	s_mov_b64 s[16:17], 0
	v_pk_mov_b32 v[26:27], 0, 0
	s_mov_b64 s[18:19], s[4:5]
.LBB2_194:                              ;   Parent Loop BB2_144 Depth=1
                                        ; =>  This Inner Loop Header: Depth=2
	global_load_ubyte v1, v35, s[18:19]
	s_add_i32 s21, s21, -1
	s_waitcnt vmcnt(0)
	v_and_b32_e32 v34, 0xffff, v1
	v_lshlrev_b64 v[8:9], s16, v[34:35]
	s_add_u32 s16, s16, 8
	s_addc_u32 s17, s17, 0
	s_add_u32 s18, s18, 1
	s_addc_u32 s19, s19, 0
	v_or_b32_e32 v26, v8, v26
	s_cmp_lg_u32 s21, 0
	v_or_b32_e32 v27, v9, v27
	s_cbranch_scc1 .LBB2_194
	s_branch .LBB2_197
.LBB2_195:                              ;   in Loop: Header=BB2_144 Depth=1
	s_branch .LBB2_198
.LBB2_196:                              ;   in Loop: Header=BB2_144 Depth=1
	v_pk_mov_b32 v[26:27], 0, 0
.LBB2_197:                              ;   in Loop: Header=BB2_144 Depth=1
	s_cbranch_execnz .LBB2_199
.LBB2_198:                              ;   in Loop: Header=BB2_144 Depth=1
	global_load_dwordx2 v[26:27], v35, s[4:5]
.LBB2_199:                              ;   in Loop: Header=BB2_144 Depth=1
	v_readfirstlane_b32 s4, v39
	v_cmp_eq_u32_e64 s[4:5], s4, v39
	s_waitcnt vmcnt(0)
	v_pk_mov_b32 v[8:9], 0, 0
	s_and_saveexec_b64 s[16:17], s[4:5]
	s_cbranch_execz .LBB2_205
; %bb.200:                              ;   in Loop: Header=BB2_144 Depth=1
	global_load_dwordx2 v[30:31], v35, s[6:7] offset:24 glc
	s_waitcnt vmcnt(0)
	buffer_invl2
	buffer_wbinvl1_vol
	global_load_dwordx2 v[8:9], v35, s[6:7] offset:40
	global_load_dwordx2 v[12:13], v35, s[6:7]
	s_waitcnt vmcnt(1)
	v_and_b32_e32 v1, v8, v30
	v_and_b32_e32 v8, v9, v31
	v_mul_lo_u32 v8, v8, 24
	v_mul_hi_u32 v9, v1, 24
	v_mul_lo_u32 v1, v1, 24
	v_add_u32_e32 v9, v9, v8
	s_waitcnt vmcnt(0)
	v_add_co_u32_e32 v8, vcc, v12, v1
	v_addc_co_u32_e32 v9, vcc, v13, v9, vcc
	global_load_dwordx2 v[28:29], v[8:9], off glc
	s_waitcnt vmcnt(0)
	global_atomic_cmpswap_x2 v[8:9], v35, v[28:31], s[6:7] offset:24 glc
	s_waitcnt vmcnt(0)
	buffer_invl2
	buffer_wbinvl1_vol
	v_cmp_ne_u64_e32 vcc, v[8:9], v[30:31]
	s_and_saveexec_b64 s[18:19], vcc
	s_cbranch_execz .LBB2_204
; %bb.201:                              ;   in Loop: Header=BB2_144 Depth=1
	s_mov_b64 s[20:21], 0
.LBB2_202:                              ;   Parent Loop BB2_144 Depth=1
                                        ; =>  This Inner Loop Header: Depth=2
	s_sleep 1
	global_load_dwordx2 v[12:13], v35, s[6:7] offset:40
	global_load_dwordx2 v[28:29], v35, s[6:7]
	v_pk_mov_b32 v[30:31], v[8:9], v[8:9] op_sel:[0,1]
	s_waitcnt vmcnt(1)
	v_and_b32_e32 v8, v12, v30
	s_waitcnt vmcnt(0)
	v_mad_u64_u32 v[8:9], s[22:23], v8, 24, v[28:29]
	v_and_b32_e32 v1, v13, v31
	v_mov_b32_e32 v12, v9
	v_mad_u64_u32 v[12:13], s[22:23], v1, 24, v[12:13]
	v_mov_b32_e32 v9, v12
	global_load_dwordx2 v[28:29], v[8:9], off glc
	s_waitcnt vmcnt(0)
	global_atomic_cmpswap_x2 v[8:9], v35, v[28:31], s[6:7] offset:24 glc
	s_waitcnt vmcnt(0)
	buffer_invl2
	buffer_wbinvl1_vol
	v_cmp_eq_u64_e32 vcc, v[8:9], v[30:31]
	s_or_b64 s[20:21], vcc, s[20:21]
	s_andn2_b64 exec, exec, s[20:21]
	s_cbranch_execnz .LBB2_202
; %bb.203:                              ;   in Loop: Header=BB2_144 Depth=1
	s_or_b64 exec, exec, s[20:21]
.LBB2_204:                              ;   in Loop: Header=BB2_144 Depth=1
	s_or_b64 exec, exec, s[18:19]
.LBB2_205:                              ;   in Loop: Header=BB2_144 Depth=1
	s_or_b64 exec, exec, s[16:17]
	global_load_dwordx2 v[12:13], v35, s[6:7] offset:40
	global_load_dwordx4 v[28:31], v35, s[6:7]
	v_readfirstlane_b32 s16, v8
	v_readfirstlane_b32 s17, v9
	s_mov_b64 s[18:19], exec
	s_waitcnt vmcnt(1)
	v_readfirstlane_b32 s20, v12
	v_readfirstlane_b32 s21, v13
	s_and_b64 s[20:21], s[16:17], s[20:21]
	s_mul_i32 s22, s21, 24
	s_mul_hi_u32 s23, s20, 24
	s_mul_i32 s24, s20, 24
	s_add_i32 s22, s23, s22
	v_mov_b32_e32 v1, s22
	s_waitcnt vmcnt(0)
	v_add_co_u32_e32 v36, vcc, s24, v28
	v_addc_co_u32_e32 v37, vcc, v29, v1, vcc
	s_and_saveexec_b64 s[22:23], s[4:5]
	s_cbranch_execz .LBB2_207
; %bb.206:                              ;   in Loop: Header=BB2_144 Depth=1
	v_pk_mov_b32 v[8:9], s[18:19], s[18:19] op_sel:[0,1]
	global_store_dwordx4 v[36:37], v[8:11], off offset:8
.LBB2_207:                              ;   in Loop: Header=BB2_144 Depth=1
	s_or_b64 exec, exec, s[22:23]
	s_lshl_b64 s[18:19], s[20:21], 12
	v_mov_b32_e32 v1, s19
	v_add_co_u32_e32 v30, vcc, s18, v30
	v_addc_co_u32_e32 v1, vcc, v31, v1, vcc
	v_or_b32_e32 v9, v6, v32
	v_cmp_gt_u64_e64 vcc, s[10:11], 56
	s_lshl_b32 s18, s14, 2
	v_cndmask_b32_e32 v6, v9, v6, vcc
	s_add_i32 s18, s18, 28
	v_or_b32_e32 v8, 0, v7
	s_and_b32 s18, s18, 0x1e0
	v_and_b32_e32 v6, 0xffffff1f, v6
	v_cndmask_b32_e32 v13, v8, v7, vcc
	v_or_b32_e32 v12, s18, v6
	v_readfirstlane_b32 s18, v30
	v_readfirstlane_b32 s19, v1
	s_nop 4
	global_store_dwordx4 v38, v[12:15], s[18:19]
	global_store_dwordx4 v38, v[16:19], s[18:19] offset:16
	global_store_dwordx4 v38, v[20:23], s[18:19] offset:32
	;; [unrolled: 1-line block ×3, first 2 shown]
	s_and_saveexec_b64 s[18:19], s[4:5]
	s_cbranch_execz .LBB2_215
; %bb.208:                              ;   in Loop: Header=BB2_144 Depth=1
	global_load_dwordx2 v[16:17], v35, s[6:7] offset:32 glc
	global_load_dwordx2 v[6:7], v35, s[6:7] offset:40
	v_mov_b32_e32 v14, s16
	v_mov_b32_e32 v15, s17
	s_waitcnt vmcnt(0)
	v_readfirstlane_b32 s20, v6
	v_readfirstlane_b32 s21, v7
	s_and_b64 s[20:21], s[20:21], s[16:17]
	s_mul_i32 s21, s21, 24
	s_mul_hi_u32 s22, s20, 24
	s_mul_i32 s20, s20, 24
	s_add_i32 s21, s22, s21
	v_mov_b32_e32 v6, s21
	v_add_co_u32_e32 v12, vcc, s20, v28
	v_addc_co_u32_e32 v13, vcc, v29, v6, vcc
	global_store_dwordx2 v[12:13], v[16:17], off
	buffer_wbl2
	s_waitcnt vmcnt(0)
	global_atomic_cmpswap_x2 v[8:9], v35, v[14:17], s[6:7] offset:32 glc
	s_waitcnt vmcnt(0)
	v_cmp_ne_u64_e32 vcc, v[8:9], v[16:17]
	s_and_saveexec_b64 s[20:21], vcc
	s_cbranch_execz .LBB2_211
; %bb.209:                              ;   in Loop: Header=BB2_144 Depth=1
	s_mov_b64 s[22:23], 0
.LBB2_210:                              ;   Parent Loop BB2_144 Depth=1
                                        ; =>  This Inner Loop Header: Depth=2
	s_sleep 1
	global_store_dwordx2 v[12:13], v[8:9], off
	v_mov_b32_e32 v6, s16
	v_mov_b32_e32 v7, s17
	buffer_wbl2
	s_waitcnt vmcnt(0)
	global_atomic_cmpswap_x2 v[6:7], v35, v[6:9], s[6:7] offset:32 glc
	s_waitcnt vmcnt(0)
	v_cmp_eq_u64_e32 vcc, v[6:7], v[8:9]
	s_or_b64 s[22:23], vcc, s[22:23]
	v_pk_mov_b32 v[8:9], v[6:7], v[6:7] op_sel:[0,1]
	s_andn2_b64 exec, exec, s[22:23]
	s_cbranch_execnz .LBB2_210
.LBB2_211:                              ;   in Loop: Header=BB2_144 Depth=1
	s_or_b64 exec, exec, s[20:21]
	global_load_dwordx2 v[6:7], v35, s[6:7] offset:16
	s_mov_b64 s[22:23], exec
	v_mbcnt_lo_u32_b32 v8, s22, 0
	v_mbcnt_hi_u32_b32 v8, s23, v8
	v_cmp_eq_u32_e32 vcc, 0, v8
	s_and_saveexec_b64 s[20:21], vcc
	s_cbranch_execz .LBB2_213
; %bb.212:                              ;   in Loop: Header=BB2_144 Depth=1
	s_bcnt1_i32_b64 s22, s[22:23]
	v_mov_b32_e32 v34, s22
	buffer_wbl2
	s_waitcnt vmcnt(0)
	global_atomic_add_x2 v[6:7], v[34:35], off offset:8
.LBB2_213:                              ;   in Loop: Header=BB2_144 Depth=1
	s_or_b64 exec, exec, s[20:21]
	s_waitcnt vmcnt(0)
	global_load_dwordx2 v[8:9], v[6:7], off offset:16
	s_waitcnt vmcnt(0)
	v_cmp_eq_u64_e32 vcc, 0, v[8:9]
	s_cbranch_vccnz .LBB2_215
; %bb.214:                              ;   in Loop: Header=BB2_144 Depth=1
	global_load_dword v34, v[6:7], off offset:24
	s_waitcnt vmcnt(0)
	v_and_b32_e32 v6, 0xffffff, v34
	v_readfirstlane_b32 m0, v6
	buffer_wbl2
	global_store_dwordx2 v[8:9], v[34:35], off
	s_sendmsg sendmsg(MSG_INTERRUPT)
.LBB2_215:                              ;   in Loop: Header=BB2_144 Depth=1
	s_or_b64 exec, exec, s[18:19]
	v_add_co_u32_e32 v6, vcc, v30, v38
	v_addc_co_u32_e32 v7, vcc, 0, v1, vcc
	s_branch .LBB2_219
.LBB2_216:                              ;   in Loop: Header=BB2_219 Depth=2
	s_or_b64 exec, exec, s[18:19]
	v_readfirstlane_b32 s18, v1
	s_cmp_eq_u32 s18, 0
	s_cbranch_scc1 .LBB2_218
; %bb.217:                              ;   in Loop: Header=BB2_219 Depth=2
	s_sleep 1
	s_cbranch_execnz .LBB2_219
	s_branch .LBB2_221
.LBB2_218:                              ;   in Loop: Header=BB2_144 Depth=1
	s_branch .LBB2_221
.LBB2_219:                              ;   Parent Loop BB2_144 Depth=1
                                        ; =>  This Inner Loop Header: Depth=2
	v_mov_b32_e32 v1, 1
	s_and_saveexec_b64 s[18:19], s[4:5]
	s_cbranch_execz .LBB2_216
; %bb.220:                              ;   in Loop: Header=BB2_219 Depth=2
	global_load_dword v1, v[36:37], off offset:20 glc
	s_waitcnt vmcnt(0)
	buffer_invl2
	buffer_wbinvl1_vol
	v_and_b32_e32 v1, 1, v1
	s_branch .LBB2_216
.LBB2_221:                              ;   in Loop: Header=BB2_144 Depth=1
	global_load_dwordx4 v[6:9], v[6:7], off
	s_and_saveexec_b64 s[18:19], s[4:5]
	s_cbranch_execz .LBB2_143
; %bb.222:                              ;   in Loop: Header=BB2_144 Depth=1
	global_load_dwordx2 v[8:9], v35, s[6:7] offset:40
	global_load_dwordx2 v[16:17], v35, s[6:7] offset:24 glc
	global_load_dwordx2 v[18:19], v35, s[6:7]
	v_mov_b32_e32 v1, s17
	s_waitcnt vmcnt(2)
	v_add_co_u32_e32 v15, vcc, 1, v8
	v_addc_co_u32_e32 v20, vcc, 0, v9, vcc
	v_add_co_u32_e32 v12, vcc, s16, v15
	v_addc_co_u32_e32 v13, vcc, v20, v1, vcc
	v_cmp_eq_u64_e32 vcc, 0, v[12:13]
	v_cndmask_b32_e32 v13, v13, v20, vcc
	v_cndmask_b32_e32 v12, v12, v15, vcc
	v_and_b32_e32 v1, v13, v9
	v_and_b32_e32 v8, v12, v8
	v_mul_lo_u32 v1, v1, 24
	v_mul_hi_u32 v9, v8, 24
	v_mul_lo_u32 v8, v8, 24
	v_add_u32_e32 v1, v9, v1
	s_waitcnt vmcnt(0)
	v_add_co_u32_e32 v8, vcc, v18, v8
	v_addc_co_u32_e32 v9, vcc, v19, v1, vcc
	v_mov_b32_e32 v14, v16
	global_store_dwordx2 v[8:9], v[16:17], off
	v_mov_b32_e32 v15, v17
	buffer_wbl2
	s_waitcnt vmcnt(0)
	global_atomic_cmpswap_x2 v[14:15], v35, v[12:15], s[6:7] offset:24 glc
	s_waitcnt vmcnt(0)
	v_cmp_ne_u64_e32 vcc, v[14:15], v[16:17]
	s_and_b64 exec, exec, vcc
	s_cbranch_execz .LBB2_143
; %bb.223:                              ;   in Loop: Header=BB2_144 Depth=1
	s_mov_b64 s[4:5], 0
.LBB2_224:                              ;   Parent Loop BB2_144 Depth=1
                                        ; =>  This Inner Loop Header: Depth=2
	s_sleep 1
	global_store_dwordx2 v[8:9], v[14:15], off
	buffer_wbl2
	s_waitcnt vmcnt(0)
	global_atomic_cmpswap_x2 v[16:17], v35, v[12:15], s[6:7] offset:24 glc
	s_waitcnt vmcnt(0)
	v_cmp_eq_u64_e32 vcc, v[16:17], v[14:15]
	s_or_b64 s[4:5], vcc, s[4:5]
	v_pk_mov_b32 v[14:15], v[16:17], v[16:17] op_sel:[0,1]
	s_andn2_b64 exec, exec, s[4:5]
	s_cbranch_execnz .LBB2_224
	s_branch .LBB2_143
.LBB2_225:
                                        ; implicit-def: $vgpr6_vgpr7
	s_cbranch_execnz .LBB2_227
	s_branch .LBB2_253
.LBB2_226:
	s_branch .LBB2_253
.LBB2_227:
	v_readfirstlane_b32 s4, v39
	v_cmp_eq_u32_e64 s[4:5], s4, v39
	v_pk_mov_b32 v[12:13], 0, 0
	s_and_saveexec_b64 s[10:11], s[4:5]
	s_cbranch_execz .LBB2_233
; %bb.228:
	v_mov_b32_e32 v1, 0
	global_load_dwordx2 v[8:9], v1, s[6:7] offset:24 glc
	s_waitcnt vmcnt(0)
	buffer_invl2
	buffer_wbinvl1_vol
	global_load_dwordx2 v[6:7], v1, s[6:7] offset:40
	global_load_dwordx2 v[10:11], v1, s[6:7]
	s_waitcnt vmcnt(1)
	v_and_b32_e32 v6, v6, v8
	v_and_b32_e32 v7, v7, v9
	v_mul_lo_u32 v7, v7, 24
	v_mul_hi_u32 v12, v6, 24
	v_mul_lo_u32 v6, v6, 24
	v_add_u32_e32 v7, v12, v7
	s_waitcnt vmcnt(0)
	v_add_co_u32_e32 v6, vcc, v10, v6
	v_addc_co_u32_e32 v7, vcc, v11, v7, vcc
	global_load_dwordx2 v[6:7], v[6:7], off glc
	s_waitcnt vmcnt(0)
	global_atomic_cmpswap_x2 v[12:13], v1, v[6:9], s[6:7] offset:24 glc
	s_waitcnt vmcnt(0)
	buffer_invl2
	buffer_wbinvl1_vol
	v_cmp_ne_u64_e32 vcc, v[12:13], v[8:9]
	s_and_saveexec_b64 s[12:13], vcc
	s_cbranch_execz .LBB2_232
; %bb.229:
	s_mov_b64 s[14:15], 0
.LBB2_230:                              ; =>This Inner Loop Header: Depth=1
	s_sleep 1
	global_load_dwordx2 v[6:7], v1, s[6:7] offset:40
	global_load_dwordx2 v[10:11], v1, s[6:7]
	v_pk_mov_b32 v[8:9], v[12:13], v[12:13] op_sel:[0,1]
	s_waitcnt vmcnt(1)
	v_and_b32_e32 v6, v6, v8
	v_and_b32_e32 v12, v7, v9
	s_waitcnt vmcnt(0)
	v_mad_u64_u32 v[6:7], s[16:17], v6, 24, v[10:11]
	v_mov_b32_e32 v10, v7
	v_mad_u64_u32 v[10:11], s[16:17], v12, 24, v[10:11]
	v_mov_b32_e32 v7, v10
	global_load_dwordx2 v[6:7], v[6:7], off glc
	s_waitcnt vmcnt(0)
	global_atomic_cmpswap_x2 v[12:13], v1, v[6:9], s[6:7] offset:24 glc
	s_waitcnt vmcnt(0)
	buffer_invl2
	buffer_wbinvl1_vol
	v_cmp_eq_u64_e32 vcc, v[12:13], v[8:9]
	s_or_b64 s[14:15], vcc, s[14:15]
	s_andn2_b64 exec, exec, s[14:15]
	s_cbranch_execnz .LBB2_230
; %bb.231:
	s_or_b64 exec, exec, s[14:15]
.LBB2_232:
	s_or_b64 exec, exec, s[12:13]
.LBB2_233:
	s_or_b64 exec, exec, s[10:11]
	s_waitcnt vmcnt(0)
	v_mov_b32_e32 v6, 0
	global_load_dwordx2 v[14:15], v6, s[6:7] offset:40
	global_load_dwordx4 v[8:11], v6, s[6:7]
	v_readfirstlane_b32 s10, v12
	v_readfirstlane_b32 s11, v13
	s_mov_b64 s[12:13], exec
	s_waitcnt vmcnt(1)
	v_readfirstlane_b32 s14, v14
	v_readfirstlane_b32 s15, v15
	s_and_b64 s[14:15], s[10:11], s[14:15]
	s_mul_i32 s16, s15, 24
	s_mul_hi_u32 s17, s14, 24
	s_mul_i32 s18, s14, 24
	s_add_i32 s16, s17, s16
	v_mov_b32_e32 v1, s16
	s_waitcnt vmcnt(0)
	v_add_co_u32_e32 v12, vcc, s18, v8
	v_addc_co_u32_e32 v13, vcc, v9, v1, vcc
	s_and_saveexec_b64 s[16:17], s[4:5]
	s_cbranch_execz .LBB2_235
; %bb.234:
	v_pk_mov_b32 v[14:15], s[12:13], s[12:13] op_sel:[0,1]
	v_mov_b32_e32 v16, 2
	v_mov_b32_e32 v17, 1
	global_store_dwordx4 v[12:13], v[14:17], off offset:8
.LBB2_235:
	s_or_b64 exec, exec, s[16:17]
	s_lshl_b64 s[12:13], s[14:15], 12
	v_mov_b32_e32 v1, s13
	v_add_co_u32_e32 v14, vcc, s12, v10
	s_movk_i32 s12, 0xff1f
	v_addc_co_u32_e32 v1, vcc, v11, v1, vcc
	v_and_or_b32 v4, v4, s12, 32
	s_mov_b32 s12, 0
	v_mov_b32_e32 v7, v6
	v_readfirstlane_b32 s16, v14
	v_readfirstlane_b32 s17, v1
	s_mov_b32 s13, s12
	v_add_co_u32_e32 v10, vcc, v14, v38
	s_mov_b32 s14, s12
	s_mov_b32 s15, s12
	s_nop 0
	global_store_dwordx4 v38, v[4:7], s[16:17]
	v_addc_co_u32_e32 v11, vcc, 0, v1, vcc
	v_pk_mov_b32 v[4:5], s[12:13], s[12:13] op_sel:[0,1]
	v_pk_mov_b32 v[6:7], s[14:15], s[14:15] op_sel:[0,1]
	global_store_dwordx4 v38, v[4:7], s[16:17] offset:16
	global_store_dwordx4 v38, v[4:7], s[16:17] offset:32
	global_store_dwordx4 v38, v[4:7], s[16:17] offset:48
	s_and_saveexec_b64 s[12:13], s[4:5]
	s_cbranch_execz .LBB2_243
; %bb.236:
	v_mov_b32_e32 v1, 0
	global_load_dwordx2 v[16:17], v1, s[6:7] offset:32 glc
	global_load_dwordx2 v[4:5], v1, s[6:7] offset:40
	v_mov_b32_e32 v14, s10
	v_mov_b32_e32 v15, s11
	s_waitcnt vmcnt(0)
	v_readfirstlane_b32 s14, v4
	v_readfirstlane_b32 s15, v5
	s_and_b64 s[14:15], s[14:15], s[10:11]
	s_mul_i32 s15, s15, 24
	s_mul_hi_u32 s16, s14, 24
	s_mul_i32 s14, s14, 24
	s_add_i32 s15, s16, s15
	v_mov_b32_e32 v4, s15
	v_add_co_u32_e32 v8, vcc, s14, v8
	v_addc_co_u32_e32 v9, vcc, v9, v4, vcc
	global_store_dwordx2 v[8:9], v[16:17], off
	buffer_wbl2
	s_waitcnt vmcnt(0)
	global_atomic_cmpswap_x2 v[6:7], v1, v[14:17], s[6:7] offset:32 glc
	s_waitcnt vmcnt(0)
	v_cmp_ne_u64_e32 vcc, v[6:7], v[16:17]
	s_and_saveexec_b64 s[14:15], vcc
	s_cbranch_execz .LBB2_239
; %bb.237:
	s_mov_b64 s[16:17], 0
.LBB2_238:                              ; =>This Inner Loop Header: Depth=1
	s_sleep 1
	global_store_dwordx2 v[8:9], v[6:7], off
	v_mov_b32_e32 v4, s10
	v_mov_b32_e32 v5, s11
	buffer_wbl2
	s_waitcnt vmcnt(0)
	global_atomic_cmpswap_x2 v[4:5], v1, v[4:7], s[6:7] offset:32 glc
	s_waitcnt vmcnt(0)
	v_cmp_eq_u64_e32 vcc, v[4:5], v[6:7]
	s_or_b64 s[16:17], vcc, s[16:17]
	v_pk_mov_b32 v[6:7], v[4:5], v[4:5] op_sel:[0,1]
	s_andn2_b64 exec, exec, s[16:17]
	s_cbranch_execnz .LBB2_238
.LBB2_239:
	s_or_b64 exec, exec, s[14:15]
	v_mov_b32_e32 v7, 0
	global_load_dwordx2 v[4:5], v7, s[6:7] offset:16
	s_mov_b64 s[14:15], exec
	v_mbcnt_lo_u32_b32 v1, s14, 0
	v_mbcnt_hi_u32_b32 v1, s15, v1
	v_cmp_eq_u32_e32 vcc, 0, v1
	s_and_saveexec_b64 s[16:17], vcc
	s_cbranch_execz .LBB2_241
; %bb.240:
	s_bcnt1_i32_b64 s14, s[14:15]
	v_mov_b32_e32 v6, s14
	buffer_wbl2
	s_waitcnt vmcnt(0)
	global_atomic_add_x2 v[4:5], v[6:7], off offset:8
.LBB2_241:
	s_or_b64 exec, exec, s[16:17]
	s_waitcnt vmcnt(0)
	global_load_dwordx2 v[6:7], v[4:5], off offset:16
	s_waitcnt vmcnt(0)
	v_cmp_eq_u64_e32 vcc, 0, v[6:7]
	s_cbranch_vccnz .LBB2_243
; %bb.242:
	global_load_dword v4, v[4:5], off offset:24
	v_mov_b32_e32 v5, 0
	s_waitcnt vmcnt(0)
	v_and_b32_e32 v1, 0xffffff, v4
	v_readfirstlane_b32 m0, v1
	buffer_wbl2
	global_store_dwordx2 v[6:7], v[4:5], off
	s_sendmsg sendmsg(MSG_INTERRUPT)
.LBB2_243:
	s_or_b64 exec, exec, s[12:13]
	s_branch .LBB2_247
.LBB2_244:                              ;   in Loop: Header=BB2_247 Depth=1
	s_or_b64 exec, exec, s[12:13]
	v_readfirstlane_b32 s12, v1
	s_cmp_eq_u32 s12, 0
	s_cbranch_scc1 .LBB2_246
; %bb.245:                              ;   in Loop: Header=BB2_247 Depth=1
	s_sleep 1
	s_cbranch_execnz .LBB2_247
	s_branch .LBB2_249
.LBB2_246:
	s_branch .LBB2_249
.LBB2_247:                              ; =>This Inner Loop Header: Depth=1
	v_mov_b32_e32 v1, 1
	s_and_saveexec_b64 s[12:13], s[4:5]
	s_cbranch_execz .LBB2_244
; %bb.248:                              ;   in Loop: Header=BB2_247 Depth=1
	global_load_dword v1, v[12:13], off offset:20 glc
	s_waitcnt vmcnt(0)
	buffer_invl2
	buffer_wbinvl1_vol
	v_and_b32_e32 v1, 1, v1
	s_branch .LBB2_244
.LBB2_249:
	global_load_dwordx2 v[6:7], v[10:11], off
	s_and_saveexec_b64 s[12:13], s[4:5]
	s_cbranch_execz .LBB2_252
; %bb.250:
	v_mov_b32_e32 v1, 0
	global_load_dwordx2 v[4:5], v1, s[6:7] offset:40
	global_load_dwordx2 v[12:13], v1, s[6:7] offset:24 glc
	global_load_dwordx2 v[14:15], v1, s[6:7]
	v_mov_b32_e32 v9, s11
	s_mov_b64 s[4:5], 0
	s_waitcnt vmcnt(2)
	v_add_co_u32_e32 v11, vcc, 1, v4
	v_addc_co_u32_e32 v16, vcc, 0, v5, vcc
	v_add_co_u32_e32 v8, vcc, s10, v11
	v_addc_co_u32_e32 v9, vcc, v16, v9, vcc
	v_cmp_eq_u64_e32 vcc, 0, v[8:9]
	v_cndmask_b32_e32 v9, v9, v16, vcc
	v_cndmask_b32_e32 v8, v8, v11, vcc
	v_and_b32_e32 v5, v9, v5
	v_and_b32_e32 v4, v8, v4
	v_mul_lo_u32 v5, v5, 24
	v_mul_hi_u32 v11, v4, 24
	v_mul_lo_u32 v4, v4, 24
	v_add_u32_e32 v5, v11, v5
	s_waitcnt vmcnt(0)
	v_add_co_u32_e32 v4, vcc, v14, v4
	v_addc_co_u32_e32 v5, vcc, v15, v5, vcc
	v_mov_b32_e32 v10, v12
	global_store_dwordx2 v[4:5], v[12:13], off
	v_mov_b32_e32 v11, v13
	buffer_wbl2
	s_waitcnt vmcnt(0)
	global_atomic_cmpswap_x2 v[10:11], v1, v[8:11], s[6:7] offset:24 glc
	s_waitcnt vmcnt(0)
	v_cmp_ne_u64_e32 vcc, v[10:11], v[12:13]
	s_and_b64 exec, exec, vcc
	s_cbranch_execz .LBB2_252
.LBB2_251:                              ; =>This Inner Loop Header: Depth=1
	s_sleep 1
	global_store_dwordx2 v[4:5], v[10:11], off
	buffer_wbl2
	s_waitcnt vmcnt(0)
	global_atomic_cmpswap_x2 v[12:13], v1, v[8:11], s[6:7] offset:24 glc
	s_waitcnt vmcnt(0)
	v_cmp_eq_u64_e32 vcc, v[12:13], v[10:11]
	s_or_b64 s[4:5], vcc, s[4:5]
	v_pk_mov_b32 v[10:11], v[12:13], v[12:13] op_sel:[0,1]
	s_andn2_b64 exec, exec, s[4:5]
	s_cbranch_execnz .LBB2_251
.LBB2_252:
	s_or_b64 exec, exec, s[12:13]
.LBB2_253:
	v_readfirstlane_b32 s4, v39
	v_cmp_eq_u32_e64 s[4:5], s4, v39
	s_waitcnt vmcnt(0)
	v_pk_mov_b32 v[4:5], 0, 0
	s_and_saveexec_b64 s[10:11], s[4:5]
	s_cbranch_execz .LBB2_259
; %bb.254:
	v_mov_b32_e32 v1, 0
	global_load_dwordx2 v[10:11], v1, s[6:7] offset:24 glc
	s_waitcnt vmcnt(0)
	buffer_invl2
	buffer_wbinvl1_vol
	global_load_dwordx2 v[4:5], v1, s[6:7] offset:40
	global_load_dwordx2 v[8:9], v1, s[6:7]
	s_waitcnt vmcnt(1)
	v_and_b32_e32 v4, v4, v10
	v_and_b32_e32 v5, v5, v11
	v_mul_lo_u32 v5, v5, 24
	v_mul_hi_u32 v12, v4, 24
	v_mul_lo_u32 v4, v4, 24
	v_add_u32_e32 v5, v12, v5
	s_waitcnt vmcnt(0)
	v_add_co_u32_e32 v4, vcc, v8, v4
	v_addc_co_u32_e32 v5, vcc, v9, v5, vcc
	global_load_dwordx2 v[8:9], v[4:5], off glc
	s_waitcnt vmcnt(0)
	global_atomic_cmpswap_x2 v[4:5], v1, v[8:11], s[6:7] offset:24 glc
	s_waitcnt vmcnt(0)
	buffer_invl2
	buffer_wbinvl1_vol
	v_cmp_ne_u64_e32 vcc, v[4:5], v[10:11]
	s_and_saveexec_b64 s[12:13], vcc
	s_cbranch_execz .LBB2_258
; %bb.255:
	s_mov_b64 s[14:15], 0
.LBB2_256:                              ; =>This Inner Loop Header: Depth=1
	s_sleep 1
	global_load_dwordx2 v[8:9], v1, s[6:7] offset:40
	global_load_dwordx2 v[12:13], v1, s[6:7]
	v_pk_mov_b32 v[10:11], v[4:5], v[4:5] op_sel:[0,1]
	s_waitcnt vmcnt(1)
	v_and_b32_e32 v4, v8, v10
	s_waitcnt vmcnt(0)
	v_mad_u64_u32 v[4:5], s[16:17], v4, 24, v[12:13]
	v_and_b32_e32 v9, v9, v11
	v_mov_b32_e32 v8, v5
	v_mad_u64_u32 v[8:9], s[16:17], v9, 24, v[8:9]
	v_mov_b32_e32 v5, v8
	global_load_dwordx2 v[8:9], v[4:5], off glc
	s_waitcnt vmcnt(0)
	global_atomic_cmpswap_x2 v[4:5], v1, v[8:11], s[6:7] offset:24 glc
	s_waitcnt vmcnt(0)
	buffer_invl2
	buffer_wbinvl1_vol
	v_cmp_eq_u64_e32 vcc, v[4:5], v[10:11]
	s_or_b64 s[14:15], vcc, s[14:15]
	s_andn2_b64 exec, exec, s[14:15]
	s_cbranch_execnz .LBB2_256
; %bb.257:
	s_or_b64 exec, exec, s[14:15]
.LBB2_258:
	s_or_b64 exec, exec, s[12:13]
.LBB2_259:
	s_or_b64 exec, exec, s[10:11]
	v_mov_b32_e32 v9, 0
	global_load_dwordx2 v[14:15], v9, s[6:7] offset:40
	global_load_dwordx4 v[10:13], v9, s[6:7]
	v_readfirstlane_b32 s10, v4
	v_readfirstlane_b32 s11, v5
	s_mov_b64 s[12:13], exec
	s_waitcnt vmcnt(1)
	v_readfirstlane_b32 s14, v14
	v_readfirstlane_b32 s15, v15
	s_and_b64 s[14:15], s[10:11], s[14:15]
	s_mul_i32 s16, s15, 24
	s_mul_hi_u32 s17, s14, 24
	s_mul_i32 s18, s14, 24
	s_add_i32 s16, s17, s16
	v_mov_b32_e32 v1, s16
	s_waitcnt vmcnt(0)
	v_add_co_u32_e32 v14, vcc, s18, v10
	v_addc_co_u32_e32 v15, vcc, v11, v1, vcc
	s_and_saveexec_b64 s[16:17], s[4:5]
	s_cbranch_execz .LBB2_261
; %bb.260:
	v_pk_mov_b32 v[16:17], s[12:13], s[12:13] op_sel:[0,1]
	v_mov_b32_e32 v18, 2
	v_mov_b32_e32 v19, 1
	global_store_dwordx4 v[14:15], v[16:19], off offset:8
.LBB2_261:
	s_or_b64 exec, exec, s[16:17]
	s_lshl_b64 s[12:13], s[14:15], 12
	v_mov_b32_e32 v1, s13
	v_add_co_u32_e32 v4, vcc, s12, v12
	v_addc_co_u32_e32 v1, vcc, v13, v1, vcc
	s_mov_b32 s12, 0
	s_movk_i32 s13, 0xff1f
	v_and_or_b32 v6, v6, s13, 32
	v_mov_b32_e32 v8, v0
	v_readfirstlane_b32 s16, v4
	v_readfirstlane_b32 s17, v1
	s_mov_b32 s13, s12
	v_add_co_u32_e32 v12, vcc, v4, v38
	s_mov_b32 s14, s12
	s_mov_b32 s15, s12
	s_nop 0
	global_store_dwordx4 v38, v[6:9], s[16:17]
	v_pk_mov_b32 v[4:5], s[12:13], s[12:13] op_sel:[0,1]
	v_addc_co_u32_e32 v13, vcc, 0, v1, vcc
	v_pk_mov_b32 v[6:7], s[14:15], s[14:15] op_sel:[0,1]
	global_store_dwordx4 v38, v[4:7], s[16:17] offset:16
	global_store_dwordx4 v38, v[4:7], s[16:17] offset:32
	;; [unrolled: 1-line block ×3, first 2 shown]
	s_and_saveexec_b64 s[12:13], s[4:5]
	s_cbranch_execz .LBB2_269
; %bb.262:
	v_mov_b32_e32 v8, 0
	global_load_dwordx2 v[18:19], v8, s[6:7] offset:32 glc
	global_load_dwordx2 v[0:1], v8, s[6:7] offset:40
	v_mov_b32_e32 v16, s10
	v_mov_b32_e32 v17, s11
	s_waitcnt vmcnt(0)
	v_readfirstlane_b32 s14, v0
	v_readfirstlane_b32 s15, v1
	s_and_b64 s[14:15], s[14:15], s[10:11]
	s_mul_i32 s15, s15, 24
	s_mul_hi_u32 s16, s14, 24
	s_mul_i32 s14, s14, 24
	s_add_i32 s15, s16, s15
	v_mov_b32_e32 v1, s15
	v_add_co_u32_e32 v0, vcc, s14, v10
	v_addc_co_u32_e32 v1, vcc, v11, v1, vcc
	global_store_dwordx2 v[0:1], v[18:19], off
	buffer_wbl2
	s_waitcnt vmcnt(0)
	global_atomic_cmpswap_x2 v[6:7], v8, v[16:19], s[6:7] offset:32 glc
	s_waitcnt vmcnt(0)
	v_cmp_ne_u64_e32 vcc, v[6:7], v[18:19]
	s_and_saveexec_b64 s[14:15], vcc
	s_cbranch_execz .LBB2_265
; %bb.263:
	s_mov_b64 s[16:17], 0
.LBB2_264:                              ; =>This Inner Loop Header: Depth=1
	s_sleep 1
	global_store_dwordx2 v[0:1], v[6:7], off
	v_mov_b32_e32 v4, s10
	v_mov_b32_e32 v5, s11
	buffer_wbl2
	s_waitcnt vmcnt(0)
	global_atomic_cmpswap_x2 v[4:5], v8, v[4:7], s[6:7] offset:32 glc
	s_waitcnt vmcnt(0)
	v_cmp_eq_u64_e32 vcc, v[4:5], v[6:7]
	s_or_b64 s[16:17], vcc, s[16:17]
	v_pk_mov_b32 v[6:7], v[4:5], v[4:5] op_sel:[0,1]
	s_andn2_b64 exec, exec, s[16:17]
	s_cbranch_execnz .LBB2_264
.LBB2_265:
	s_or_b64 exec, exec, s[14:15]
	v_mov_b32_e32 v5, 0
	global_load_dwordx2 v[0:1], v5, s[6:7] offset:16
	s_mov_b64 s[14:15], exec
	v_mbcnt_lo_u32_b32 v4, s14, 0
	v_mbcnt_hi_u32_b32 v4, s15, v4
	v_cmp_eq_u32_e32 vcc, 0, v4
	s_and_saveexec_b64 s[16:17], vcc
	s_cbranch_execz .LBB2_267
; %bb.266:
	s_bcnt1_i32_b64 s14, s[14:15]
	v_mov_b32_e32 v4, s14
	buffer_wbl2
	s_waitcnt vmcnt(0)
	global_atomic_add_x2 v[0:1], v[4:5], off offset:8
.LBB2_267:
	s_or_b64 exec, exec, s[16:17]
	s_waitcnt vmcnt(0)
	global_load_dwordx2 v[4:5], v[0:1], off offset:16
	s_waitcnt vmcnt(0)
	v_cmp_eq_u64_e32 vcc, 0, v[4:5]
	s_cbranch_vccnz .LBB2_269
; %bb.268:
	global_load_dword v0, v[0:1], off offset:24
	v_mov_b32_e32 v1, 0
	buffer_wbl2
	s_waitcnt vmcnt(0)
	global_store_dwordx2 v[4:5], v[0:1], off
	v_and_b32_e32 v0, 0xffffff, v0
	v_readfirstlane_b32 m0, v0
	s_sendmsg sendmsg(MSG_INTERRUPT)
.LBB2_269:
	s_or_b64 exec, exec, s[12:13]
	s_branch .LBB2_273
.LBB2_270:                              ;   in Loop: Header=BB2_273 Depth=1
	s_or_b64 exec, exec, s[12:13]
	v_readfirstlane_b32 s12, v0
	s_cmp_eq_u32 s12, 0
	s_cbranch_scc1 .LBB2_272
; %bb.271:                              ;   in Loop: Header=BB2_273 Depth=1
	s_sleep 1
	s_cbranch_execnz .LBB2_273
	s_branch .LBB2_275
.LBB2_272:
	s_branch .LBB2_275
.LBB2_273:                              ; =>This Inner Loop Header: Depth=1
	v_mov_b32_e32 v0, 1
	s_and_saveexec_b64 s[12:13], s[4:5]
	s_cbranch_execz .LBB2_270
; %bb.274:                              ;   in Loop: Header=BB2_273 Depth=1
	global_load_dword v0, v[14:15], off offset:20 glc
	s_waitcnt vmcnt(0)
	buffer_invl2
	buffer_wbinvl1_vol
	v_and_b32_e32 v0, 1, v0
	s_branch .LBB2_270
.LBB2_275:
	global_load_dwordx2 v[0:1], v[12:13], off
	s_and_saveexec_b64 s[12:13], s[4:5]
	s_cbranch_execz .LBB2_278
; %bb.276:
	v_mov_b32_e32 v10, 0
	global_load_dwordx2 v[8:9], v10, s[6:7] offset:40
	global_load_dwordx2 v[12:13], v10, s[6:7] offset:24 glc
	global_load_dwordx2 v[14:15], v10, s[6:7]
	v_mov_b32_e32 v5, s11
	s_mov_b64 s[4:5], 0
	s_waitcnt vmcnt(2)
	v_add_co_u32_e32 v7, vcc, 1, v8
	v_addc_co_u32_e32 v11, vcc, 0, v9, vcc
	v_add_co_u32_e32 v4, vcc, s10, v7
	v_addc_co_u32_e32 v5, vcc, v11, v5, vcc
	v_cmp_eq_u64_e32 vcc, 0, v[4:5]
	v_cndmask_b32_e32 v5, v5, v11, vcc
	v_cndmask_b32_e32 v4, v4, v7, vcc
	v_and_b32_e32 v7, v5, v9
	v_and_b32_e32 v8, v4, v8
	v_mul_lo_u32 v7, v7, 24
	v_mul_hi_u32 v9, v8, 24
	v_mul_lo_u32 v8, v8, 24
	v_add_u32_e32 v7, v9, v7
	s_waitcnt vmcnt(0)
	v_add_co_u32_e32 v8, vcc, v14, v8
	v_addc_co_u32_e32 v9, vcc, v15, v7, vcc
	v_mov_b32_e32 v6, v12
	global_store_dwordx2 v[8:9], v[12:13], off
	v_mov_b32_e32 v7, v13
	buffer_wbl2
	s_waitcnt vmcnt(0)
	global_atomic_cmpswap_x2 v[6:7], v10, v[4:7], s[6:7] offset:24 glc
	s_waitcnt vmcnt(0)
	v_cmp_ne_u64_e32 vcc, v[6:7], v[12:13]
	s_and_b64 exec, exec, vcc
	s_cbranch_execz .LBB2_278
.LBB2_277:                              ; =>This Inner Loop Header: Depth=1
	s_sleep 1
	global_store_dwordx2 v[8:9], v[6:7], off
	buffer_wbl2
	s_waitcnt vmcnt(0)
	global_atomic_cmpswap_x2 v[12:13], v10, v[4:7], s[6:7] offset:24 glc
	s_waitcnt vmcnt(0)
	v_cmp_eq_u64_e32 vcc, v[12:13], v[6:7]
	s_or_b64 s[4:5], vcc, s[4:5]
	v_pk_mov_b32 v[6:7], v[12:13], v[12:13] op_sel:[0,1]
	s_andn2_b64 exec, exec, s[4:5]
	s_cbranch_execnz .LBB2_277
.LBB2_278:
	s_or_b64 exec, exec, s[12:13]
	s_mov_b64 s[6:7], 0
	v_cmp_ne_u64_e32 vcc, 0, v[2:3]
	v_pk_mov_b32 v[4:5], 0, 0
	s_and_saveexec_b64 s[4:5], vcc
	s_cbranch_execz .LBB2_282
; %bb.279:
	v_add_co_u32_e32 v4, vcc, -1, v2
	v_addc_co_u32_e32 v5, vcc, -1, v3, vcc
.LBB2_280:                              ; =>This Inner Loop Header: Depth=1
	flat_load_ubyte v8, v[4:5] offset:1
	v_add_co_u32_e32 v6, vcc, 1, v4
	v_addc_co_u32_e32 v7, vcc, 0, v5, vcc
	v_pk_mov_b32 v[4:5], v[6:7], v[6:7] op_sel:[0,1]
	s_waitcnt vmcnt(0) lgkmcnt(0)
	v_cmp_eq_u16_e32 vcc, 0, v8
	s_or_b64 s[6:7], vcc, s[6:7]
	s_andn2_b64 exec, exec, s[6:7]
	s_cbranch_execnz .LBB2_280
; %bb.281:
	s_or_b64 exec, exec, s[6:7]
	v_sub_co_u32_e32 v4, vcc, v6, v2
	v_subb_co_u32_e32 v5, vcc, v7, v3, vcc
	v_add_co_u32_e32 v4, vcc, 1, v4
	v_addc_co_u32_e32 v5, vcc, 0, v5, vcc
.LBB2_282:
	s_or_b64 exec, exec, s[4:5]
	s_mov_b64 s[8:9], s[26:27]
	s_getpc_b64 s[4:5]
	s_add_u32 s4, s4, __ockl_printf_append_string_n@rel32@lo+4
	s_addc_u32 s5, s5, __ockl_printf_append_string_n@rel32@hi+12
	s_swappc_b64 s[30:31], s[4:5]
	s_mov_b64 s[8:9], s[26:27]
	v_mov_b32_e32 v2, 0x514
	v_mov_b32_e32 v3, 0
	;; [unrolled: 1-line block ×3, first 2 shown]
	s_getpc_b64 s[4:5]
	s_add_u32 s4, s4, __ockl_printf_append_args@rel32@lo+4
	s_addc_u32 s5, s5, __ockl_printf_append_args@rel32@hi+12
	s_swappc_b64 s[30:31], s[4:5]
	s_trap 2
.Lfunc_end2:
	.size	_ZL14no_device_codePKciS0_iS0_, .Lfunc_end2-_ZL14no_device_codePKciS0_iS0_
                                        ; -- End function
	.section	.AMDGPU.csdata,"",@progbits
; Function info:
; codeLenInByte = 10036
; NumSgprs: 38
; NumVgprs: 41
; NumAgprs: 0
; TotalNumVgprs: 41
; ScratchSize: 16
; MemoryBound: 0
	.section	.text._ZL13mul_mat_f_idsIfLi32ELi13ELi1EEvPKT_PKfPKiS6_S6_Pfiiiiiiiiiiiiii15HIP_vector_typeIjLj3EES9_,"axG",@progbits,_ZL13mul_mat_f_idsIfLi32ELi13ELi1EEvPKT_PKfPKiS6_S6_Pfiiiiiiiiiiiiii15HIP_vector_typeIjLj3EES9_,comdat
	.globl	_ZL13mul_mat_f_idsIfLi32ELi13ELi1EEvPKT_PKfPKiS6_S6_Pfiiiiiiiiiiiiii15HIP_vector_typeIjLj3EES9_ ; -- Begin function _ZL13mul_mat_f_idsIfLi32ELi13ELi1EEvPKT_PKfPKiS6_S6_Pfiiiiiiiiiiiiii15HIP_vector_typeIjLj3EES9_
	.p2align	8
	.type	_ZL13mul_mat_f_idsIfLi32ELi13ELi1EEvPKT_PKfPKiS6_S6_Pfiiiiiiiiiiiiii15HIP_vector_typeIjLj3EES9_,@function
_ZL13mul_mat_f_idsIfLi32ELi13ELi1EEvPKT_PKfPKiS6_S6_Pfiiiiiiiiiiiiii15HIP_vector_typeIjLj3EES9_: ; @_ZL13mul_mat_f_idsIfLi32ELi13ELi1EEvPKT_PKfPKiS6_S6_Pfiiiiiiiiiiiiii15HIP_vector_typeIjLj3EES9_
; %bb.0:
	s_add_u32 flat_scratch_lo, s6, s9
	s_addc_u32 flat_scratch_hi, s7, 0
	s_add_u32 s0, s0, s9
	s_addc_u32 s1, s1, 0
	s_add_u32 s8, s4, 0x80
	s_addc_u32 s9, s5, 0
	s_getpc_b64 s[4:5]
	s_add_u32 s4, s4, __FUNCTION__._ZL13mul_mat_f_idsIfLi32ELi13ELi1EEvPKT_PKfPKiS6_S6_Pfiiiiiiiiiiiiii15HIP_vector_typeIjLj3EES9_@rel32@lo+4
	s_addc_u32 s5, s5, __FUNCTION__._ZL13mul_mat_f_idsIfLi32ELi13ELi1EEvPKT_PKfPKiS6_S6_Pfiiiiiiiiiiiiii15HIP_vector_typeIjLj3EES9_@rel32@hi+12
	v_mov_b32_e32 v0, 0x13b
	v_mov_b32_e32 v1, s4
	;; [unrolled: 1-line block ×3, first 2 shown]
	s_mov_b32 s32, 0
	s_getpc_b64 s[6:7]
	s_add_u32 s6, s6, _ZL14no_device_codePKciS0_iS0_@rel32@lo+4
	s_addc_u32 s7, s7, _ZL14no_device_codePKciS0_iS0_@rel32@hi+12
	s_swappc_b64 s[30:31], s[6:7]
	.section	.rodata,"a",@progbits
	.p2align	6, 0x0
	.amdhsa_kernel _ZL13mul_mat_f_idsIfLi32ELi13ELi1EEvPKT_PKfPKiS6_S6_Pfiiiiiiiiiiiiii15HIP_vector_typeIjLj3EES9_
		.amdhsa_group_segment_fixed_size 0
		.amdhsa_private_segment_fixed_size 16
		.amdhsa_kernarg_size 384
		.amdhsa_user_sgpr_count 8
		.amdhsa_user_sgpr_private_segment_buffer 1
		.amdhsa_user_sgpr_dispatch_ptr 0
		.amdhsa_user_sgpr_queue_ptr 0
		.amdhsa_user_sgpr_kernarg_segment_ptr 1
		.amdhsa_user_sgpr_dispatch_id 0
		.amdhsa_user_sgpr_flat_scratch_init 1
		.amdhsa_user_sgpr_kernarg_preload_length 0
		.amdhsa_user_sgpr_kernarg_preload_offset 0
		.amdhsa_user_sgpr_private_segment_size 0
		.amdhsa_uses_dynamic_stack 0
		.amdhsa_system_sgpr_private_segment_wavefront_offset 1
		.amdhsa_system_sgpr_workgroup_id_x 1
		.amdhsa_system_sgpr_workgroup_id_y 0
		.amdhsa_system_sgpr_workgroup_id_z 0
		.amdhsa_system_sgpr_workgroup_info 0
		.amdhsa_system_vgpr_workitem_id 0
		.amdhsa_next_free_vgpr 41
		.amdhsa_next_free_sgpr 34
		.amdhsa_accum_offset 44
		.amdhsa_reserve_vcc 1
		.amdhsa_reserve_flat_scratch 1
		.amdhsa_float_round_mode_32 0
		.amdhsa_float_round_mode_16_64 0
		.amdhsa_float_denorm_mode_32 3
		.amdhsa_float_denorm_mode_16_64 3
		.amdhsa_dx10_clamp 1
		.amdhsa_ieee_mode 1
		.amdhsa_fp16_overflow 0
		.amdhsa_tg_split 0
		.amdhsa_exception_fp_ieee_invalid_op 0
		.amdhsa_exception_fp_denorm_src 0
		.amdhsa_exception_fp_ieee_div_zero 0
		.amdhsa_exception_fp_ieee_overflow 0
		.amdhsa_exception_fp_ieee_underflow 0
		.amdhsa_exception_fp_ieee_inexact 0
		.amdhsa_exception_int_div_zero 0
	.end_amdhsa_kernel
	.section	.text._ZL13mul_mat_f_idsIfLi32ELi13ELi1EEvPKT_PKfPKiS6_S6_Pfiiiiiiiiiiiiii15HIP_vector_typeIjLj3EES9_,"axG",@progbits,_ZL13mul_mat_f_idsIfLi32ELi13ELi1EEvPKT_PKfPKiS6_S6_Pfiiiiiiiiiiiiii15HIP_vector_typeIjLj3EES9_,comdat
.Lfunc_end3:
	.size	_ZL13mul_mat_f_idsIfLi32ELi13ELi1EEvPKT_PKfPKiS6_S6_Pfiiiiiiiiiiiiii15HIP_vector_typeIjLj3EES9_, .Lfunc_end3-_ZL13mul_mat_f_idsIfLi32ELi13ELi1EEvPKT_PKfPKiS6_S6_Pfiiiiiiiiiiiiii15HIP_vector_typeIjLj3EES9_
                                        ; -- End function
	.section	.AMDGPU.csdata,"",@progbits
; Kernel info:
; codeLenInByte = 92
; NumSgprs: 40
; NumVgprs: 41
; NumAgprs: 0
; TotalNumVgprs: 41
; ScratchSize: 16
; MemoryBound: 0
; FloatMode: 240
; IeeeMode: 1
; LDSByteSize: 0 bytes/workgroup (compile time only)
; SGPRBlocks: 4
; VGPRBlocks: 5
; NumSGPRsForWavesPerEU: 40
; NumVGPRsForWavesPerEU: 41
; AccumOffset: 44
; Occupancy: 8
; WaveLimiterHint : 1
; COMPUTE_PGM_RSRC2:SCRATCH_EN: 1
; COMPUTE_PGM_RSRC2:USER_SGPR: 8
; COMPUTE_PGM_RSRC2:TRAP_HANDLER: 0
; COMPUTE_PGM_RSRC2:TGID_X_EN: 1
; COMPUTE_PGM_RSRC2:TGID_Y_EN: 0
; COMPUTE_PGM_RSRC2:TGID_Z_EN: 0
; COMPUTE_PGM_RSRC2:TIDIG_COMP_CNT: 0
; COMPUTE_PGM_RSRC3_GFX90A:ACCUM_OFFSET: 10
; COMPUTE_PGM_RSRC3_GFX90A:TG_SPLIT: 0
	.section	.text._ZL9mul_mat_fIfLi32ELi13ELi1ELb1EEvPKT_PKfPKiPfiiiiiiiiiiiiiiii,"axG",@progbits,_ZL9mul_mat_fIfLi32ELi13ELi1ELb1EEvPKT_PKfPKiPfiiiiiiiiiiiiiiii,comdat
	.globl	_ZL9mul_mat_fIfLi32ELi13ELi1ELb1EEvPKT_PKfPKiPfiiiiiiiiiiiiiiii ; -- Begin function _ZL9mul_mat_fIfLi32ELi13ELi1ELb1EEvPKT_PKfPKiPfiiiiiiiiiiiiiiii
	.p2align	8
	.type	_ZL9mul_mat_fIfLi32ELi13ELi1ELb1EEvPKT_PKfPKiPfiiiiiiiiiiiiiiii,@function
_ZL9mul_mat_fIfLi32ELi13ELi1ELb1EEvPKT_PKfPKiPfiiiiiiiiiiiiiiii: ; @_ZL9mul_mat_fIfLi32ELi13ELi1ELb1EEvPKT_PKfPKiPfiiiiiiiiiiiiiiii
; %bb.0:
	s_add_u32 flat_scratch_lo, s6, s9
	s_addc_u32 flat_scratch_hi, s7, 0
	s_add_u32 s0, s0, s9
	s_addc_u32 s1, s1, 0
	s_add_u32 s8, s4, 0x60
	s_addc_u32 s9, s5, 0
	s_getpc_b64 s[4:5]
	s_add_u32 s4, s4, __FUNCTION__._ZL9mul_mat_fIfLi32ELi13ELi1ELb1EEvPKT_PKfPKiPfiiiiiiiiiiiiiiii@rel32@lo+4
	s_addc_u32 s5, s5, __FUNCTION__._ZL9mul_mat_fIfLi32ELi13ELi1ELb1EEvPKT_PKfPKiPfiiiiiiiiiiiiiiii@rel32@hi+12
	v_mov_b32_e32 v0, 64
	v_mov_b32_e32 v1, s4
	;; [unrolled: 1-line block ×3, first 2 shown]
	s_mov_b32 s32, 0
	s_getpc_b64 s[6:7]
	s_add_u32 s6, s6, _ZL14no_device_codePKciS0_iS0_@rel32@lo+4
	s_addc_u32 s7, s7, _ZL14no_device_codePKciS0_iS0_@rel32@hi+12
	s_swappc_b64 s[30:31], s[6:7]
	.section	.rodata,"a",@progbits
	.p2align	6, 0x0
	.amdhsa_kernel _ZL9mul_mat_fIfLi32ELi13ELi1ELb1EEvPKT_PKfPKiPfiiiiiiiiiiiiiiii
		.amdhsa_group_segment_fixed_size 0
		.amdhsa_private_segment_fixed_size 16
		.amdhsa_kernarg_size 352
		.amdhsa_user_sgpr_count 8
		.amdhsa_user_sgpr_private_segment_buffer 1
		.amdhsa_user_sgpr_dispatch_ptr 0
		.amdhsa_user_sgpr_queue_ptr 0
		.amdhsa_user_sgpr_kernarg_segment_ptr 1
		.amdhsa_user_sgpr_dispatch_id 0
		.amdhsa_user_sgpr_flat_scratch_init 1
		.amdhsa_user_sgpr_kernarg_preload_length 0
		.amdhsa_user_sgpr_kernarg_preload_offset 0
		.amdhsa_user_sgpr_private_segment_size 0
		.amdhsa_uses_dynamic_stack 0
		.amdhsa_system_sgpr_private_segment_wavefront_offset 1
		.amdhsa_system_sgpr_workgroup_id_x 1
		.amdhsa_system_sgpr_workgroup_id_y 0
		.amdhsa_system_sgpr_workgroup_id_z 0
		.amdhsa_system_sgpr_workgroup_info 0
		.amdhsa_system_vgpr_workitem_id 0
		.amdhsa_next_free_vgpr 41
		.amdhsa_next_free_sgpr 34
		.amdhsa_accum_offset 44
		.amdhsa_reserve_vcc 1
		.amdhsa_reserve_flat_scratch 1
		.amdhsa_float_round_mode_32 0
		.amdhsa_float_round_mode_16_64 0
		.amdhsa_float_denorm_mode_32 3
		.amdhsa_float_denorm_mode_16_64 3
		.amdhsa_dx10_clamp 1
		.amdhsa_ieee_mode 1
		.amdhsa_fp16_overflow 0
		.amdhsa_tg_split 0
		.amdhsa_exception_fp_ieee_invalid_op 0
		.amdhsa_exception_fp_denorm_src 0
		.amdhsa_exception_fp_ieee_div_zero 0
		.amdhsa_exception_fp_ieee_overflow 0
		.amdhsa_exception_fp_ieee_underflow 0
		.amdhsa_exception_fp_ieee_inexact 0
		.amdhsa_exception_int_div_zero 0
	.end_amdhsa_kernel
	.section	.text._ZL9mul_mat_fIfLi32ELi13ELi1ELb1EEvPKT_PKfPKiPfiiiiiiiiiiiiiiii,"axG",@progbits,_ZL9mul_mat_fIfLi32ELi13ELi1ELb1EEvPKT_PKfPKiPfiiiiiiiiiiiiiiii,comdat
.Lfunc_end4:
	.size	_ZL9mul_mat_fIfLi32ELi13ELi1ELb1EEvPKT_PKfPKiPfiiiiiiiiiiiiiiii, .Lfunc_end4-_ZL9mul_mat_fIfLi32ELi13ELi1ELb1EEvPKT_PKfPKiPfiiiiiiiiiiiiiiii
                                        ; -- End function
	.section	.AMDGPU.csdata,"",@progbits
; Kernel info:
; codeLenInByte = 88
; NumSgprs: 40
; NumVgprs: 41
; NumAgprs: 0
; TotalNumVgprs: 41
; ScratchSize: 16
; MemoryBound: 0
; FloatMode: 240
; IeeeMode: 1
; LDSByteSize: 0 bytes/workgroup (compile time only)
; SGPRBlocks: 4
; VGPRBlocks: 5
; NumSGPRsForWavesPerEU: 40
; NumVGPRsForWavesPerEU: 41
; AccumOffset: 44
; Occupancy: 8
; WaveLimiterHint : 1
; COMPUTE_PGM_RSRC2:SCRATCH_EN: 1
; COMPUTE_PGM_RSRC2:USER_SGPR: 8
; COMPUTE_PGM_RSRC2:TRAP_HANDLER: 0
; COMPUTE_PGM_RSRC2:TGID_X_EN: 1
; COMPUTE_PGM_RSRC2:TGID_Y_EN: 0
; COMPUTE_PGM_RSRC2:TGID_Z_EN: 0
; COMPUTE_PGM_RSRC2:TIDIG_COMP_CNT: 0
; COMPUTE_PGM_RSRC3_GFX90A:ACCUM_OFFSET: 10
; COMPUTE_PGM_RSRC3_GFX90A:TG_SPLIT: 0
	.section	.text._ZL9mul_mat_fIfLi32ELi13ELi1ELb0EEvPKT_PKfPKiPfiiiiiiiiiiiiiiii,"axG",@progbits,_ZL9mul_mat_fIfLi32ELi13ELi1ELb0EEvPKT_PKfPKiPfiiiiiiiiiiiiiiii,comdat
	.globl	_ZL9mul_mat_fIfLi32ELi13ELi1ELb0EEvPKT_PKfPKiPfiiiiiiiiiiiiiiii ; -- Begin function _ZL9mul_mat_fIfLi32ELi13ELi1ELb0EEvPKT_PKfPKiPfiiiiiiiiiiiiiiii
	.p2align	8
	.type	_ZL9mul_mat_fIfLi32ELi13ELi1ELb0EEvPKT_PKfPKiPfiiiiiiiiiiiiiiii,@function
_ZL9mul_mat_fIfLi32ELi13ELi1ELb0EEvPKT_PKfPKiPfiiiiiiiiiiiiiiii: ; @_ZL9mul_mat_fIfLi32ELi13ELi1ELb0EEvPKT_PKfPKiPfiiiiiiiiiiiiiiii
; %bb.0:
	s_add_u32 flat_scratch_lo, s6, s9
	s_addc_u32 flat_scratch_hi, s7, 0
	s_add_u32 s0, s0, s9
	s_addc_u32 s1, s1, 0
	s_add_u32 s8, s4, 0x60
	s_addc_u32 s9, s5, 0
	s_getpc_b64 s[4:5]
	s_add_u32 s4, s4, __FUNCTION__._ZL9mul_mat_fIfLi32ELi13ELi1ELb1EEvPKT_PKfPKiPfiiiiiiiiiiiiiiii@rel32@lo+4
	s_addc_u32 s5, s5, __FUNCTION__._ZL9mul_mat_fIfLi32ELi13ELi1ELb1EEvPKT_PKfPKiPfiiiiiiiiiiiiiiii@rel32@hi+12
	v_mov_b32_e32 v0, 64
	v_mov_b32_e32 v1, s4
	;; [unrolled: 1-line block ×3, first 2 shown]
	s_mov_b32 s32, 0
	s_getpc_b64 s[6:7]
	s_add_u32 s6, s6, _ZL14no_device_codePKciS0_iS0_@rel32@lo+4
	s_addc_u32 s7, s7, _ZL14no_device_codePKciS0_iS0_@rel32@hi+12
	s_swappc_b64 s[30:31], s[6:7]
	.section	.rodata,"a",@progbits
	.p2align	6, 0x0
	.amdhsa_kernel _ZL9mul_mat_fIfLi32ELi13ELi1ELb0EEvPKT_PKfPKiPfiiiiiiiiiiiiiiii
		.amdhsa_group_segment_fixed_size 0
		.amdhsa_private_segment_fixed_size 16
		.amdhsa_kernarg_size 352
		.amdhsa_user_sgpr_count 8
		.amdhsa_user_sgpr_private_segment_buffer 1
		.amdhsa_user_sgpr_dispatch_ptr 0
		.amdhsa_user_sgpr_queue_ptr 0
		.amdhsa_user_sgpr_kernarg_segment_ptr 1
		.amdhsa_user_sgpr_dispatch_id 0
		.amdhsa_user_sgpr_flat_scratch_init 1
		.amdhsa_user_sgpr_kernarg_preload_length 0
		.amdhsa_user_sgpr_kernarg_preload_offset 0
		.amdhsa_user_sgpr_private_segment_size 0
		.amdhsa_uses_dynamic_stack 0
		.amdhsa_system_sgpr_private_segment_wavefront_offset 1
		.amdhsa_system_sgpr_workgroup_id_x 1
		.amdhsa_system_sgpr_workgroup_id_y 0
		.amdhsa_system_sgpr_workgroup_id_z 0
		.amdhsa_system_sgpr_workgroup_info 0
		.amdhsa_system_vgpr_workitem_id 0
		.amdhsa_next_free_vgpr 41
		.amdhsa_next_free_sgpr 34
		.amdhsa_accum_offset 44
		.amdhsa_reserve_vcc 1
		.amdhsa_reserve_flat_scratch 1
		.amdhsa_float_round_mode_32 0
		.amdhsa_float_round_mode_16_64 0
		.amdhsa_float_denorm_mode_32 3
		.amdhsa_float_denorm_mode_16_64 3
		.amdhsa_dx10_clamp 1
		.amdhsa_ieee_mode 1
		.amdhsa_fp16_overflow 0
		.amdhsa_tg_split 0
		.amdhsa_exception_fp_ieee_invalid_op 0
		.amdhsa_exception_fp_denorm_src 0
		.amdhsa_exception_fp_ieee_div_zero 0
		.amdhsa_exception_fp_ieee_overflow 0
		.amdhsa_exception_fp_ieee_underflow 0
		.amdhsa_exception_fp_ieee_inexact 0
		.amdhsa_exception_int_div_zero 0
	.end_amdhsa_kernel
	.section	.text._ZL9mul_mat_fIfLi32ELi13ELi1ELb0EEvPKT_PKfPKiPfiiiiiiiiiiiiiiii,"axG",@progbits,_ZL9mul_mat_fIfLi32ELi13ELi1ELb0EEvPKT_PKfPKiPfiiiiiiiiiiiiiiii,comdat
.Lfunc_end5:
	.size	_ZL9mul_mat_fIfLi32ELi13ELi1ELb0EEvPKT_PKfPKiPfiiiiiiiiiiiiiiii, .Lfunc_end5-_ZL9mul_mat_fIfLi32ELi13ELi1ELb0EEvPKT_PKfPKiPfiiiiiiiiiiiiiiii
                                        ; -- End function
	.section	.AMDGPU.csdata,"",@progbits
; Kernel info:
; codeLenInByte = 88
; NumSgprs: 40
; NumVgprs: 41
; NumAgprs: 0
; TotalNumVgprs: 41
; ScratchSize: 16
; MemoryBound: 0
; FloatMode: 240
; IeeeMode: 1
; LDSByteSize: 0 bytes/workgroup (compile time only)
; SGPRBlocks: 4
; VGPRBlocks: 5
; NumSGPRsForWavesPerEU: 40
; NumVGPRsForWavesPerEU: 41
; AccumOffset: 44
; Occupancy: 8
; WaveLimiterHint : 1
; COMPUTE_PGM_RSRC2:SCRATCH_EN: 1
; COMPUTE_PGM_RSRC2:USER_SGPR: 8
; COMPUTE_PGM_RSRC2:TRAP_HANDLER: 0
; COMPUTE_PGM_RSRC2:TGID_X_EN: 1
; COMPUTE_PGM_RSRC2:TGID_Y_EN: 0
; COMPUTE_PGM_RSRC2:TGID_Z_EN: 0
; COMPUTE_PGM_RSRC2:TIDIG_COMP_CNT: 0
; COMPUTE_PGM_RSRC3_GFX90A:ACCUM_OFFSET: 10
; COMPUTE_PGM_RSRC3_GFX90A:TG_SPLIT: 0
	.section	.text._ZL13mul_mat_f_idsIfLi32ELi13ELi2EEvPKT_PKfPKiS6_S6_Pfiiiiiiiiiiiiii15HIP_vector_typeIjLj3EES9_,"axG",@progbits,_ZL13mul_mat_f_idsIfLi32ELi13ELi2EEvPKT_PKfPKiS6_S6_Pfiiiiiiiiiiiiii15HIP_vector_typeIjLj3EES9_,comdat
	.globl	_ZL13mul_mat_f_idsIfLi32ELi13ELi2EEvPKT_PKfPKiS6_S6_Pfiiiiiiiiiiiiii15HIP_vector_typeIjLj3EES9_ ; -- Begin function _ZL13mul_mat_f_idsIfLi32ELi13ELi2EEvPKT_PKfPKiS6_S6_Pfiiiiiiiiiiiiii15HIP_vector_typeIjLj3EES9_
	.p2align	8
	.type	_ZL13mul_mat_f_idsIfLi32ELi13ELi2EEvPKT_PKfPKiS6_S6_Pfiiiiiiiiiiiiii15HIP_vector_typeIjLj3EES9_,@function
_ZL13mul_mat_f_idsIfLi32ELi13ELi2EEvPKT_PKfPKiS6_S6_Pfiiiiiiiiiiiiii15HIP_vector_typeIjLj3EES9_: ; @_ZL13mul_mat_f_idsIfLi32ELi13ELi2EEvPKT_PKfPKiS6_S6_Pfiiiiiiiiiiiiii15HIP_vector_typeIjLj3EES9_
; %bb.0:
	s_add_u32 flat_scratch_lo, s6, s9
	s_addc_u32 flat_scratch_hi, s7, 0
	s_add_u32 s0, s0, s9
	s_addc_u32 s1, s1, 0
	s_add_u32 s8, s4, 0x80
	s_addc_u32 s9, s5, 0
	s_getpc_b64 s[4:5]
	s_add_u32 s4, s4, __FUNCTION__._ZL13mul_mat_f_idsIfLi32ELi13ELi1EEvPKT_PKfPKiS6_S6_Pfiiiiiiiiiiiiii15HIP_vector_typeIjLj3EES9_@rel32@lo+4
	s_addc_u32 s5, s5, __FUNCTION__._ZL13mul_mat_f_idsIfLi32ELi13ELi1EEvPKT_PKfPKiS6_S6_Pfiiiiiiiiiiiiii15HIP_vector_typeIjLj3EES9_@rel32@hi+12
	v_mov_b32_e32 v0, 0x13b
	v_mov_b32_e32 v1, s4
	;; [unrolled: 1-line block ×3, first 2 shown]
	s_mov_b32 s32, 0
	s_getpc_b64 s[6:7]
	s_add_u32 s6, s6, _ZL14no_device_codePKciS0_iS0_@rel32@lo+4
	s_addc_u32 s7, s7, _ZL14no_device_codePKciS0_iS0_@rel32@hi+12
	s_swappc_b64 s[30:31], s[6:7]
	.section	.rodata,"a",@progbits
	.p2align	6, 0x0
	.amdhsa_kernel _ZL13mul_mat_f_idsIfLi32ELi13ELi2EEvPKT_PKfPKiS6_S6_Pfiiiiiiiiiiiiii15HIP_vector_typeIjLj3EES9_
		.amdhsa_group_segment_fixed_size 0
		.amdhsa_private_segment_fixed_size 16
		.amdhsa_kernarg_size 384
		.amdhsa_user_sgpr_count 8
		.amdhsa_user_sgpr_private_segment_buffer 1
		.amdhsa_user_sgpr_dispatch_ptr 0
		.amdhsa_user_sgpr_queue_ptr 0
		.amdhsa_user_sgpr_kernarg_segment_ptr 1
		.amdhsa_user_sgpr_dispatch_id 0
		.amdhsa_user_sgpr_flat_scratch_init 1
		.amdhsa_user_sgpr_kernarg_preload_length 0
		.amdhsa_user_sgpr_kernarg_preload_offset 0
		.amdhsa_user_sgpr_private_segment_size 0
		.amdhsa_uses_dynamic_stack 0
		.amdhsa_system_sgpr_private_segment_wavefront_offset 1
		.amdhsa_system_sgpr_workgroup_id_x 1
		.amdhsa_system_sgpr_workgroup_id_y 0
		.amdhsa_system_sgpr_workgroup_id_z 0
		.amdhsa_system_sgpr_workgroup_info 0
		.amdhsa_system_vgpr_workitem_id 0
		.amdhsa_next_free_vgpr 41
		.amdhsa_next_free_sgpr 34
		.amdhsa_accum_offset 44
		.amdhsa_reserve_vcc 1
		.amdhsa_reserve_flat_scratch 1
		.amdhsa_float_round_mode_32 0
		.amdhsa_float_round_mode_16_64 0
		.amdhsa_float_denorm_mode_32 3
		.amdhsa_float_denorm_mode_16_64 3
		.amdhsa_dx10_clamp 1
		.amdhsa_ieee_mode 1
		.amdhsa_fp16_overflow 0
		.amdhsa_tg_split 0
		.amdhsa_exception_fp_ieee_invalid_op 0
		.amdhsa_exception_fp_denorm_src 0
		.amdhsa_exception_fp_ieee_div_zero 0
		.amdhsa_exception_fp_ieee_overflow 0
		.amdhsa_exception_fp_ieee_underflow 0
		.amdhsa_exception_fp_ieee_inexact 0
		.amdhsa_exception_int_div_zero 0
	.end_amdhsa_kernel
	.section	.text._ZL13mul_mat_f_idsIfLi32ELi13ELi2EEvPKT_PKfPKiS6_S6_Pfiiiiiiiiiiiiii15HIP_vector_typeIjLj3EES9_,"axG",@progbits,_ZL13mul_mat_f_idsIfLi32ELi13ELi2EEvPKT_PKfPKiS6_S6_Pfiiiiiiiiiiiiii15HIP_vector_typeIjLj3EES9_,comdat
.Lfunc_end6:
	.size	_ZL13mul_mat_f_idsIfLi32ELi13ELi2EEvPKT_PKfPKiS6_S6_Pfiiiiiiiiiiiiii15HIP_vector_typeIjLj3EES9_, .Lfunc_end6-_ZL13mul_mat_f_idsIfLi32ELi13ELi2EEvPKT_PKfPKiS6_S6_Pfiiiiiiiiiiiiii15HIP_vector_typeIjLj3EES9_
                                        ; -- End function
	.section	.AMDGPU.csdata,"",@progbits
; Kernel info:
; codeLenInByte = 92
; NumSgprs: 40
; NumVgprs: 41
; NumAgprs: 0
; TotalNumVgprs: 41
; ScratchSize: 16
; MemoryBound: 0
; FloatMode: 240
; IeeeMode: 1
; LDSByteSize: 0 bytes/workgroup (compile time only)
; SGPRBlocks: 4
; VGPRBlocks: 5
; NumSGPRsForWavesPerEU: 40
; NumVGPRsForWavesPerEU: 41
; AccumOffset: 44
; Occupancy: 8
; WaveLimiterHint : 1
; COMPUTE_PGM_RSRC2:SCRATCH_EN: 1
; COMPUTE_PGM_RSRC2:USER_SGPR: 8
; COMPUTE_PGM_RSRC2:TRAP_HANDLER: 0
; COMPUTE_PGM_RSRC2:TGID_X_EN: 1
; COMPUTE_PGM_RSRC2:TGID_Y_EN: 0
; COMPUTE_PGM_RSRC2:TGID_Z_EN: 0
; COMPUTE_PGM_RSRC2:TIDIG_COMP_CNT: 0
; COMPUTE_PGM_RSRC3_GFX90A:ACCUM_OFFSET: 10
; COMPUTE_PGM_RSRC3_GFX90A:TG_SPLIT: 0
	.section	.text._ZL9mul_mat_fIfLi32ELi13ELi2ELb1EEvPKT_PKfPKiPfiiiiiiiiiiiiiiii,"axG",@progbits,_ZL9mul_mat_fIfLi32ELi13ELi2ELb1EEvPKT_PKfPKiPfiiiiiiiiiiiiiiii,comdat
	.globl	_ZL9mul_mat_fIfLi32ELi13ELi2ELb1EEvPKT_PKfPKiPfiiiiiiiiiiiiiiii ; -- Begin function _ZL9mul_mat_fIfLi32ELi13ELi2ELb1EEvPKT_PKfPKiPfiiiiiiiiiiiiiiii
	.p2align	8
	.type	_ZL9mul_mat_fIfLi32ELi13ELi2ELb1EEvPKT_PKfPKiPfiiiiiiiiiiiiiiii,@function
_ZL9mul_mat_fIfLi32ELi13ELi2ELb1EEvPKT_PKfPKiPfiiiiiiiiiiiiiiii: ; @_ZL9mul_mat_fIfLi32ELi13ELi2ELb1EEvPKT_PKfPKiPfiiiiiiiiiiiiiiii
; %bb.0:
	s_add_u32 flat_scratch_lo, s6, s9
	s_addc_u32 flat_scratch_hi, s7, 0
	s_add_u32 s0, s0, s9
	s_addc_u32 s1, s1, 0
	s_add_u32 s8, s4, 0x60
	s_addc_u32 s9, s5, 0
	s_getpc_b64 s[4:5]
	s_add_u32 s4, s4, __FUNCTION__._ZL9mul_mat_fIfLi32ELi13ELi1ELb1EEvPKT_PKfPKiPfiiiiiiiiiiiiiiii@rel32@lo+4
	s_addc_u32 s5, s5, __FUNCTION__._ZL9mul_mat_fIfLi32ELi13ELi1ELb1EEvPKT_PKfPKiPfiiiiiiiiiiiiiiii@rel32@hi+12
	v_mov_b32_e32 v0, 64
	v_mov_b32_e32 v1, s4
	v_mov_b32_e32 v2, s5
	s_mov_b32 s32, 0
	s_getpc_b64 s[6:7]
	s_add_u32 s6, s6, _ZL14no_device_codePKciS0_iS0_@rel32@lo+4
	s_addc_u32 s7, s7, _ZL14no_device_codePKciS0_iS0_@rel32@hi+12
	s_swappc_b64 s[30:31], s[6:7]
	.section	.rodata,"a",@progbits
	.p2align	6, 0x0
	.amdhsa_kernel _ZL9mul_mat_fIfLi32ELi13ELi2ELb1EEvPKT_PKfPKiPfiiiiiiiiiiiiiiii
		.amdhsa_group_segment_fixed_size 0
		.amdhsa_private_segment_fixed_size 16
		.amdhsa_kernarg_size 352
		.amdhsa_user_sgpr_count 8
		.amdhsa_user_sgpr_private_segment_buffer 1
		.amdhsa_user_sgpr_dispatch_ptr 0
		.amdhsa_user_sgpr_queue_ptr 0
		.amdhsa_user_sgpr_kernarg_segment_ptr 1
		.amdhsa_user_sgpr_dispatch_id 0
		.amdhsa_user_sgpr_flat_scratch_init 1
		.amdhsa_user_sgpr_kernarg_preload_length 0
		.amdhsa_user_sgpr_kernarg_preload_offset 0
		.amdhsa_user_sgpr_private_segment_size 0
		.amdhsa_uses_dynamic_stack 0
		.amdhsa_system_sgpr_private_segment_wavefront_offset 1
		.amdhsa_system_sgpr_workgroup_id_x 1
		.amdhsa_system_sgpr_workgroup_id_y 0
		.amdhsa_system_sgpr_workgroup_id_z 0
		.amdhsa_system_sgpr_workgroup_info 0
		.amdhsa_system_vgpr_workitem_id 0
		.amdhsa_next_free_vgpr 41
		.amdhsa_next_free_sgpr 34
		.amdhsa_accum_offset 44
		.amdhsa_reserve_vcc 1
		.amdhsa_reserve_flat_scratch 1
		.amdhsa_float_round_mode_32 0
		.amdhsa_float_round_mode_16_64 0
		.amdhsa_float_denorm_mode_32 3
		.amdhsa_float_denorm_mode_16_64 3
		.amdhsa_dx10_clamp 1
		.amdhsa_ieee_mode 1
		.amdhsa_fp16_overflow 0
		.amdhsa_tg_split 0
		.amdhsa_exception_fp_ieee_invalid_op 0
		.amdhsa_exception_fp_denorm_src 0
		.amdhsa_exception_fp_ieee_div_zero 0
		.amdhsa_exception_fp_ieee_overflow 0
		.amdhsa_exception_fp_ieee_underflow 0
		.amdhsa_exception_fp_ieee_inexact 0
		.amdhsa_exception_int_div_zero 0
	.end_amdhsa_kernel
	.section	.text._ZL9mul_mat_fIfLi32ELi13ELi2ELb1EEvPKT_PKfPKiPfiiiiiiiiiiiiiiii,"axG",@progbits,_ZL9mul_mat_fIfLi32ELi13ELi2ELb1EEvPKT_PKfPKiPfiiiiiiiiiiiiiiii,comdat
.Lfunc_end7:
	.size	_ZL9mul_mat_fIfLi32ELi13ELi2ELb1EEvPKT_PKfPKiPfiiiiiiiiiiiiiiii, .Lfunc_end7-_ZL9mul_mat_fIfLi32ELi13ELi2ELb1EEvPKT_PKfPKiPfiiiiiiiiiiiiiiii
                                        ; -- End function
	.section	.AMDGPU.csdata,"",@progbits
; Kernel info:
; codeLenInByte = 88
; NumSgprs: 40
; NumVgprs: 41
; NumAgprs: 0
; TotalNumVgprs: 41
; ScratchSize: 16
; MemoryBound: 0
; FloatMode: 240
; IeeeMode: 1
; LDSByteSize: 0 bytes/workgroup (compile time only)
; SGPRBlocks: 4
; VGPRBlocks: 5
; NumSGPRsForWavesPerEU: 40
; NumVGPRsForWavesPerEU: 41
; AccumOffset: 44
; Occupancy: 8
; WaveLimiterHint : 1
; COMPUTE_PGM_RSRC2:SCRATCH_EN: 1
; COMPUTE_PGM_RSRC2:USER_SGPR: 8
; COMPUTE_PGM_RSRC2:TRAP_HANDLER: 0
; COMPUTE_PGM_RSRC2:TGID_X_EN: 1
; COMPUTE_PGM_RSRC2:TGID_Y_EN: 0
; COMPUTE_PGM_RSRC2:TGID_Z_EN: 0
; COMPUTE_PGM_RSRC2:TIDIG_COMP_CNT: 0
; COMPUTE_PGM_RSRC3_GFX90A:ACCUM_OFFSET: 10
; COMPUTE_PGM_RSRC3_GFX90A:TG_SPLIT: 0
	.section	.text._ZL9mul_mat_fIfLi32ELi13ELi2ELb0EEvPKT_PKfPKiPfiiiiiiiiiiiiiiii,"axG",@progbits,_ZL9mul_mat_fIfLi32ELi13ELi2ELb0EEvPKT_PKfPKiPfiiiiiiiiiiiiiiii,comdat
	.globl	_ZL9mul_mat_fIfLi32ELi13ELi2ELb0EEvPKT_PKfPKiPfiiiiiiiiiiiiiiii ; -- Begin function _ZL9mul_mat_fIfLi32ELi13ELi2ELb0EEvPKT_PKfPKiPfiiiiiiiiiiiiiiii
	.p2align	8
	.type	_ZL9mul_mat_fIfLi32ELi13ELi2ELb0EEvPKT_PKfPKiPfiiiiiiiiiiiiiiii,@function
_ZL9mul_mat_fIfLi32ELi13ELi2ELb0EEvPKT_PKfPKiPfiiiiiiiiiiiiiiii: ; @_ZL9mul_mat_fIfLi32ELi13ELi2ELb0EEvPKT_PKfPKiPfiiiiiiiiiiiiiiii
; %bb.0:
	s_add_u32 flat_scratch_lo, s6, s9
	s_addc_u32 flat_scratch_hi, s7, 0
	s_add_u32 s0, s0, s9
	s_addc_u32 s1, s1, 0
	s_add_u32 s8, s4, 0x60
	s_addc_u32 s9, s5, 0
	s_getpc_b64 s[4:5]
	s_add_u32 s4, s4, __FUNCTION__._ZL9mul_mat_fIfLi32ELi13ELi1ELb1EEvPKT_PKfPKiPfiiiiiiiiiiiiiiii@rel32@lo+4
	s_addc_u32 s5, s5, __FUNCTION__._ZL9mul_mat_fIfLi32ELi13ELi1ELb1EEvPKT_PKfPKiPfiiiiiiiiiiiiiiii@rel32@hi+12
	v_mov_b32_e32 v0, 64
	v_mov_b32_e32 v1, s4
	;; [unrolled: 1-line block ×3, first 2 shown]
	s_mov_b32 s32, 0
	s_getpc_b64 s[6:7]
	s_add_u32 s6, s6, _ZL14no_device_codePKciS0_iS0_@rel32@lo+4
	s_addc_u32 s7, s7, _ZL14no_device_codePKciS0_iS0_@rel32@hi+12
	s_swappc_b64 s[30:31], s[6:7]
	.section	.rodata,"a",@progbits
	.p2align	6, 0x0
	.amdhsa_kernel _ZL9mul_mat_fIfLi32ELi13ELi2ELb0EEvPKT_PKfPKiPfiiiiiiiiiiiiiiii
		.amdhsa_group_segment_fixed_size 0
		.amdhsa_private_segment_fixed_size 16
		.amdhsa_kernarg_size 352
		.amdhsa_user_sgpr_count 8
		.amdhsa_user_sgpr_private_segment_buffer 1
		.amdhsa_user_sgpr_dispatch_ptr 0
		.amdhsa_user_sgpr_queue_ptr 0
		.amdhsa_user_sgpr_kernarg_segment_ptr 1
		.amdhsa_user_sgpr_dispatch_id 0
		.amdhsa_user_sgpr_flat_scratch_init 1
		.amdhsa_user_sgpr_kernarg_preload_length 0
		.amdhsa_user_sgpr_kernarg_preload_offset 0
		.amdhsa_user_sgpr_private_segment_size 0
		.amdhsa_uses_dynamic_stack 0
		.amdhsa_system_sgpr_private_segment_wavefront_offset 1
		.amdhsa_system_sgpr_workgroup_id_x 1
		.amdhsa_system_sgpr_workgroup_id_y 0
		.amdhsa_system_sgpr_workgroup_id_z 0
		.amdhsa_system_sgpr_workgroup_info 0
		.amdhsa_system_vgpr_workitem_id 0
		.amdhsa_next_free_vgpr 41
		.amdhsa_next_free_sgpr 34
		.amdhsa_accum_offset 44
		.amdhsa_reserve_vcc 1
		.amdhsa_reserve_flat_scratch 1
		.amdhsa_float_round_mode_32 0
		.amdhsa_float_round_mode_16_64 0
		.amdhsa_float_denorm_mode_32 3
		.amdhsa_float_denorm_mode_16_64 3
		.amdhsa_dx10_clamp 1
		.amdhsa_ieee_mode 1
		.amdhsa_fp16_overflow 0
		.amdhsa_tg_split 0
		.amdhsa_exception_fp_ieee_invalid_op 0
		.amdhsa_exception_fp_denorm_src 0
		.amdhsa_exception_fp_ieee_div_zero 0
		.amdhsa_exception_fp_ieee_overflow 0
		.amdhsa_exception_fp_ieee_underflow 0
		.amdhsa_exception_fp_ieee_inexact 0
		.amdhsa_exception_int_div_zero 0
	.end_amdhsa_kernel
	.section	.text._ZL9mul_mat_fIfLi32ELi13ELi2ELb0EEvPKT_PKfPKiPfiiiiiiiiiiiiiiii,"axG",@progbits,_ZL9mul_mat_fIfLi32ELi13ELi2ELb0EEvPKT_PKfPKiPfiiiiiiiiiiiiiiii,comdat
.Lfunc_end8:
	.size	_ZL9mul_mat_fIfLi32ELi13ELi2ELb0EEvPKT_PKfPKiPfiiiiiiiiiiiiiiii, .Lfunc_end8-_ZL9mul_mat_fIfLi32ELi13ELi2ELb0EEvPKT_PKfPKiPfiiiiiiiiiiiiiiii
                                        ; -- End function
	.section	.AMDGPU.csdata,"",@progbits
; Kernel info:
; codeLenInByte = 88
; NumSgprs: 40
; NumVgprs: 41
; NumAgprs: 0
; TotalNumVgprs: 41
; ScratchSize: 16
; MemoryBound: 0
; FloatMode: 240
; IeeeMode: 1
; LDSByteSize: 0 bytes/workgroup (compile time only)
; SGPRBlocks: 4
; VGPRBlocks: 5
; NumSGPRsForWavesPerEU: 40
; NumVGPRsForWavesPerEU: 41
; AccumOffset: 44
; Occupancy: 8
; WaveLimiterHint : 1
; COMPUTE_PGM_RSRC2:SCRATCH_EN: 1
; COMPUTE_PGM_RSRC2:USER_SGPR: 8
; COMPUTE_PGM_RSRC2:TRAP_HANDLER: 0
; COMPUTE_PGM_RSRC2:TGID_X_EN: 1
; COMPUTE_PGM_RSRC2:TGID_Y_EN: 0
; COMPUTE_PGM_RSRC2:TGID_Z_EN: 0
; COMPUTE_PGM_RSRC2:TIDIG_COMP_CNT: 0
; COMPUTE_PGM_RSRC3_GFX90A:ACCUM_OFFSET: 10
; COMPUTE_PGM_RSRC3_GFX90A:TG_SPLIT: 0
	.section	.text._ZL13mul_mat_f_idsIfLi32ELi13ELi3EEvPKT_PKfPKiS6_S6_Pfiiiiiiiiiiiiii15HIP_vector_typeIjLj3EES9_,"axG",@progbits,_ZL13mul_mat_f_idsIfLi32ELi13ELi3EEvPKT_PKfPKiS6_S6_Pfiiiiiiiiiiiiii15HIP_vector_typeIjLj3EES9_,comdat
	.globl	_ZL13mul_mat_f_idsIfLi32ELi13ELi3EEvPKT_PKfPKiS6_S6_Pfiiiiiiiiiiiiii15HIP_vector_typeIjLj3EES9_ ; -- Begin function _ZL13mul_mat_f_idsIfLi32ELi13ELi3EEvPKT_PKfPKiS6_S6_Pfiiiiiiiiiiiiii15HIP_vector_typeIjLj3EES9_
	.p2align	8
	.type	_ZL13mul_mat_f_idsIfLi32ELi13ELi3EEvPKT_PKfPKiS6_S6_Pfiiiiiiiiiiiiii15HIP_vector_typeIjLj3EES9_,@function
_ZL13mul_mat_f_idsIfLi32ELi13ELi3EEvPKT_PKfPKiS6_S6_Pfiiiiiiiiiiiiii15HIP_vector_typeIjLj3EES9_: ; @_ZL13mul_mat_f_idsIfLi32ELi13ELi3EEvPKT_PKfPKiS6_S6_Pfiiiiiiiiiiiiii15HIP_vector_typeIjLj3EES9_
; %bb.0:
	s_add_u32 flat_scratch_lo, s6, s9
	s_addc_u32 flat_scratch_hi, s7, 0
	s_add_u32 s0, s0, s9
	s_addc_u32 s1, s1, 0
	s_add_u32 s8, s4, 0x80
	s_addc_u32 s9, s5, 0
	s_getpc_b64 s[4:5]
	s_add_u32 s4, s4, __FUNCTION__._ZL13mul_mat_f_idsIfLi32ELi13ELi1EEvPKT_PKfPKiS6_S6_Pfiiiiiiiiiiiiii15HIP_vector_typeIjLj3EES9_@rel32@lo+4
	s_addc_u32 s5, s5, __FUNCTION__._ZL13mul_mat_f_idsIfLi32ELi13ELi1EEvPKT_PKfPKiS6_S6_Pfiiiiiiiiiiiiii15HIP_vector_typeIjLj3EES9_@rel32@hi+12
	v_mov_b32_e32 v0, 0x13b
	v_mov_b32_e32 v1, s4
	v_mov_b32_e32 v2, s5
	s_mov_b32 s32, 0
	s_getpc_b64 s[6:7]
	s_add_u32 s6, s6, _ZL14no_device_codePKciS0_iS0_@rel32@lo+4
	s_addc_u32 s7, s7, _ZL14no_device_codePKciS0_iS0_@rel32@hi+12
	s_swappc_b64 s[30:31], s[6:7]
	.section	.rodata,"a",@progbits
	.p2align	6, 0x0
	.amdhsa_kernel _ZL13mul_mat_f_idsIfLi32ELi13ELi3EEvPKT_PKfPKiS6_S6_Pfiiiiiiiiiiiiii15HIP_vector_typeIjLj3EES9_
		.amdhsa_group_segment_fixed_size 0
		.amdhsa_private_segment_fixed_size 16
		.amdhsa_kernarg_size 384
		.amdhsa_user_sgpr_count 8
		.amdhsa_user_sgpr_private_segment_buffer 1
		.amdhsa_user_sgpr_dispatch_ptr 0
		.amdhsa_user_sgpr_queue_ptr 0
		.amdhsa_user_sgpr_kernarg_segment_ptr 1
		.amdhsa_user_sgpr_dispatch_id 0
		.amdhsa_user_sgpr_flat_scratch_init 1
		.amdhsa_user_sgpr_kernarg_preload_length 0
		.amdhsa_user_sgpr_kernarg_preload_offset 0
		.amdhsa_user_sgpr_private_segment_size 0
		.amdhsa_uses_dynamic_stack 0
		.amdhsa_system_sgpr_private_segment_wavefront_offset 1
		.amdhsa_system_sgpr_workgroup_id_x 1
		.amdhsa_system_sgpr_workgroup_id_y 0
		.amdhsa_system_sgpr_workgroup_id_z 0
		.amdhsa_system_sgpr_workgroup_info 0
		.amdhsa_system_vgpr_workitem_id 0
		.amdhsa_next_free_vgpr 41
		.amdhsa_next_free_sgpr 34
		.amdhsa_accum_offset 44
		.amdhsa_reserve_vcc 1
		.amdhsa_reserve_flat_scratch 1
		.amdhsa_float_round_mode_32 0
		.amdhsa_float_round_mode_16_64 0
		.amdhsa_float_denorm_mode_32 3
		.amdhsa_float_denorm_mode_16_64 3
		.amdhsa_dx10_clamp 1
		.amdhsa_ieee_mode 1
		.amdhsa_fp16_overflow 0
		.amdhsa_tg_split 0
		.amdhsa_exception_fp_ieee_invalid_op 0
		.amdhsa_exception_fp_denorm_src 0
		.amdhsa_exception_fp_ieee_div_zero 0
		.amdhsa_exception_fp_ieee_overflow 0
		.amdhsa_exception_fp_ieee_underflow 0
		.amdhsa_exception_fp_ieee_inexact 0
		.amdhsa_exception_int_div_zero 0
	.end_amdhsa_kernel
	.section	.text._ZL13mul_mat_f_idsIfLi32ELi13ELi3EEvPKT_PKfPKiS6_S6_Pfiiiiiiiiiiiiii15HIP_vector_typeIjLj3EES9_,"axG",@progbits,_ZL13mul_mat_f_idsIfLi32ELi13ELi3EEvPKT_PKfPKiS6_S6_Pfiiiiiiiiiiiiii15HIP_vector_typeIjLj3EES9_,comdat
.Lfunc_end9:
	.size	_ZL13mul_mat_f_idsIfLi32ELi13ELi3EEvPKT_PKfPKiS6_S6_Pfiiiiiiiiiiiiii15HIP_vector_typeIjLj3EES9_, .Lfunc_end9-_ZL13mul_mat_f_idsIfLi32ELi13ELi3EEvPKT_PKfPKiS6_S6_Pfiiiiiiiiiiiiii15HIP_vector_typeIjLj3EES9_
                                        ; -- End function
	.section	.AMDGPU.csdata,"",@progbits
; Kernel info:
; codeLenInByte = 92
; NumSgprs: 40
; NumVgprs: 41
; NumAgprs: 0
; TotalNumVgprs: 41
; ScratchSize: 16
; MemoryBound: 0
; FloatMode: 240
; IeeeMode: 1
; LDSByteSize: 0 bytes/workgroup (compile time only)
; SGPRBlocks: 4
; VGPRBlocks: 5
; NumSGPRsForWavesPerEU: 40
; NumVGPRsForWavesPerEU: 41
; AccumOffset: 44
; Occupancy: 8
; WaveLimiterHint : 1
; COMPUTE_PGM_RSRC2:SCRATCH_EN: 1
; COMPUTE_PGM_RSRC2:USER_SGPR: 8
; COMPUTE_PGM_RSRC2:TRAP_HANDLER: 0
; COMPUTE_PGM_RSRC2:TGID_X_EN: 1
; COMPUTE_PGM_RSRC2:TGID_Y_EN: 0
; COMPUTE_PGM_RSRC2:TGID_Z_EN: 0
; COMPUTE_PGM_RSRC2:TIDIG_COMP_CNT: 0
; COMPUTE_PGM_RSRC3_GFX90A:ACCUM_OFFSET: 10
; COMPUTE_PGM_RSRC3_GFX90A:TG_SPLIT: 0
	.section	.text._ZL9mul_mat_fIfLi32ELi13ELi3ELb1EEvPKT_PKfPKiPfiiiiiiiiiiiiiiii,"axG",@progbits,_ZL9mul_mat_fIfLi32ELi13ELi3ELb1EEvPKT_PKfPKiPfiiiiiiiiiiiiiiii,comdat
	.globl	_ZL9mul_mat_fIfLi32ELi13ELi3ELb1EEvPKT_PKfPKiPfiiiiiiiiiiiiiiii ; -- Begin function _ZL9mul_mat_fIfLi32ELi13ELi3ELb1EEvPKT_PKfPKiPfiiiiiiiiiiiiiiii
	.p2align	8
	.type	_ZL9mul_mat_fIfLi32ELi13ELi3ELb1EEvPKT_PKfPKiPfiiiiiiiiiiiiiiii,@function
_ZL9mul_mat_fIfLi32ELi13ELi3ELb1EEvPKT_PKfPKiPfiiiiiiiiiiiiiiii: ; @_ZL9mul_mat_fIfLi32ELi13ELi3ELb1EEvPKT_PKfPKiPfiiiiiiiiiiiiiiii
; %bb.0:
	s_add_u32 flat_scratch_lo, s6, s9
	s_addc_u32 flat_scratch_hi, s7, 0
	s_add_u32 s0, s0, s9
	s_addc_u32 s1, s1, 0
	s_add_u32 s8, s4, 0x60
	s_addc_u32 s9, s5, 0
	s_getpc_b64 s[4:5]
	s_add_u32 s4, s4, __FUNCTION__._ZL9mul_mat_fIfLi32ELi13ELi1ELb1EEvPKT_PKfPKiPfiiiiiiiiiiiiiiii@rel32@lo+4
	s_addc_u32 s5, s5, __FUNCTION__._ZL9mul_mat_fIfLi32ELi13ELi1ELb1EEvPKT_PKfPKiPfiiiiiiiiiiiiiiii@rel32@hi+12
	v_mov_b32_e32 v0, 64
	v_mov_b32_e32 v1, s4
	;; [unrolled: 1-line block ×3, first 2 shown]
	s_mov_b32 s32, 0
	s_getpc_b64 s[6:7]
	s_add_u32 s6, s6, _ZL14no_device_codePKciS0_iS0_@rel32@lo+4
	s_addc_u32 s7, s7, _ZL14no_device_codePKciS0_iS0_@rel32@hi+12
	s_swappc_b64 s[30:31], s[6:7]
	.section	.rodata,"a",@progbits
	.p2align	6, 0x0
	.amdhsa_kernel _ZL9mul_mat_fIfLi32ELi13ELi3ELb1EEvPKT_PKfPKiPfiiiiiiiiiiiiiiii
		.amdhsa_group_segment_fixed_size 0
		.amdhsa_private_segment_fixed_size 16
		.amdhsa_kernarg_size 352
		.amdhsa_user_sgpr_count 8
		.amdhsa_user_sgpr_private_segment_buffer 1
		.amdhsa_user_sgpr_dispatch_ptr 0
		.amdhsa_user_sgpr_queue_ptr 0
		.amdhsa_user_sgpr_kernarg_segment_ptr 1
		.amdhsa_user_sgpr_dispatch_id 0
		.amdhsa_user_sgpr_flat_scratch_init 1
		.amdhsa_user_sgpr_kernarg_preload_length 0
		.amdhsa_user_sgpr_kernarg_preload_offset 0
		.amdhsa_user_sgpr_private_segment_size 0
		.amdhsa_uses_dynamic_stack 0
		.amdhsa_system_sgpr_private_segment_wavefront_offset 1
		.amdhsa_system_sgpr_workgroup_id_x 1
		.amdhsa_system_sgpr_workgroup_id_y 0
		.amdhsa_system_sgpr_workgroup_id_z 0
		.amdhsa_system_sgpr_workgroup_info 0
		.amdhsa_system_vgpr_workitem_id 0
		.amdhsa_next_free_vgpr 41
		.amdhsa_next_free_sgpr 34
		.amdhsa_accum_offset 44
		.amdhsa_reserve_vcc 1
		.amdhsa_reserve_flat_scratch 1
		.amdhsa_float_round_mode_32 0
		.amdhsa_float_round_mode_16_64 0
		.amdhsa_float_denorm_mode_32 3
		.amdhsa_float_denorm_mode_16_64 3
		.amdhsa_dx10_clamp 1
		.amdhsa_ieee_mode 1
		.amdhsa_fp16_overflow 0
		.amdhsa_tg_split 0
		.amdhsa_exception_fp_ieee_invalid_op 0
		.amdhsa_exception_fp_denorm_src 0
		.amdhsa_exception_fp_ieee_div_zero 0
		.amdhsa_exception_fp_ieee_overflow 0
		.amdhsa_exception_fp_ieee_underflow 0
		.amdhsa_exception_fp_ieee_inexact 0
		.amdhsa_exception_int_div_zero 0
	.end_amdhsa_kernel
	.section	.text._ZL9mul_mat_fIfLi32ELi13ELi3ELb1EEvPKT_PKfPKiPfiiiiiiiiiiiiiiii,"axG",@progbits,_ZL9mul_mat_fIfLi32ELi13ELi3ELb1EEvPKT_PKfPKiPfiiiiiiiiiiiiiiii,comdat
.Lfunc_end10:
	.size	_ZL9mul_mat_fIfLi32ELi13ELi3ELb1EEvPKT_PKfPKiPfiiiiiiiiiiiiiiii, .Lfunc_end10-_ZL9mul_mat_fIfLi32ELi13ELi3ELb1EEvPKT_PKfPKiPfiiiiiiiiiiiiiiii
                                        ; -- End function
	.section	.AMDGPU.csdata,"",@progbits
; Kernel info:
; codeLenInByte = 88
; NumSgprs: 40
; NumVgprs: 41
; NumAgprs: 0
; TotalNumVgprs: 41
; ScratchSize: 16
; MemoryBound: 0
; FloatMode: 240
; IeeeMode: 1
; LDSByteSize: 0 bytes/workgroup (compile time only)
; SGPRBlocks: 4
; VGPRBlocks: 5
; NumSGPRsForWavesPerEU: 40
; NumVGPRsForWavesPerEU: 41
; AccumOffset: 44
; Occupancy: 8
; WaveLimiterHint : 1
; COMPUTE_PGM_RSRC2:SCRATCH_EN: 1
; COMPUTE_PGM_RSRC2:USER_SGPR: 8
; COMPUTE_PGM_RSRC2:TRAP_HANDLER: 0
; COMPUTE_PGM_RSRC2:TGID_X_EN: 1
; COMPUTE_PGM_RSRC2:TGID_Y_EN: 0
; COMPUTE_PGM_RSRC2:TGID_Z_EN: 0
; COMPUTE_PGM_RSRC2:TIDIG_COMP_CNT: 0
; COMPUTE_PGM_RSRC3_GFX90A:ACCUM_OFFSET: 10
; COMPUTE_PGM_RSRC3_GFX90A:TG_SPLIT: 0
	.section	.text._ZL9mul_mat_fIfLi32ELi13ELi3ELb0EEvPKT_PKfPKiPfiiiiiiiiiiiiiiii,"axG",@progbits,_ZL9mul_mat_fIfLi32ELi13ELi3ELb0EEvPKT_PKfPKiPfiiiiiiiiiiiiiiii,comdat
	.globl	_ZL9mul_mat_fIfLi32ELi13ELi3ELb0EEvPKT_PKfPKiPfiiiiiiiiiiiiiiii ; -- Begin function _ZL9mul_mat_fIfLi32ELi13ELi3ELb0EEvPKT_PKfPKiPfiiiiiiiiiiiiiiii
	.p2align	8
	.type	_ZL9mul_mat_fIfLi32ELi13ELi3ELb0EEvPKT_PKfPKiPfiiiiiiiiiiiiiiii,@function
_ZL9mul_mat_fIfLi32ELi13ELi3ELb0EEvPKT_PKfPKiPfiiiiiiiiiiiiiiii: ; @_ZL9mul_mat_fIfLi32ELi13ELi3ELb0EEvPKT_PKfPKiPfiiiiiiiiiiiiiiii
; %bb.0:
	s_add_u32 flat_scratch_lo, s6, s9
	s_addc_u32 flat_scratch_hi, s7, 0
	s_add_u32 s0, s0, s9
	s_addc_u32 s1, s1, 0
	s_add_u32 s8, s4, 0x60
	s_addc_u32 s9, s5, 0
	s_getpc_b64 s[4:5]
	s_add_u32 s4, s4, __FUNCTION__._ZL9mul_mat_fIfLi32ELi13ELi1ELb1EEvPKT_PKfPKiPfiiiiiiiiiiiiiiii@rel32@lo+4
	s_addc_u32 s5, s5, __FUNCTION__._ZL9mul_mat_fIfLi32ELi13ELi1ELb1EEvPKT_PKfPKiPfiiiiiiiiiiiiiiii@rel32@hi+12
	v_mov_b32_e32 v0, 64
	v_mov_b32_e32 v1, s4
	;; [unrolled: 1-line block ×3, first 2 shown]
	s_mov_b32 s32, 0
	s_getpc_b64 s[6:7]
	s_add_u32 s6, s6, _ZL14no_device_codePKciS0_iS0_@rel32@lo+4
	s_addc_u32 s7, s7, _ZL14no_device_codePKciS0_iS0_@rel32@hi+12
	s_swappc_b64 s[30:31], s[6:7]
	.section	.rodata,"a",@progbits
	.p2align	6, 0x0
	.amdhsa_kernel _ZL9mul_mat_fIfLi32ELi13ELi3ELb0EEvPKT_PKfPKiPfiiiiiiiiiiiiiiii
		.amdhsa_group_segment_fixed_size 0
		.amdhsa_private_segment_fixed_size 16
		.amdhsa_kernarg_size 352
		.amdhsa_user_sgpr_count 8
		.amdhsa_user_sgpr_private_segment_buffer 1
		.amdhsa_user_sgpr_dispatch_ptr 0
		.amdhsa_user_sgpr_queue_ptr 0
		.amdhsa_user_sgpr_kernarg_segment_ptr 1
		.amdhsa_user_sgpr_dispatch_id 0
		.amdhsa_user_sgpr_flat_scratch_init 1
		.amdhsa_user_sgpr_kernarg_preload_length 0
		.amdhsa_user_sgpr_kernarg_preload_offset 0
		.amdhsa_user_sgpr_private_segment_size 0
		.amdhsa_uses_dynamic_stack 0
		.amdhsa_system_sgpr_private_segment_wavefront_offset 1
		.amdhsa_system_sgpr_workgroup_id_x 1
		.amdhsa_system_sgpr_workgroup_id_y 0
		.amdhsa_system_sgpr_workgroup_id_z 0
		.amdhsa_system_sgpr_workgroup_info 0
		.amdhsa_system_vgpr_workitem_id 0
		.amdhsa_next_free_vgpr 41
		.amdhsa_next_free_sgpr 34
		.amdhsa_accum_offset 44
		.amdhsa_reserve_vcc 1
		.amdhsa_reserve_flat_scratch 1
		.amdhsa_float_round_mode_32 0
		.amdhsa_float_round_mode_16_64 0
		.amdhsa_float_denorm_mode_32 3
		.amdhsa_float_denorm_mode_16_64 3
		.amdhsa_dx10_clamp 1
		.amdhsa_ieee_mode 1
		.amdhsa_fp16_overflow 0
		.amdhsa_tg_split 0
		.amdhsa_exception_fp_ieee_invalid_op 0
		.amdhsa_exception_fp_denorm_src 0
		.amdhsa_exception_fp_ieee_div_zero 0
		.amdhsa_exception_fp_ieee_overflow 0
		.amdhsa_exception_fp_ieee_underflow 0
		.amdhsa_exception_fp_ieee_inexact 0
		.amdhsa_exception_int_div_zero 0
	.end_amdhsa_kernel
	.section	.text._ZL9mul_mat_fIfLi32ELi13ELi3ELb0EEvPKT_PKfPKiPfiiiiiiiiiiiiiiii,"axG",@progbits,_ZL9mul_mat_fIfLi32ELi13ELi3ELb0EEvPKT_PKfPKiPfiiiiiiiiiiiiiiii,comdat
.Lfunc_end11:
	.size	_ZL9mul_mat_fIfLi32ELi13ELi3ELb0EEvPKT_PKfPKiPfiiiiiiiiiiiiiiii, .Lfunc_end11-_ZL9mul_mat_fIfLi32ELi13ELi3ELb0EEvPKT_PKfPKiPfiiiiiiiiiiiiiiii
                                        ; -- End function
	.section	.AMDGPU.csdata,"",@progbits
; Kernel info:
; codeLenInByte = 88
; NumSgprs: 40
; NumVgprs: 41
; NumAgprs: 0
; TotalNumVgprs: 41
; ScratchSize: 16
; MemoryBound: 0
; FloatMode: 240
; IeeeMode: 1
; LDSByteSize: 0 bytes/workgroup (compile time only)
; SGPRBlocks: 4
; VGPRBlocks: 5
; NumSGPRsForWavesPerEU: 40
; NumVGPRsForWavesPerEU: 41
; AccumOffset: 44
; Occupancy: 8
; WaveLimiterHint : 1
; COMPUTE_PGM_RSRC2:SCRATCH_EN: 1
; COMPUTE_PGM_RSRC2:USER_SGPR: 8
; COMPUTE_PGM_RSRC2:TRAP_HANDLER: 0
; COMPUTE_PGM_RSRC2:TGID_X_EN: 1
; COMPUTE_PGM_RSRC2:TGID_Y_EN: 0
; COMPUTE_PGM_RSRC2:TGID_Z_EN: 0
; COMPUTE_PGM_RSRC2:TIDIG_COMP_CNT: 0
; COMPUTE_PGM_RSRC3_GFX90A:ACCUM_OFFSET: 10
; COMPUTE_PGM_RSRC3_GFX90A:TG_SPLIT: 0
	.section	.text._ZL13mul_mat_f_idsIfLi32ELi13ELi4EEvPKT_PKfPKiS6_S6_Pfiiiiiiiiiiiiii15HIP_vector_typeIjLj3EES9_,"axG",@progbits,_ZL13mul_mat_f_idsIfLi32ELi13ELi4EEvPKT_PKfPKiS6_S6_Pfiiiiiiiiiiiiii15HIP_vector_typeIjLj3EES9_,comdat
	.globl	_ZL13mul_mat_f_idsIfLi32ELi13ELi4EEvPKT_PKfPKiS6_S6_Pfiiiiiiiiiiiiii15HIP_vector_typeIjLj3EES9_ ; -- Begin function _ZL13mul_mat_f_idsIfLi32ELi13ELi4EEvPKT_PKfPKiS6_S6_Pfiiiiiiiiiiiiii15HIP_vector_typeIjLj3EES9_
	.p2align	8
	.type	_ZL13mul_mat_f_idsIfLi32ELi13ELi4EEvPKT_PKfPKiS6_S6_Pfiiiiiiiiiiiiii15HIP_vector_typeIjLj3EES9_,@function
_ZL13mul_mat_f_idsIfLi32ELi13ELi4EEvPKT_PKfPKiS6_S6_Pfiiiiiiiiiiiiii15HIP_vector_typeIjLj3EES9_: ; @_ZL13mul_mat_f_idsIfLi32ELi13ELi4EEvPKT_PKfPKiS6_S6_Pfiiiiiiiiiiiiii15HIP_vector_typeIjLj3EES9_
; %bb.0:
	s_add_u32 flat_scratch_lo, s6, s9
	s_addc_u32 flat_scratch_hi, s7, 0
	s_add_u32 s0, s0, s9
	s_addc_u32 s1, s1, 0
	s_add_u32 s8, s4, 0x80
	s_addc_u32 s9, s5, 0
	s_getpc_b64 s[4:5]
	s_add_u32 s4, s4, __FUNCTION__._ZL13mul_mat_f_idsIfLi32ELi13ELi1EEvPKT_PKfPKiS6_S6_Pfiiiiiiiiiiiiii15HIP_vector_typeIjLj3EES9_@rel32@lo+4
	s_addc_u32 s5, s5, __FUNCTION__._ZL13mul_mat_f_idsIfLi32ELi13ELi1EEvPKT_PKfPKiS6_S6_Pfiiiiiiiiiiiiii15HIP_vector_typeIjLj3EES9_@rel32@hi+12
	v_mov_b32_e32 v0, 0x13b
	v_mov_b32_e32 v1, s4
	;; [unrolled: 1-line block ×3, first 2 shown]
	s_mov_b32 s32, 0
	s_getpc_b64 s[6:7]
	s_add_u32 s6, s6, _ZL14no_device_codePKciS0_iS0_@rel32@lo+4
	s_addc_u32 s7, s7, _ZL14no_device_codePKciS0_iS0_@rel32@hi+12
	s_swappc_b64 s[30:31], s[6:7]
	.section	.rodata,"a",@progbits
	.p2align	6, 0x0
	.amdhsa_kernel _ZL13mul_mat_f_idsIfLi32ELi13ELi4EEvPKT_PKfPKiS6_S6_Pfiiiiiiiiiiiiii15HIP_vector_typeIjLj3EES9_
		.amdhsa_group_segment_fixed_size 0
		.amdhsa_private_segment_fixed_size 16
		.amdhsa_kernarg_size 384
		.amdhsa_user_sgpr_count 8
		.amdhsa_user_sgpr_private_segment_buffer 1
		.amdhsa_user_sgpr_dispatch_ptr 0
		.amdhsa_user_sgpr_queue_ptr 0
		.amdhsa_user_sgpr_kernarg_segment_ptr 1
		.amdhsa_user_sgpr_dispatch_id 0
		.amdhsa_user_sgpr_flat_scratch_init 1
		.amdhsa_user_sgpr_kernarg_preload_length 0
		.amdhsa_user_sgpr_kernarg_preload_offset 0
		.amdhsa_user_sgpr_private_segment_size 0
		.amdhsa_uses_dynamic_stack 0
		.amdhsa_system_sgpr_private_segment_wavefront_offset 1
		.amdhsa_system_sgpr_workgroup_id_x 1
		.amdhsa_system_sgpr_workgroup_id_y 0
		.amdhsa_system_sgpr_workgroup_id_z 0
		.amdhsa_system_sgpr_workgroup_info 0
		.amdhsa_system_vgpr_workitem_id 0
		.amdhsa_next_free_vgpr 41
		.amdhsa_next_free_sgpr 34
		.amdhsa_accum_offset 44
		.amdhsa_reserve_vcc 1
		.amdhsa_reserve_flat_scratch 1
		.amdhsa_float_round_mode_32 0
		.amdhsa_float_round_mode_16_64 0
		.amdhsa_float_denorm_mode_32 3
		.amdhsa_float_denorm_mode_16_64 3
		.amdhsa_dx10_clamp 1
		.amdhsa_ieee_mode 1
		.amdhsa_fp16_overflow 0
		.amdhsa_tg_split 0
		.amdhsa_exception_fp_ieee_invalid_op 0
		.amdhsa_exception_fp_denorm_src 0
		.amdhsa_exception_fp_ieee_div_zero 0
		.amdhsa_exception_fp_ieee_overflow 0
		.amdhsa_exception_fp_ieee_underflow 0
		.amdhsa_exception_fp_ieee_inexact 0
		.amdhsa_exception_int_div_zero 0
	.end_amdhsa_kernel
	.section	.text._ZL13mul_mat_f_idsIfLi32ELi13ELi4EEvPKT_PKfPKiS6_S6_Pfiiiiiiiiiiiiii15HIP_vector_typeIjLj3EES9_,"axG",@progbits,_ZL13mul_mat_f_idsIfLi32ELi13ELi4EEvPKT_PKfPKiS6_S6_Pfiiiiiiiiiiiiii15HIP_vector_typeIjLj3EES9_,comdat
.Lfunc_end12:
	.size	_ZL13mul_mat_f_idsIfLi32ELi13ELi4EEvPKT_PKfPKiS6_S6_Pfiiiiiiiiiiiiii15HIP_vector_typeIjLj3EES9_, .Lfunc_end12-_ZL13mul_mat_f_idsIfLi32ELi13ELi4EEvPKT_PKfPKiS6_S6_Pfiiiiiiiiiiiiii15HIP_vector_typeIjLj3EES9_
                                        ; -- End function
	.section	.AMDGPU.csdata,"",@progbits
; Kernel info:
; codeLenInByte = 92
; NumSgprs: 40
; NumVgprs: 41
; NumAgprs: 0
; TotalNumVgprs: 41
; ScratchSize: 16
; MemoryBound: 0
; FloatMode: 240
; IeeeMode: 1
; LDSByteSize: 0 bytes/workgroup (compile time only)
; SGPRBlocks: 4
; VGPRBlocks: 5
; NumSGPRsForWavesPerEU: 40
; NumVGPRsForWavesPerEU: 41
; AccumOffset: 44
; Occupancy: 8
; WaveLimiterHint : 1
; COMPUTE_PGM_RSRC2:SCRATCH_EN: 1
; COMPUTE_PGM_RSRC2:USER_SGPR: 8
; COMPUTE_PGM_RSRC2:TRAP_HANDLER: 0
; COMPUTE_PGM_RSRC2:TGID_X_EN: 1
; COMPUTE_PGM_RSRC2:TGID_Y_EN: 0
; COMPUTE_PGM_RSRC2:TGID_Z_EN: 0
; COMPUTE_PGM_RSRC2:TIDIG_COMP_CNT: 0
; COMPUTE_PGM_RSRC3_GFX90A:ACCUM_OFFSET: 10
; COMPUTE_PGM_RSRC3_GFX90A:TG_SPLIT: 0
	.section	.text._ZL9mul_mat_fIfLi32ELi13ELi4ELb1EEvPKT_PKfPKiPfiiiiiiiiiiiiiiii,"axG",@progbits,_ZL9mul_mat_fIfLi32ELi13ELi4ELb1EEvPKT_PKfPKiPfiiiiiiiiiiiiiiii,comdat
	.globl	_ZL9mul_mat_fIfLi32ELi13ELi4ELb1EEvPKT_PKfPKiPfiiiiiiiiiiiiiiii ; -- Begin function _ZL9mul_mat_fIfLi32ELi13ELi4ELb1EEvPKT_PKfPKiPfiiiiiiiiiiiiiiii
	.p2align	8
	.type	_ZL9mul_mat_fIfLi32ELi13ELi4ELb1EEvPKT_PKfPKiPfiiiiiiiiiiiiiiii,@function
_ZL9mul_mat_fIfLi32ELi13ELi4ELb1EEvPKT_PKfPKiPfiiiiiiiiiiiiiiii: ; @_ZL9mul_mat_fIfLi32ELi13ELi4ELb1EEvPKT_PKfPKiPfiiiiiiiiiiiiiiii
; %bb.0:
	s_add_u32 flat_scratch_lo, s6, s9
	s_addc_u32 flat_scratch_hi, s7, 0
	s_add_u32 s0, s0, s9
	s_addc_u32 s1, s1, 0
	s_add_u32 s8, s4, 0x60
	s_addc_u32 s9, s5, 0
	s_getpc_b64 s[4:5]
	s_add_u32 s4, s4, __FUNCTION__._ZL9mul_mat_fIfLi32ELi13ELi1ELb1EEvPKT_PKfPKiPfiiiiiiiiiiiiiiii@rel32@lo+4
	s_addc_u32 s5, s5, __FUNCTION__._ZL9mul_mat_fIfLi32ELi13ELi1ELb1EEvPKT_PKfPKiPfiiiiiiiiiiiiiiii@rel32@hi+12
	v_mov_b32_e32 v0, 64
	v_mov_b32_e32 v1, s4
	;; [unrolled: 1-line block ×3, first 2 shown]
	s_mov_b32 s32, 0
	s_getpc_b64 s[6:7]
	s_add_u32 s6, s6, _ZL14no_device_codePKciS0_iS0_@rel32@lo+4
	s_addc_u32 s7, s7, _ZL14no_device_codePKciS0_iS0_@rel32@hi+12
	s_swappc_b64 s[30:31], s[6:7]
	.section	.rodata,"a",@progbits
	.p2align	6, 0x0
	.amdhsa_kernel _ZL9mul_mat_fIfLi32ELi13ELi4ELb1EEvPKT_PKfPKiPfiiiiiiiiiiiiiiii
		.amdhsa_group_segment_fixed_size 0
		.amdhsa_private_segment_fixed_size 16
		.amdhsa_kernarg_size 352
		.amdhsa_user_sgpr_count 8
		.amdhsa_user_sgpr_private_segment_buffer 1
		.amdhsa_user_sgpr_dispatch_ptr 0
		.amdhsa_user_sgpr_queue_ptr 0
		.amdhsa_user_sgpr_kernarg_segment_ptr 1
		.amdhsa_user_sgpr_dispatch_id 0
		.amdhsa_user_sgpr_flat_scratch_init 1
		.amdhsa_user_sgpr_kernarg_preload_length 0
		.amdhsa_user_sgpr_kernarg_preload_offset 0
		.amdhsa_user_sgpr_private_segment_size 0
		.amdhsa_uses_dynamic_stack 0
		.amdhsa_system_sgpr_private_segment_wavefront_offset 1
		.amdhsa_system_sgpr_workgroup_id_x 1
		.amdhsa_system_sgpr_workgroup_id_y 0
		.amdhsa_system_sgpr_workgroup_id_z 0
		.amdhsa_system_sgpr_workgroup_info 0
		.amdhsa_system_vgpr_workitem_id 0
		.amdhsa_next_free_vgpr 41
		.amdhsa_next_free_sgpr 34
		.amdhsa_accum_offset 44
		.amdhsa_reserve_vcc 1
		.amdhsa_reserve_flat_scratch 1
		.amdhsa_float_round_mode_32 0
		.amdhsa_float_round_mode_16_64 0
		.amdhsa_float_denorm_mode_32 3
		.amdhsa_float_denorm_mode_16_64 3
		.amdhsa_dx10_clamp 1
		.amdhsa_ieee_mode 1
		.amdhsa_fp16_overflow 0
		.amdhsa_tg_split 0
		.amdhsa_exception_fp_ieee_invalid_op 0
		.amdhsa_exception_fp_denorm_src 0
		.amdhsa_exception_fp_ieee_div_zero 0
		.amdhsa_exception_fp_ieee_overflow 0
		.amdhsa_exception_fp_ieee_underflow 0
		.amdhsa_exception_fp_ieee_inexact 0
		.amdhsa_exception_int_div_zero 0
	.end_amdhsa_kernel
	.section	.text._ZL9mul_mat_fIfLi32ELi13ELi4ELb1EEvPKT_PKfPKiPfiiiiiiiiiiiiiiii,"axG",@progbits,_ZL9mul_mat_fIfLi32ELi13ELi4ELb1EEvPKT_PKfPKiPfiiiiiiiiiiiiiiii,comdat
.Lfunc_end13:
	.size	_ZL9mul_mat_fIfLi32ELi13ELi4ELb1EEvPKT_PKfPKiPfiiiiiiiiiiiiiiii, .Lfunc_end13-_ZL9mul_mat_fIfLi32ELi13ELi4ELb1EEvPKT_PKfPKiPfiiiiiiiiiiiiiiii
                                        ; -- End function
	.section	.AMDGPU.csdata,"",@progbits
; Kernel info:
; codeLenInByte = 88
; NumSgprs: 40
; NumVgprs: 41
; NumAgprs: 0
; TotalNumVgprs: 41
; ScratchSize: 16
; MemoryBound: 0
; FloatMode: 240
; IeeeMode: 1
; LDSByteSize: 0 bytes/workgroup (compile time only)
; SGPRBlocks: 4
; VGPRBlocks: 5
; NumSGPRsForWavesPerEU: 40
; NumVGPRsForWavesPerEU: 41
; AccumOffset: 44
; Occupancy: 8
; WaveLimiterHint : 1
; COMPUTE_PGM_RSRC2:SCRATCH_EN: 1
; COMPUTE_PGM_RSRC2:USER_SGPR: 8
; COMPUTE_PGM_RSRC2:TRAP_HANDLER: 0
; COMPUTE_PGM_RSRC2:TGID_X_EN: 1
; COMPUTE_PGM_RSRC2:TGID_Y_EN: 0
; COMPUTE_PGM_RSRC2:TGID_Z_EN: 0
; COMPUTE_PGM_RSRC2:TIDIG_COMP_CNT: 0
; COMPUTE_PGM_RSRC3_GFX90A:ACCUM_OFFSET: 10
; COMPUTE_PGM_RSRC3_GFX90A:TG_SPLIT: 0
	.section	.text._ZL9mul_mat_fIfLi32ELi13ELi4ELb0EEvPKT_PKfPKiPfiiiiiiiiiiiiiiii,"axG",@progbits,_ZL9mul_mat_fIfLi32ELi13ELi4ELb0EEvPKT_PKfPKiPfiiiiiiiiiiiiiiii,comdat
	.globl	_ZL9mul_mat_fIfLi32ELi13ELi4ELb0EEvPKT_PKfPKiPfiiiiiiiiiiiiiiii ; -- Begin function _ZL9mul_mat_fIfLi32ELi13ELi4ELb0EEvPKT_PKfPKiPfiiiiiiiiiiiiiiii
	.p2align	8
	.type	_ZL9mul_mat_fIfLi32ELi13ELi4ELb0EEvPKT_PKfPKiPfiiiiiiiiiiiiiiii,@function
_ZL9mul_mat_fIfLi32ELi13ELi4ELb0EEvPKT_PKfPKiPfiiiiiiiiiiiiiiii: ; @_ZL9mul_mat_fIfLi32ELi13ELi4ELb0EEvPKT_PKfPKiPfiiiiiiiiiiiiiiii
; %bb.0:
	s_add_u32 flat_scratch_lo, s6, s9
	s_addc_u32 flat_scratch_hi, s7, 0
	s_add_u32 s0, s0, s9
	s_addc_u32 s1, s1, 0
	s_add_u32 s8, s4, 0x60
	s_addc_u32 s9, s5, 0
	s_getpc_b64 s[4:5]
	s_add_u32 s4, s4, __FUNCTION__._ZL9mul_mat_fIfLi32ELi13ELi1ELb1EEvPKT_PKfPKiPfiiiiiiiiiiiiiiii@rel32@lo+4
	s_addc_u32 s5, s5, __FUNCTION__._ZL9mul_mat_fIfLi32ELi13ELi1ELb1EEvPKT_PKfPKiPfiiiiiiiiiiiiiiii@rel32@hi+12
	v_mov_b32_e32 v0, 64
	v_mov_b32_e32 v1, s4
	;; [unrolled: 1-line block ×3, first 2 shown]
	s_mov_b32 s32, 0
	s_getpc_b64 s[6:7]
	s_add_u32 s6, s6, _ZL14no_device_codePKciS0_iS0_@rel32@lo+4
	s_addc_u32 s7, s7, _ZL14no_device_codePKciS0_iS0_@rel32@hi+12
	s_swappc_b64 s[30:31], s[6:7]
	.section	.rodata,"a",@progbits
	.p2align	6, 0x0
	.amdhsa_kernel _ZL9mul_mat_fIfLi32ELi13ELi4ELb0EEvPKT_PKfPKiPfiiiiiiiiiiiiiiii
		.amdhsa_group_segment_fixed_size 0
		.amdhsa_private_segment_fixed_size 16
		.amdhsa_kernarg_size 352
		.amdhsa_user_sgpr_count 8
		.amdhsa_user_sgpr_private_segment_buffer 1
		.amdhsa_user_sgpr_dispatch_ptr 0
		.amdhsa_user_sgpr_queue_ptr 0
		.amdhsa_user_sgpr_kernarg_segment_ptr 1
		.amdhsa_user_sgpr_dispatch_id 0
		.amdhsa_user_sgpr_flat_scratch_init 1
		.amdhsa_user_sgpr_kernarg_preload_length 0
		.amdhsa_user_sgpr_kernarg_preload_offset 0
		.amdhsa_user_sgpr_private_segment_size 0
		.amdhsa_uses_dynamic_stack 0
		.amdhsa_system_sgpr_private_segment_wavefront_offset 1
		.amdhsa_system_sgpr_workgroup_id_x 1
		.amdhsa_system_sgpr_workgroup_id_y 0
		.amdhsa_system_sgpr_workgroup_id_z 0
		.amdhsa_system_sgpr_workgroup_info 0
		.amdhsa_system_vgpr_workitem_id 0
		.amdhsa_next_free_vgpr 41
		.amdhsa_next_free_sgpr 34
		.amdhsa_accum_offset 44
		.amdhsa_reserve_vcc 1
		.amdhsa_reserve_flat_scratch 1
		.amdhsa_float_round_mode_32 0
		.amdhsa_float_round_mode_16_64 0
		.amdhsa_float_denorm_mode_32 3
		.amdhsa_float_denorm_mode_16_64 3
		.amdhsa_dx10_clamp 1
		.amdhsa_ieee_mode 1
		.amdhsa_fp16_overflow 0
		.amdhsa_tg_split 0
		.amdhsa_exception_fp_ieee_invalid_op 0
		.amdhsa_exception_fp_denorm_src 0
		.amdhsa_exception_fp_ieee_div_zero 0
		.amdhsa_exception_fp_ieee_overflow 0
		.amdhsa_exception_fp_ieee_underflow 0
		.amdhsa_exception_fp_ieee_inexact 0
		.amdhsa_exception_int_div_zero 0
	.end_amdhsa_kernel
	.section	.text._ZL9mul_mat_fIfLi32ELi13ELi4ELb0EEvPKT_PKfPKiPfiiiiiiiiiiiiiiii,"axG",@progbits,_ZL9mul_mat_fIfLi32ELi13ELi4ELb0EEvPKT_PKfPKiPfiiiiiiiiiiiiiiii,comdat
.Lfunc_end14:
	.size	_ZL9mul_mat_fIfLi32ELi13ELi4ELb0EEvPKT_PKfPKiPfiiiiiiiiiiiiiiii, .Lfunc_end14-_ZL9mul_mat_fIfLi32ELi13ELi4ELb0EEvPKT_PKfPKiPfiiiiiiiiiiiiiiii
                                        ; -- End function
	.section	.AMDGPU.csdata,"",@progbits
; Kernel info:
; codeLenInByte = 88
; NumSgprs: 40
; NumVgprs: 41
; NumAgprs: 0
; TotalNumVgprs: 41
; ScratchSize: 16
; MemoryBound: 0
; FloatMode: 240
; IeeeMode: 1
; LDSByteSize: 0 bytes/workgroup (compile time only)
; SGPRBlocks: 4
; VGPRBlocks: 5
; NumSGPRsForWavesPerEU: 40
; NumVGPRsForWavesPerEU: 41
; AccumOffset: 44
; Occupancy: 8
; WaveLimiterHint : 1
; COMPUTE_PGM_RSRC2:SCRATCH_EN: 1
; COMPUTE_PGM_RSRC2:USER_SGPR: 8
; COMPUTE_PGM_RSRC2:TRAP_HANDLER: 0
; COMPUTE_PGM_RSRC2:TGID_X_EN: 1
; COMPUTE_PGM_RSRC2:TGID_Y_EN: 0
; COMPUTE_PGM_RSRC2:TGID_Z_EN: 0
; COMPUTE_PGM_RSRC2:TIDIG_COMP_CNT: 0
; COMPUTE_PGM_RSRC3_GFX90A:ACCUM_OFFSET: 10
; COMPUTE_PGM_RSRC3_GFX90A:TG_SPLIT: 0
	.section	.text._ZL13mul_mat_f_idsIfLi32ELi13ELi5EEvPKT_PKfPKiS6_S6_Pfiiiiiiiiiiiiii15HIP_vector_typeIjLj3EES9_,"axG",@progbits,_ZL13mul_mat_f_idsIfLi32ELi13ELi5EEvPKT_PKfPKiS6_S6_Pfiiiiiiiiiiiiii15HIP_vector_typeIjLj3EES9_,comdat
	.globl	_ZL13mul_mat_f_idsIfLi32ELi13ELi5EEvPKT_PKfPKiS6_S6_Pfiiiiiiiiiiiiii15HIP_vector_typeIjLj3EES9_ ; -- Begin function _ZL13mul_mat_f_idsIfLi32ELi13ELi5EEvPKT_PKfPKiS6_S6_Pfiiiiiiiiiiiiii15HIP_vector_typeIjLj3EES9_
	.p2align	8
	.type	_ZL13mul_mat_f_idsIfLi32ELi13ELi5EEvPKT_PKfPKiS6_S6_Pfiiiiiiiiiiiiii15HIP_vector_typeIjLj3EES9_,@function
_ZL13mul_mat_f_idsIfLi32ELi13ELi5EEvPKT_PKfPKiS6_S6_Pfiiiiiiiiiiiiii15HIP_vector_typeIjLj3EES9_: ; @_ZL13mul_mat_f_idsIfLi32ELi13ELi5EEvPKT_PKfPKiS6_S6_Pfiiiiiiiiiiiiii15HIP_vector_typeIjLj3EES9_
; %bb.0:
	s_add_u32 flat_scratch_lo, s6, s9
	s_addc_u32 flat_scratch_hi, s7, 0
	s_add_u32 s0, s0, s9
	s_addc_u32 s1, s1, 0
	s_add_u32 s8, s4, 0x80
	s_addc_u32 s9, s5, 0
	s_getpc_b64 s[4:5]
	s_add_u32 s4, s4, __FUNCTION__._ZL13mul_mat_f_idsIfLi32ELi13ELi1EEvPKT_PKfPKiS6_S6_Pfiiiiiiiiiiiiii15HIP_vector_typeIjLj3EES9_@rel32@lo+4
	s_addc_u32 s5, s5, __FUNCTION__._ZL13mul_mat_f_idsIfLi32ELi13ELi1EEvPKT_PKfPKiS6_S6_Pfiiiiiiiiiiiiii15HIP_vector_typeIjLj3EES9_@rel32@hi+12
	v_mov_b32_e32 v0, 0x13b
	v_mov_b32_e32 v1, s4
	;; [unrolled: 1-line block ×3, first 2 shown]
	s_mov_b32 s32, 0
	s_getpc_b64 s[6:7]
	s_add_u32 s6, s6, _ZL14no_device_codePKciS0_iS0_@rel32@lo+4
	s_addc_u32 s7, s7, _ZL14no_device_codePKciS0_iS0_@rel32@hi+12
	s_swappc_b64 s[30:31], s[6:7]
	.section	.rodata,"a",@progbits
	.p2align	6, 0x0
	.amdhsa_kernel _ZL13mul_mat_f_idsIfLi32ELi13ELi5EEvPKT_PKfPKiS6_S6_Pfiiiiiiiiiiiiii15HIP_vector_typeIjLj3EES9_
		.amdhsa_group_segment_fixed_size 0
		.amdhsa_private_segment_fixed_size 16
		.amdhsa_kernarg_size 384
		.amdhsa_user_sgpr_count 8
		.amdhsa_user_sgpr_private_segment_buffer 1
		.amdhsa_user_sgpr_dispatch_ptr 0
		.amdhsa_user_sgpr_queue_ptr 0
		.amdhsa_user_sgpr_kernarg_segment_ptr 1
		.amdhsa_user_sgpr_dispatch_id 0
		.amdhsa_user_sgpr_flat_scratch_init 1
		.amdhsa_user_sgpr_kernarg_preload_length 0
		.amdhsa_user_sgpr_kernarg_preload_offset 0
		.amdhsa_user_sgpr_private_segment_size 0
		.amdhsa_uses_dynamic_stack 0
		.amdhsa_system_sgpr_private_segment_wavefront_offset 1
		.amdhsa_system_sgpr_workgroup_id_x 1
		.amdhsa_system_sgpr_workgroup_id_y 0
		.amdhsa_system_sgpr_workgroup_id_z 0
		.amdhsa_system_sgpr_workgroup_info 0
		.amdhsa_system_vgpr_workitem_id 0
		.amdhsa_next_free_vgpr 41
		.amdhsa_next_free_sgpr 34
		.amdhsa_accum_offset 44
		.amdhsa_reserve_vcc 1
		.amdhsa_reserve_flat_scratch 1
		.amdhsa_float_round_mode_32 0
		.amdhsa_float_round_mode_16_64 0
		.amdhsa_float_denorm_mode_32 3
		.amdhsa_float_denorm_mode_16_64 3
		.amdhsa_dx10_clamp 1
		.amdhsa_ieee_mode 1
		.amdhsa_fp16_overflow 0
		.amdhsa_tg_split 0
		.amdhsa_exception_fp_ieee_invalid_op 0
		.amdhsa_exception_fp_denorm_src 0
		.amdhsa_exception_fp_ieee_div_zero 0
		.amdhsa_exception_fp_ieee_overflow 0
		.amdhsa_exception_fp_ieee_underflow 0
		.amdhsa_exception_fp_ieee_inexact 0
		.amdhsa_exception_int_div_zero 0
	.end_amdhsa_kernel
	.section	.text._ZL13mul_mat_f_idsIfLi32ELi13ELi5EEvPKT_PKfPKiS6_S6_Pfiiiiiiiiiiiiii15HIP_vector_typeIjLj3EES9_,"axG",@progbits,_ZL13mul_mat_f_idsIfLi32ELi13ELi5EEvPKT_PKfPKiS6_S6_Pfiiiiiiiiiiiiii15HIP_vector_typeIjLj3EES9_,comdat
.Lfunc_end15:
	.size	_ZL13mul_mat_f_idsIfLi32ELi13ELi5EEvPKT_PKfPKiS6_S6_Pfiiiiiiiiiiiiii15HIP_vector_typeIjLj3EES9_, .Lfunc_end15-_ZL13mul_mat_f_idsIfLi32ELi13ELi5EEvPKT_PKfPKiS6_S6_Pfiiiiiiiiiiiiii15HIP_vector_typeIjLj3EES9_
                                        ; -- End function
	.section	.AMDGPU.csdata,"",@progbits
; Kernel info:
; codeLenInByte = 92
; NumSgprs: 40
; NumVgprs: 41
; NumAgprs: 0
; TotalNumVgprs: 41
; ScratchSize: 16
; MemoryBound: 0
; FloatMode: 240
; IeeeMode: 1
; LDSByteSize: 0 bytes/workgroup (compile time only)
; SGPRBlocks: 4
; VGPRBlocks: 5
; NumSGPRsForWavesPerEU: 40
; NumVGPRsForWavesPerEU: 41
; AccumOffset: 44
; Occupancy: 8
; WaveLimiterHint : 1
; COMPUTE_PGM_RSRC2:SCRATCH_EN: 1
; COMPUTE_PGM_RSRC2:USER_SGPR: 8
; COMPUTE_PGM_RSRC2:TRAP_HANDLER: 0
; COMPUTE_PGM_RSRC2:TGID_X_EN: 1
; COMPUTE_PGM_RSRC2:TGID_Y_EN: 0
; COMPUTE_PGM_RSRC2:TGID_Z_EN: 0
; COMPUTE_PGM_RSRC2:TIDIG_COMP_CNT: 0
; COMPUTE_PGM_RSRC3_GFX90A:ACCUM_OFFSET: 10
; COMPUTE_PGM_RSRC3_GFX90A:TG_SPLIT: 0
	.section	.text._ZL9mul_mat_fIfLi32ELi13ELi5ELb1EEvPKT_PKfPKiPfiiiiiiiiiiiiiiii,"axG",@progbits,_ZL9mul_mat_fIfLi32ELi13ELi5ELb1EEvPKT_PKfPKiPfiiiiiiiiiiiiiiii,comdat
	.globl	_ZL9mul_mat_fIfLi32ELi13ELi5ELb1EEvPKT_PKfPKiPfiiiiiiiiiiiiiiii ; -- Begin function _ZL9mul_mat_fIfLi32ELi13ELi5ELb1EEvPKT_PKfPKiPfiiiiiiiiiiiiiiii
	.p2align	8
	.type	_ZL9mul_mat_fIfLi32ELi13ELi5ELb1EEvPKT_PKfPKiPfiiiiiiiiiiiiiiii,@function
_ZL9mul_mat_fIfLi32ELi13ELi5ELb1EEvPKT_PKfPKiPfiiiiiiiiiiiiiiii: ; @_ZL9mul_mat_fIfLi32ELi13ELi5ELb1EEvPKT_PKfPKiPfiiiiiiiiiiiiiiii
; %bb.0:
	s_add_u32 flat_scratch_lo, s6, s9
	s_addc_u32 flat_scratch_hi, s7, 0
	s_add_u32 s0, s0, s9
	s_addc_u32 s1, s1, 0
	s_add_u32 s8, s4, 0x60
	s_addc_u32 s9, s5, 0
	s_getpc_b64 s[4:5]
	s_add_u32 s4, s4, __FUNCTION__._ZL9mul_mat_fIfLi32ELi13ELi1ELb1EEvPKT_PKfPKiPfiiiiiiiiiiiiiiii@rel32@lo+4
	s_addc_u32 s5, s5, __FUNCTION__._ZL9mul_mat_fIfLi32ELi13ELi1ELb1EEvPKT_PKfPKiPfiiiiiiiiiiiiiiii@rel32@hi+12
	v_mov_b32_e32 v0, 64
	v_mov_b32_e32 v1, s4
	;; [unrolled: 1-line block ×3, first 2 shown]
	s_mov_b32 s32, 0
	s_getpc_b64 s[6:7]
	s_add_u32 s6, s6, _ZL14no_device_codePKciS0_iS0_@rel32@lo+4
	s_addc_u32 s7, s7, _ZL14no_device_codePKciS0_iS0_@rel32@hi+12
	s_swappc_b64 s[30:31], s[6:7]
	.section	.rodata,"a",@progbits
	.p2align	6, 0x0
	.amdhsa_kernel _ZL9mul_mat_fIfLi32ELi13ELi5ELb1EEvPKT_PKfPKiPfiiiiiiiiiiiiiiii
		.amdhsa_group_segment_fixed_size 0
		.amdhsa_private_segment_fixed_size 16
		.amdhsa_kernarg_size 352
		.amdhsa_user_sgpr_count 8
		.amdhsa_user_sgpr_private_segment_buffer 1
		.amdhsa_user_sgpr_dispatch_ptr 0
		.amdhsa_user_sgpr_queue_ptr 0
		.amdhsa_user_sgpr_kernarg_segment_ptr 1
		.amdhsa_user_sgpr_dispatch_id 0
		.amdhsa_user_sgpr_flat_scratch_init 1
		.amdhsa_user_sgpr_kernarg_preload_length 0
		.amdhsa_user_sgpr_kernarg_preload_offset 0
		.amdhsa_user_sgpr_private_segment_size 0
		.amdhsa_uses_dynamic_stack 0
		.amdhsa_system_sgpr_private_segment_wavefront_offset 1
		.amdhsa_system_sgpr_workgroup_id_x 1
		.amdhsa_system_sgpr_workgroup_id_y 0
		.amdhsa_system_sgpr_workgroup_id_z 0
		.amdhsa_system_sgpr_workgroup_info 0
		.amdhsa_system_vgpr_workitem_id 0
		.amdhsa_next_free_vgpr 41
		.amdhsa_next_free_sgpr 34
		.amdhsa_accum_offset 44
		.amdhsa_reserve_vcc 1
		.amdhsa_reserve_flat_scratch 1
		.amdhsa_float_round_mode_32 0
		.amdhsa_float_round_mode_16_64 0
		.amdhsa_float_denorm_mode_32 3
		.amdhsa_float_denorm_mode_16_64 3
		.amdhsa_dx10_clamp 1
		.amdhsa_ieee_mode 1
		.amdhsa_fp16_overflow 0
		.amdhsa_tg_split 0
		.amdhsa_exception_fp_ieee_invalid_op 0
		.amdhsa_exception_fp_denorm_src 0
		.amdhsa_exception_fp_ieee_div_zero 0
		.amdhsa_exception_fp_ieee_overflow 0
		.amdhsa_exception_fp_ieee_underflow 0
		.amdhsa_exception_fp_ieee_inexact 0
		.amdhsa_exception_int_div_zero 0
	.end_amdhsa_kernel
	.section	.text._ZL9mul_mat_fIfLi32ELi13ELi5ELb1EEvPKT_PKfPKiPfiiiiiiiiiiiiiiii,"axG",@progbits,_ZL9mul_mat_fIfLi32ELi13ELi5ELb1EEvPKT_PKfPKiPfiiiiiiiiiiiiiiii,comdat
.Lfunc_end16:
	.size	_ZL9mul_mat_fIfLi32ELi13ELi5ELb1EEvPKT_PKfPKiPfiiiiiiiiiiiiiiii, .Lfunc_end16-_ZL9mul_mat_fIfLi32ELi13ELi5ELb1EEvPKT_PKfPKiPfiiiiiiiiiiiiiiii
                                        ; -- End function
	.section	.AMDGPU.csdata,"",@progbits
; Kernel info:
; codeLenInByte = 88
; NumSgprs: 40
; NumVgprs: 41
; NumAgprs: 0
; TotalNumVgprs: 41
; ScratchSize: 16
; MemoryBound: 0
; FloatMode: 240
; IeeeMode: 1
; LDSByteSize: 0 bytes/workgroup (compile time only)
; SGPRBlocks: 4
; VGPRBlocks: 5
; NumSGPRsForWavesPerEU: 40
; NumVGPRsForWavesPerEU: 41
; AccumOffset: 44
; Occupancy: 8
; WaveLimiterHint : 1
; COMPUTE_PGM_RSRC2:SCRATCH_EN: 1
; COMPUTE_PGM_RSRC2:USER_SGPR: 8
; COMPUTE_PGM_RSRC2:TRAP_HANDLER: 0
; COMPUTE_PGM_RSRC2:TGID_X_EN: 1
; COMPUTE_PGM_RSRC2:TGID_Y_EN: 0
; COMPUTE_PGM_RSRC2:TGID_Z_EN: 0
; COMPUTE_PGM_RSRC2:TIDIG_COMP_CNT: 0
; COMPUTE_PGM_RSRC3_GFX90A:ACCUM_OFFSET: 10
; COMPUTE_PGM_RSRC3_GFX90A:TG_SPLIT: 0
	.section	.text._ZL9mul_mat_fIfLi32ELi13ELi5ELb0EEvPKT_PKfPKiPfiiiiiiiiiiiiiiii,"axG",@progbits,_ZL9mul_mat_fIfLi32ELi13ELi5ELb0EEvPKT_PKfPKiPfiiiiiiiiiiiiiiii,comdat
	.globl	_ZL9mul_mat_fIfLi32ELi13ELi5ELb0EEvPKT_PKfPKiPfiiiiiiiiiiiiiiii ; -- Begin function _ZL9mul_mat_fIfLi32ELi13ELi5ELb0EEvPKT_PKfPKiPfiiiiiiiiiiiiiiii
	.p2align	8
	.type	_ZL9mul_mat_fIfLi32ELi13ELi5ELb0EEvPKT_PKfPKiPfiiiiiiiiiiiiiiii,@function
_ZL9mul_mat_fIfLi32ELi13ELi5ELb0EEvPKT_PKfPKiPfiiiiiiiiiiiiiiii: ; @_ZL9mul_mat_fIfLi32ELi13ELi5ELb0EEvPKT_PKfPKiPfiiiiiiiiiiiiiiii
; %bb.0:
	s_add_u32 flat_scratch_lo, s6, s9
	s_addc_u32 flat_scratch_hi, s7, 0
	s_add_u32 s0, s0, s9
	s_addc_u32 s1, s1, 0
	s_add_u32 s8, s4, 0x60
	s_addc_u32 s9, s5, 0
	s_getpc_b64 s[4:5]
	s_add_u32 s4, s4, __FUNCTION__._ZL9mul_mat_fIfLi32ELi13ELi1ELb1EEvPKT_PKfPKiPfiiiiiiiiiiiiiiii@rel32@lo+4
	s_addc_u32 s5, s5, __FUNCTION__._ZL9mul_mat_fIfLi32ELi13ELi1ELb1EEvPKT_PKfPKiPfiiiiiiiiiiiiiiii@rel32@hi+12
	v_mov_b32_e32 v0, 64
	v_mov_b32_e32 v1, s4
	;; [unrolled: 1-line block ×3, first 2 shown]
	s_mov_b32 s32, 0
	s_getpc_b64 s[6:7]
	s_add_u32 s6, s6, _ZL14no_device_codePKciS0_iS0_@rel32@lo+4
	s_addc_u32 s7, s7, _ZL14no_device_codePKciS0_iS0_@rel32@hi+12
	s_swappc_b64 s[30:31], s[6:7]
	.section	.rodata,"a",@progbits
	.p2align	6, 0x0
	.amdhsa_kernel _ZL9mul_mat_fIfLi32ELi13ELi5ELb0EEvPKT_PKfPKiPfiiiiiiiiiiiiiiii
		.amdhsa_group_segment_fixed_size 0
		.amdhsa_private_segment_fixed_size 16
		.amdhsa_kernarg_size 352
		.amdhsa_user_sgpr_count 8
		.amdhsa_user_sgpr_private_segment_buffer 1
		.amdhsa_user_sgpr_dispatch_ptr 0
		.amdhsa_user_sgpr_queue_ptr 0
		.amdhsa_user_sgpr_kernarg_segment_ptr 1
		.amdhsa_user_sgpr_dispatch_id 0
		.amdhsa_user_sgpr_flat_scratch_init 1
		.amdhsa_user_sgpr_kernarg_preload_length 0
		.amdhsa_user_sgpr_kernarg_preload_offset 0
		.amdhsa_user_sgpr_private_segment_size 0
		.amdhsa_uses_dynamic_stack 0
		.amdhsa_system_sgpr_private_segment_wavefront_offset 1
		.amdhsa_system_sgpr_workgroup_id_x 1
		.amdhsa_system_sgpr_workgroup_id_y 0
		.amdhsa_system_sgpr_workgroup_id_z 0
		.amdhsa_system_sgpr_workgroup_info 0
		.amdhsa_system_vgpr_workitem_id 0
		.amdhsa_next_free_vgpr 41
		.amdhsa_next_free_sgpr 34
		.amdhsa_accum_offset 44
		.amdhsa_reserve_vcc 1
		.amdhsa_reserve_flat_scratch 1
		.amdhsa_float_round_mode_32 0
		.amdhsa_float_round_mode_16_64 0
		.amdhsa_float_denorm_mode_32 3
		.amdhsa_float_denorm_mode_16_64 3
		.amdhsa_dx10_clamp 1
		.amdhsa_ieee_mode 1
		.amdhsa_fp16_overflow 0
		.amdhsa_tg_split 0
		.amdhsa_exception_fp_ieee_invalid_op 0
		.amdhsa_exception_fp_denorm_src 0
		.amdhsa_exception_fp_ieee_div_zero 0
		.amdhsa_exception_fp_ieee_overflow 0
		.amdhsa_exception_fp_ieee_underflow 0
		.amdhsa_exception_fp_ieee_inexact 0
		.amdhsa_exception_int_div_zero 0
	.end_amdhsa_kernel
	.section	.text._ZL9mul_mat_fIfLi32ELi13ELi5ELb0EEvPKT_PKfPKiPfiiiiiiiiiiiiiiii,"axG",@progbits,_ZL9mul_mat_fIfLi32ELi13ELi5ELb0EEvPKT_PKfPKiPfiiiiiiiiiiiiiiii,comdat
.Lfunc_end17:
	.size	_ZL9mul_mat_fIfLi32ELi13ELi5ELb0EEvPKT_PKfPKiPfiiiiiiiiiiiiiiii, .Lfunc_end17-_ZL9mul_mat_fIfLi32ELi13ELi5ELb0EEvPKT_PKfPKiPfiiiiiiiiiiiiiiii
                                        ; -- End function
	.section	.AMDGPU.csdata,"",@progbits
; Kernel info:
; codeLenInByte = 88
; NumSgprs: 40
; NumVgprs: 41
; NumAgprs: 0
; TotalNumVgprs: 41
; ScratchSize: 16
; MemoryBound: 0
; FloatMode: 240
; IeeeMode: 1
; LDSByteSize: 0 bytes/workgroup (compile time only)
; SGPRBlocks: 4
; VGPRBlocks: 5
; NumSGPRsForWavesPerEU: 40
; NumVGPRsForWavesPerEU: 41
; AccumOffset: 44
; Occupancy: 8
; WaveLimiterHint : 1
; COMPUTE_PGM_RSRC2:SCRATCH_EN: 1
; COMPUTE_PGM_RSRC2:USER_SGPR: 8
; COMPUTE_PGM_RSRC2:TRAP_HANDLER: 0
; COMPUTE_PGM_RSRC2:TGID_X_EN: 1
; COMPUTE_PGM_RSRC2:TGID_Y_EN: 0
; COMPUTE_PGM_RSRC2:TGID_Z_EN: 0
; COMPUTE_PGM_RSRC2:TIDIG_COMP_CNT: 0
; COMPUTE_PGM_RSRC3_GFX90A:ACCUM_OFFSET: 10
; COMPUTE_PGM_RSRC3_GFX90A:TG_SPLIT: 0
	.section	.text._ZL13mul_mat_f_idsIfLi32ELi13ELi6EEvPKT_PKfPKiS6_S6_Pfiiiiiiiiiiiiii15HIP_vector_typeIjLj3EES9_,"axG",@progbits,_ZL13mul_mat_f_idsIfLi32ELi13ELi6EEvPKT_PKfPKiS6_S6_Pfiiiiiiiiiiiiii15HIP_vector_typeIjLj3EES9_,comdat
	.globl	_ZL13mul_mat_f_idsIfLi32ELi13ELi6EEvPKT_PKfPKiS6_S6_Pfiiiiiiiiiiiiii15HIP_vector_typeIjLj3EES9_ ; -- Begin function _ZL13mul_mat_f_idsIfLi32ELi13ELi6EEvPKT_PKfPKiS6_S6_Pfiiiiiiiiiiiiii15HIP_vector_typeIjLj3EES9_
	.p2align	8
	.type	_ZL13mul_mat_f_idsIfLi32ELi13ELi6EEvPKT_PKfPKiS6_S6_Pfiiiiiiiiiiiiii15HIP_vector_typeIjLj3EES9_,@function
_ZL13mul_mat_f_idsIfLi32ELi13ELi6EEvPKT_PKfPKiS6_S6_Pfiiiiiiiiiiiiii15HIP_vector_typeIjLj3EES9_: ; @_ZL13mul_mat_f_idsIfLi32ELi13ELi6EEvPKT_PKfPKiS6_S6_Pfiiiiiiiiiiiiii15HIP_vector_typeIjLj3EES9_
; %bb.0:
	s_add_u32 flat_scratch_lo, s6, s9
	s_addc_u32 flat_scratch_hi, s7, 0
	s_add_u32 s0, s0, s9
	s_addc_u32 s1, s1, 0
	s_add_u32 s8, s4, 0x80
	s_addc_u32 s9, s5, 0
	s_getpc_b64 s[4:5]
	s_add_u32 s4, s4, __FUNCTION__._ZL13mul_mat_f_idsIfLi32ELi13ELi1EEvPKT_PKfPKiS6_S6_Pfiiiiiiiiiiiiii15HIP_vector_typeIjLj3EES9_@rel32@lo+4
	s_addc_u32 s5, s5, __FUNCTION__._ZL13mul_mat_f_idsIfLi32ELi13ELi1EEvPKT_PKfPKiS6_S6_Pfiiiiiiiiiiiiii15HIP_vector_typeIjLj3EES9_@rel32@hi+12
	v_mov_b32_e32 v0, 0x13b
	v_mov_b32_e32 v1, s4
	;; [unrolled: 1-line block ×3, first 2 shown]
	s_mov_b32 s32, 0
	s_getpc_b64 s[6:7]
	s_add_u32 s6, s6, _ZL14no_device_codePKciS0_iS0_@rel32@lo+4
	s_addc_u32 s7, s7, _ZL14no_device_codePKciS0_iS0_@rel32@hi+12
	s_swappc_b64 s[30:31], s[6:7]
	.section	.rodata,"a",@progbits
	.p2align	6, 0x0
	.amdhsa_kernel _ZL13mul_mat_f_idsIfLi32ELi13ELi6EEvPKT_PKfPKiS6_S6_Pfiiiiiiiiiiiiii15HIP_vector_typeIjLj3EES9_
		.amdhsa_group_segment_fixed_size 0
		.amdhsa_private_segment_fixed_size 16
		.amdhsa_kernarg_size 384
		.amdhsa_user_sgpr_count 8
		.amdhsa_user_sgpr_private_segment_buffer 1
		.amdhsa_user_sgpr_dispatch_ptr 0
		.amdhsa_user_sgpr_queue_ptr 0
		.amdhsa_user_sgpr_kernarg_segment_ptr 1
		.amdhsa_user_sgpr_dispatch_id 0
		.amdhsa_user_sgpr_flat_scratch_init 1
		.amdhsa_user_sgpr_kernarg_preload_length 0
		.amdhsa_user_sgpr_kernarg_preload_offset 0
		.amdhsa_user_sgpr_private_segment_size 0
		.amdhsa_uses_dynamic_stack 0
		.amdhsa_system_sgpr_private_segment_wavefront_offset 1
		.amdhsa_system_sgpr_workgroup_id_x 1
		.amdhsa_system_sgpr_workgroup_id_y 0
		.amdhsa_system_sgpr_workgroup_id_z 0
		.amdhsa_system_sgpr_workgroup_info 0
		.amdhsa_system_vgpr_workitem_id 0
		.amdhsa_next_free_vgpr 41
		.amdhsa_next_free_sgpr 34
		.amdhsa_accum_offset 44
		.amdhsa_reserve_vcc 1
		.amdhsa_reserve_flat_scratch 1
		.amdhsa_float_round_mode_32 0
		.amdhsa_float_round_mode_16_64 0
		.amdhsa_float_denorm_mode_32 3
		.amdhsa_float_denorm_mode_16_64 3
		.amdhsa_dx10_clamp 1
		.amdhsa_ieee_mode 1
		.amdhsa_fp16_overflow 0
		.amdhsa_tg_split 0
		.amdhsa_exception_fp_ieee_invalid_op 0
		.amdhsa_exception_fp_denorm_src 0
		.amdhsa_exception_fp_ieee_div_zero 0
		.amdhsa_exception_fp_ieee_overflow 0
		.amdhsa_exception_fp_ieee_underflow 0
		.amdhsa_exception_fp_ieee_inexact 0
		.amdhsa_exception_int_div_zero 0
	.end_amdhsa_kernel
	.section	.text._ZL13mul_mat_f_idsIfLi32ELi13ELi6EEvPKT_PKfPKiS6_S6_Pfiiiiiiiiiiiiii15HIP_vector_typeIjLj3EES9_,"axG",@progbits,_ZL13mul_mat_f_idsIfLi32ELi13ELi6EEvPKT_PKfPKiS6_S6_Pfiiiiiiiiiiiiii15HIP_vector_typeIjLj3EES9_,comdat
.Lfunc_end18:
	.size	_ZL13mul_mat_f_idsIfLi32ELi13ELi6EEvPKT_PKfPKiS6_S6_Pfiiiiiiiiiiiiii15HIP_vector_typeIjLj3EES9_, .Lfunc_end18-_ZL13mul_mat_f_idsIfLi32ELi13ELi6EEvPKT_PKfPKiS6_S6_Pfiiiiiiiiiiiiii15HIP_vector_typeIjLj3EES9_
                                        ; -- End function
	.section	.AMDGPU.csdata,"",@progbits
; Kernel info:
; codeLenInByte = 92
; NumSgprs: 40
; NumVgprs: 41
; NumAgprs: 0
; TotalNumVgprs: 41
; ScratchSize: 16
; MemoryBound: 0
; FloatMode: 240
; IeeeMode: 1
; LDSByteSize: 0 bytes/workgroup (compile time only)
; SGPRBlocks: 4
; VGPRBlocks: 5
; NumSGPRsForWavesPerEU: 40
; NumVGPRsForWavesPerEU: 41
; AccumOffset: 44
; Occupancy: 8
; WaveLimiterHint : 1
; COMPUTE_PGM_RSRC2:SCRATCH_EN: 1
; COMPUTE_PGM_RSRC2:USER_SGPR: 8
; COMPUTE_PGM_RSRC2:TRAP_HANDLER: 0
; COMPUTE_PGM_RSRC2:TGID_X_EN: 1
; COMPUTE_PGM_RSRC2:TGID_Y_EN: 0
; COMPUTE_PGM_RSRC2:TGID_Z_EN: 0
; COMPUTE_PGM_RSRC2:TIDIG_COMP_CNT: 0
; COMPUTE_PGM_RSRC3_GFX90A:ACCUM_OFFSET: 10
; COMPUTE_PGM_RSRC3_GFX90A:TG_SPLIT: 0
	.section	.text._ZL9mul_mat_fIfLi32ELi13ELi6ELb1EEvPKT_PKfPKiPfiiiiiiiiiiiiiiii,"axG",@progbits,_ZL9mul_mat_fIfLi32ELi13ELi6ELb1EEvPKT_PKfPKiPfiiiiiiiiiiiiiiii,comdat
	.globl	_ZL9mul_mat_fIfLi32ELi13ELi6ELb1EEvPKT_PKfPKiPfiiiiiiiiiiiiiiii ; -- Begin function _ZL9mul_mat_fIfLi32ELi13ELi6ELb1EEvPKT_PKfPKiPfiiiiiiiiiiiiiiii
	.p2align	8
	.type	_ZL9mul_mat_fIfLi32ELi13ELi6ELb1EEvPKT_PKfPKiPfiiiiiiiiiiiiiiii,@function
_ZL9mul_mat_fIfLi32ELi13ELi6ELb1EEvPKT_PKfPKiPfiiiiiiiiiiiiiiii: ; @_ZL9mul_mat_fIfLi32ELi13ELi6ELb1EEvPKT_PKfPKiPfiiiiiiiiiiiiiiii
; %bb.0:
	s_add_u32 flat_scratch_lo, s6, s9
	s_addc_u32 flat_scratch_hi, s7, 0
	s_add_u32 s0, s0, s9
	s_addc_u32 s1, s1, 0
	s_add_u32 s8, s4, 0x60
	s_addc_u32 s9, s5, 0
	s_getpc_b64 s[4:5]
	s_add_u32 s4, s4, __FUNCTION__._ZL9mul_mat_fIfLi32ELi13ELi1ELb1EEvPKT_PKfPKiPfiiiiiiiiiiiiiiii@rel32@lo+4
	s_addc_u32 s5, s5, __FUNCTION__._ZL9mul_mat_fIfLi32ELi13ELi1ELb1EEvPKT_PKfPKiPfiiiiiiiiiiiiiiii@rel32@hi+12
	v_mov_b32_e32 v0, 64
	v_mov_b32_e32 v1, s4
	v_mov_b32_e32 v2, s5
	s_mov_b32 s32, 0
	s_getpc_b64 s[6:7]
	s_add_u32 s6, s6, _ZL14no_device_codePKciS0_iS0_@rel32@lo+4
	s_addc_u32 s7, s7, _ZL14no_device_codePKciS0_iS0_@rel32@hi+12
	s_swappc_b64 s[30:31], s[6:7]
	.section	.rodata,"a",@progbits
	.p2align	6, 0x0
	.amdhsa_kernel _ZL9mul_mat_fIfLi32ELi13ELi6ELb1EEvPKT_PKfPKiPfiiiiiiiiiiiiiiii
		.amdhsa_group_segment_fixed_size 0
		.amdhsa_private_segment_fixed_size 16
		.amdhsa_kernarg_size 352
		.amdhsa_user_sgpr_count 8
		.amdhsa_user_sgpr_private_segment_buffer 1
		.amdhsa_user_sgpr_dispatch_ptr 0
		.amdhsa_user_sgpr_queue_ptr 0
		.amdhsa_user_sgpr_kernarg_segment_ptr 1
		.amdhsa_user_sgpr_dispatch_id 0
		.amdhsa_user_sgpr_flat_scratch_init 1
		.amdhsa_user_sgpr_kernarg_preload_length 0
		.amdhsa_user_sgpr_kernarg_preload_offset 0
		.amdhsa_user_sgpr_private_segment_size 0
		.amdhsa_uses_dynamic_stack 0
		.amdhsa_system_sgpr_private_segment_wavefront_offset 1
		.amdhsa_system_sgpr_workgroup_id_x 1
		.amdhsa_system_sgpr_workgroup_id_y 0
		.amdhsa_system_sgpr_workgroup_id_z 0
		.amdhsa_system_sgpr_workgroup_info 0
		.amdhsa_system_vgpr_workitem_id 0
		.amdhsa_next_free_vgpr 41
		.amdhsa_next_free_sgpr 34
		.amdhsa_accum_offset 44
		.amdhsa_reserve_vcc 1
		.amdhsa_reserve_flat_scratch 1
		.amdhsa_float_round_mode_32 0
		.amdhsa_float_round_mode_16_64 0
		.amdhsa_float_denorm_mode_32 3
		.amdhsa_float_denorm_mode_16_64 3
		.amdhsa_dx10_clamp 1
		.amdhsa_ieee_mode 1
		.amdhsa_fp16_overflow 0
		.amdhsa_tg_split 0
		.amdhsa_exception_fp_ieee_invalid_op 0
		.amdhsa_exception_fp_denorm_src 0
		.amdhsa_exception_fp_ieee_div_zero 0
		.amdhsa_exception_fp_ieee_overflow 0
		.amdhsa_exception_fp_ieee_underflow 0
		.amdhsa_exception_fp_ieee_inexact 0
		.amdhsa_exception_int_div_zero 0
	.end_amdhsa_kernel
	.section	.text._ZL9mul_mat_fIfLi32ELi13ELi6ELb1EEvPKT_PKfPKiPfiiiiiiiiiiiiiiii,"axG",@progbits,_ZL9mul_mat_fIfLi32ELi13ELi6ELb1EEvPKT_PKfPKiPfiiiiiiiiiiiiiiii,comdat
.Lfunc_end19:
	.size	_ZL9mul_mat_fIfLi32ELi13ELi6ELb1EEvPKT_PKfPKiPfiiiiiiiiiiiiiiii, .Lfunc_end19-_ZL9mul_mat_fIfLi32ELi13ELi6ELb1EEvPKT_PKfPKiPfiiiiiiiiiiiiiiii
                                        ; -- End function
	.section	.AMDGPU.csdata,"",@progbits
; Kernel info:
; codeLenInByte = 88
; NumSgprs: 40
; NumVgprs: 41
; NumAgprs: 0
; TotalNumVgprs: 41
; ScratchSize: 16
; MemoryBound: 0
; FloatMode: 240
; IeeeMode: 1
; LDSByteSize: 0 bytes/workgroup (compile time only)
; SGPRBlocks: 4
; VGPRBlocks: 5
; NumSGPRsForWavesPerEU: 40
; NumVGPRsForWavesPerEU: 41
; AccumOffset: 44
; Occupancy: 8
; WaveLimiterHint : 1
; COMPUTE_PGM_RSRC2:SCRATCH_EN: 1
; COMPUTE_PGM_RSRC2:USER_SGPR: 8
; COMPUTE_PGM_RSRC2:TRAP_HANDLER: 0
; COMPUTE_PGM_RSRC2:TGID_X_EN: 1
; COMPUTE_PGM_RSRC2:TGID_Y_EN: 0
; COMPUTE_PGM_RSRC2:TGID_Z_EN: 0
; COMPUTE_PGM_RSRC2:TIDIG_COMP_CNT: 0
; COMPUTE_PGM_RSRC3_GFX90A:ACCUM_OFFSET: 10
; COMPUTE_PGM_RSRC3_GFX90A:TG_SPLIT: 0
	.section	.text._ZL9mul_mat_fIfLi32ELi13ELi6ELb0EEvPKT_PKfPKiPfiiiiiiiiiiiiiiii,"axG",@progbits,_ZL9mul_mat_fIfLi32ELi13ELi6ELb0EEvPKT_PKfPKiPfiiiiiiiiiiiiiiii,comdat
	.globl	_ZL9mul_mat_fIfLi32ELi13ELi6ELb0EEvPKT_PKfPKiPfiiiiiiiiiiiiiiii ; -- Begin function _ZL9mul_mat_fIfLi32ELi13ELi6ELb0EEvPKT_PKfPKiPfiiiiiiiiiiiiiiii
	.p2align	8
	.type	_ZL9mul_mat_fIfLi32ELi13ELi6ELb0EEvPKT_PKfPKiPfiiiiiiiiiiiiiiii,@function
_ZL9mul_mat_fIfLi32ELi13ELi6ELb0EEvPKT_PKfPKiPfiiiiiiiiiiiiiiii: ; @_ZL9mul_mat_fIfLi32ELi13ELi6ELb0EEvPKT_PKfPKiPfiiiiiiiiiiiiiiii
; %bb.0:
	s_add_u32 flat_scratch_lo, s6, s9
	s_addc_u32 flat_scratch_hi, s7, 0
	s_add_u32 s0, s0, s9
	s_addc_u32 s1, s1, 0
	s_add_u32 s8, s4, 0x60
	s_addc_u32 s9, s5, 0
	s_getpc_b64 s[4:5]
	s_add_u32 s4, s4, __FUNCTION__._ZL9mul_mat_fIfLi32ELi13ELi1ELb1EEvPKT_PKfPKiPfiiiiiiiiiiiiiiii@rel32@lo+4
	s_addc_u32 s5, s5, __FUNCTION__._ZL9mul_mat_fIfLi32ELi13ELi1ELb1EEvPKT_PKfPKiPfiiiiiiiiiiiiiiii@rel32@hi+12
	v_mov_b32_e32 v0, 64
	v_mov_b32_e32 v1, s4
	;; [unrolled: 1-line block ×3, first 2 shown]
	s_mov_b32 s32, 0
	s_getpc_b64 s[6:7]
	s_add_u32 s6, s6, _ZL14no_device_codePKciS0_iS0_@rel32@lo+4
	s_addc_u32 s7, s7, _ZL14no_device_codePKciS0_iS0_@rel32@hi+12
	s_swappc_b64 s[30:31], s[6:7]
	.section	.rodata,"a",@progbits
	.p2align	6, 0x0
	.amdhsa_kernel _ZL9mul_mat_fIfLi32ELi13ELi6ELb0EEvPKT_PKfPKiPfiiiiiiiiiiiiiiii
		.amdhsa_group_segment_fixed_size 0
		.amdhsa_private_segment_fixed_size 16
		.amdhsa_kernarg_size 352
		.amdhsa_user_sgpr_count 8
		.amdhsa_user_sgpr_private_segment_buffer 1
		.amdhsa_user_sgpr_dispatch_ptr 0
		.amdhsa_user_sgpr_queue_ptr 0
		.amdhsa_user_sgpr_kernarg_segment_ptr 1
		.amdhsa_user_sgpr_dispatch_id 0
		.amdhsa_user_sgpr_flat_scratch_init 1
		.amdhsa_user_sgpr_kernarg_preload_length 0
		.amdhsa_user_sgpr_kernarg_preload_offset 0
		.amdhsa_user_sgpr_private_segment_size 0
		.amdhsa_uses_dynamic_stack 0
		.amdhsa_system_sgpr_private_segment_wavefront_offset 1
		.amdhsa_system_sgpr_workgroup_id_x 1
		.amdhsa_system_sgpr_workgroup_id_y 0
		.amdhsa_system_sgpr_workgroup_id_z 0
		.amdhsa_system_sgpr_workgroup_info 0
		.amdhsa_system_vgpr_workitem_id 0
		.amdhsa_next_free_vgpr 41
		.amdhsa_next_free_sgpr 34
		.amdhsa_accum_offset 44
		.amdhsa_reserve_vcc 1
		.amdhsa_reserve_flat_scratch 1
		.amdhsa_float_round_mode_32 0
		.amdhsa_float_round_mode_16_64 0
		.amdhsa_float_denorm_mode_32 3
		.amdhsa_float_denorm_mode_16_64 3
		.amdhsa_dx10_clamp 1
		.amdhsa_ieee_mode 1
		.amdhsa_fp16_overflow 0
		.amdhsa_tg_split 0
		.amdhsa_exception_fp_ieee_invalid_op 0
		.amdhsa_exception_fp_denorm_src 0
		.amdhsa_exception_fp_ieee_div_zero 0
		.amdhsa_exception_fp_ieee_overflow 0
		.amdhsa_exception_fp_ieee_underflow 0
		.amdhsa_exception_fp_ieee_inexact 0
		.amdhsa_exception_int_div_zero 0
	.end_amdhsa_kernel
	.section	.text._ZL9mul_mat_fIfLi32ELi13ELi6ELb0EEvPKT_PKfPKiPfiiiiiiiiiiiiiiii,"axG",@progbits,_ZL9mul_mat_fIfLi32ELi13ELi6ELb0EEvPKT_PKfPKiPfiiiiiiiiiiiiiiii,comdat
.Lfunc_end20:
	.size	_ZL9mul_mat_fIfLi32ELi13ELi6ELb0EEvPKT_PKfPKiPfiiiiiiiiiiiiiiii, .Lfunc_end20-_ZL9mul_mat_fIfLi32ELi13ELi6ELb0EEvPKT_PKfPKiPfiiiiiiiiiiiiiiii
                                        ; -- End function
	.section	.AMDGPU.csdata,"",@progbits
; Kernel info:
; codeLenInByte = 88
; NumSgprs: 40
; NumVgprs: 41
; NumAgprs: 0
; TotalNumVgprs: 41
; ScratchSize: 16
; MemoryBound: 0
; FloatMode: 240
; IeeeMode: 1
; LDSByteSize: 0 bytes/workgroup (compile time only)
; SGPRBlocks: 4
; VGPRBlocks: 5
; NumSGPRsForWavesPerEU: 40
; NumVGPRsForWavesPerEU: 41
; AccumOffset: 44
; Occupancy: 8
; WaveLimiterHint : 1
; COMPUTE_PGM_RSRC2:SCRATCH_EN: 1
; COMPUTE_PGM_RSRC2:USER_SGPR: 8
; COMPUTE_PGM_RSRC2:TRAP_HANDLER: 0
; COMPUTE_PGM_RSRC2:TGID_X_EN: 1
; COMPUTE_PGM_RSRC2:TGID_Y_EN: 0
; COMPUTE_PGM_RSRC2:TGID_Z_EN: 0
; COMPUTE_PGM_RSRC2:TIDIG_COMP_CNT: 0
; COMPUTE_PGM_RSRC3_GFX90A:ACCUM_OFFSET: 10
; COMPUTE_PGM_RSRC3_GFX90A:TG_SPLIT: 0
	.section	.text._ZL13mul_mat_f_idsIfLi32ELi13ELi7EEvPKT_PKfPKiS6_S6_Pfiiiiiiiiiiiiii15HIP_vector_typeIjLj3EES9_,"axG",@progbits,_ZL13mul_mat_f_idsIfLi32ELi13ELi7EEvPKT_PKfPKiS6_S6_Pfiiiiiiiiiiiiii15HIP_vector_typeIjLj3EES9_,comdat
	.globl	_ZL13mul_mat_f_idsIfLi32ELi13ELi7EEvPKT_PKfPKiS6_S6_Pfiiiiiiiiiiiiii15HIP_vector_typeIjLj3EES9_ ; -- Begin function _ZL13mul_mat_f_idsIfLi32ELi13ELi7EEvPKT_PKfPKiS6_S6_Pfiiiiiiiiiiiiii15HIP_vector_typeIjLj3EES9_
	.p2align	8
	.type	_ZL13mul_mat_f_idsIfLi32ELi13ELi7EEvPKT_PKfPKiS6_S6_Pfiiiiiiiiiiiiii15HIP_vector_typeIjLj3EES9_,@function
_ZL13mul_mat_f_idsIfLi32ELi13ELi7EEvPKT_PKfPKiS6_S6_Pfiiiiiiiiiiiiii15HIP_vector_typeIjLj3EES9_: ; @_ZL13mul_mat_f_idsIfLi32ELi13ELi7EEvPKT_PKfPKiS6_S6_Pfiiiiiiiiiiiiii15HIP_vector_typeIjLj3EES9_
; %bb.0:
	s_add_u32 flat_scratch_lo, s6, s9
	s_addc_u32 flat_scratch_hi, s7, 0
	s_add_u32 s0, s0, s9
	s_addc_u32 s1, s1, 0
	s_add_u32 s8, s4, 0x80
	s_addc_u32 s9, s5, 0
	s_getpc_b64 s[4:5]
	s_add_u32 s4, s4, __FUNCTION__._ZL13mul_mat_f_idsIfLi32ELi13ELi1EEvPKT_PKfPKiS6_S6_Pfiiiiiiiiiiiiii15HIP_vector_typeIjLj3EES9_@rel32@lo+4
	s_addc_u32 s5, s5, __FUNCTION__._ZL13mul_mat_f_idsIfLi32ELi13ELi1EEvPKT_PKfPKiS6_S6_Pfiiiiiiiiiiiiii15HIP_vector_typeIjLj3EES9_@rel32@hi+12
	v_mov_b32_e32 v0, 0x13b
	v_mov_b32_e32 v1, s4
	;; [unrolled: 1-line block ×3, first 2 shown]
	s_mov_b32 s32, 0
	s_getpc_b64 s[6:7]
	s_add_u32 s6, s6, _ZL14no_device_codePKciS0_iS0_@rel32@lo+4
	s_addc_u32 s7, s7, _ZL14no_device_codePKciS0_iS0_@rel32@hi+12
	s_swappc_b64 s[30:31], s[6:7]
	.section	.rodata,"a",@progbits
	.p2align	6, 0x0
	.amdhsa_kernel _ZL13mul_mat_f_idsIfLi32ELi13ELi7EEvPKT_PKfPKiS6_S6_Pfiiiiiiiiiiiiii15HIP_vector_typeIjLj3EES9_
		.amdhsa_group_segment_fixed_size 0
		.amdhsa_private_segment_fixed_size 16
		.amdhsa_kernarg_size 384
		.amdhsa_user_sgpr_count 8
		.amdhsa_user_sgpr_private_segment_buffer 1
		.amdhsa_user_sgpr_dispatch_ptr 0
		.amdhsa_user_sgpr_queue_ptr 0
		.amdhsa_user_sgpr_kernarg_segment_ptr 1
		.amdhsa_user_sgpr_dispatch_id 0
		.amdhsa_user_sgpr_flat_scratch_init 1
		.amdhsa_user_sgpr_kernarg_preload_length 0
		.amdhsa_user_sgpr_kernarg_preload_offset 0
		.amdhsa_user_sgpr_private_segment_size 0
		.amdhsa_uses_dynamic_stack 0
		.amdhsa_system_sgpr_private_segment_wavefront_offset 1
		.amdhsa_system_sgpr_workgroup_id_x 1
		.amdhsa_system_sgpr_workgroup_id_y 0
		.amdhsa_system_sgpr_workgroup_id_z 0
		.amdhsa_system_sgpr_workgroup_info 0
		.amdhsa_system_vgpr_workitem_id 0
		.amdhsa_next_free_vgpr 41
		.amdhsa_next_free_sgpr 34
		.amdhsa_accum_offset 44
		.amdhsa_reserve_vcc 1
		.amdhsa_reserve_flat_scratch 1
		.amdhsa_float_round_mode_32 0
		.amdhsa_float_round_mode_16_64 0
		.amdhsa_float_denorm_mode_32 3
		.amdhsa_float_denorm_mode_16_64 3
		.amdhsa_dx10_clamp 1
		.amdhsa_ieee_mode 1
		.amdhsa_fp16_overflow 0
		.amdhsa_tg_split 0
		.amdhsa_exception_fp_ieee_invalid_op 0
		.amdhsa_exception_fp_denorm_src 0
		.amdhsa_exception_fp_ieee_div_zero 0
		.amdhsa_exception_fp_ieee_overflow 0
		.amdhsa_exception_fp_ieee_underflow 0
		.amdhsa_exception_fp_ieee_inexact 0
		.amdhsa_exception_int_div_zero 0
	.end_amdhsa_kernel
	.section	.text._ZL13mul_mat_f_idsIfLi32ELi13ELi7EEvPKT_PKfPKiS6_S6_Pfiiiiiiiiiiiiii15HIP_vector_typeIjLj3EES9_,"axG",@progbits,_ZL13mul_mat_f_idsIfLi32ELi13ELi7EEvPKT_PKfPKiS6_S6_Pfiiiiiiiiiiiiii15HIP_vector_typeIjLj3EES9_,comdat
.Lfunc_end21:
	.size	_ZL13mul_mat_f_idsIfLi32ELi13ELi7EEvPKT_PKfPKiS6_S6_Pfiiiiiiiiiiiiii15HIP_vector_typeIjLj3EES9_, .Lfunc_end21-_ZL13mul_mat_f_idsIfLi32ELi13ELi7EEvPKT_PKfPKiS6_S6_Pfiiiiiiiiiiiiii15HIP_vector_typeIjLj3EES9_
                                        ; -- End function
	.section	.AMDGPU.csdata,"",@progbits
; Kernel info:
; codeLenInByte = 92
; NumSgprs: 40
; NumVgprs: 41
; NumAgprs: 0
; TotalNumVgprs: 41
; ScratchSize: 16
; MemoryBound: 0
; FloatMode: 240
; IeeeMode: 1
; LDSByteSize: 0 bytes/workgroup (compile time only)
; SGPRBlocks: 4
; VGPRBlocks: 5
; NumSGPRsForWavesPerEU: 40
; NumVGPRsForWavesPerEU: 41
; AccumOffset: 44
; Occupancy: 7
; WaveLimiterHint : 1
; COMPUTE_PGM_RSRC2:SCRATCH_EN: 1
; COMPUTE_PGM_RSRC2:USER_SGPR: 8
; COMPUTE_PGM_RSRC2:TRAP_HANDLER: 0
; COMPUTE_PGM_RSRC2:TGID_X_EN: 1
; COMPUTE_PGM_RSRC2:TGID_Y_EN: 0
; COMPUTE_PGM_RSRC2:TGID_Z_EN: 0
; COMPUTE_PGM_RSRC2:TIDIG_COMP_CNT: 0
; COMPUTE_PGM_RSRC3_GFX90A:ACCUM_OFFSET: 10
; COMPUTE_PGM_RSRC3_GFX90A:TG_SPLIT: 0
	.section	.text._ZL9mul_mat_fIfLi32ELi13ELi7ELb1EEvPKT_PKfPKiPfiiiiiiiiiiiiiiii,"axG",@progbits,_ZL9mul_mat_fIfLi32ELi13ELi7ELb1EEvPKT_PKfPKiPfiiiiiiiiiiiiiiii,comdat
	.globl	_ZL9mul_mat_fIfLi32ELi13ELi7ELb1EEvPKT_PKfPKiPfiiiiiiiiiiiiiiii ; -- Begin function _ZL9mul_mat_fIfLi32ELi13ELi7ELb1EEvPKT_PKfPKiPfiiiiiiiiiiiiiiii
	.p2align	8
	.type	_ZL9mul_mat_fIfLi32ELi13ELi7ELb1EEvPKT_PKfPKiPfiiiiiiiiiiiiiiii,@function
_ZL9mul_mat_fIfLi32ELi13ELi7ELb1EEvPKT_PKfPKiPfiiiiiiiiiiiiiiii: ; @_ZL9mul_mat_fIfLi32ELi13ELi7ELb1EEvPKT_PKfPKiPfiiiiiiiiiiiiiiii
; %bb.0:
	s_add_u32 flat_scratch_lo, s6, s9
	s_addc_u32 flat_scratch_hi, s7, 0
	s_add_u32 s0, s0, s9
	s_addc_u32 s1, s1, 0
	s_add_u32 s8, s4, 0x60
	s_addc_u32 s9, s5, 0
	s_getpc_b64 s[4:5]
	s_add_u32 s4, s4, __FUNCTION__._ZL9mul_mat_fIfLi32ELi13ELi1ELb1EEvPKT_PKfPKiPfiiiiiiiiiiiiiiii@rel32@lo+4
	s_addc_u32 s5, s5, __FUNCTION__._ZL9mul_mat_fIfLi32ELi13ELi1ELb1EEvPKT_PKfPKiPfiiiiiiiiiiiiiiii@rel32@hi+12
	v_mov_b32_e32 v0, 64
	v_mov_b32_e32 v1, s4
	;; [unrolled: 1-line block ×3, first 2 shown]
	s_mov_b32 s32, 0
	s_getpc_b64 s[6:7]
	s_add_u32 s6, s6, _ZL14no_device_codePKciS0_iS0_@rel32@lo+4
	s_addc_u32 s7, s7, _ZL14no_device_codePKciS0_iS0_@rel32@hi+12
	s_swappc_b64 s[30:31], s[6:7]
	.section	.rodata,"a",@progbits
	.p2align	6, 0x0
	.amdhsa_kernel _ZL9mul_mat_fIfLi32ELi13ELi7ELb1EEvPKT_PKfPKiPfiiiiiiiiiiiiiiii
		.amdhsa_group_segment_fixed_size 0
		.amdhsa_private_segment_fixed_size 16
		.amdhsa_kernarg_size 352
		.amdhsa_user_sgpr_count 8
		.amdhsa_user_sgpr_private_segment_buffer 1
		.amdhsa_user_sgpr_dispatch_ptr 0
		.amdhsa_user_sgpr_queue_ptr 0
		.amdhsa_user_sgpr_kernarg_segment_ptr 1
		.amdhsa_user_sgpr_dispatch_id 0
		.amdhsa_user_sgpr_flat_scratch_init 1
		.amdhsa_user_sgpr_kernarg_preload_length 0
		.amdhsa_user_sgpr_kernarg_preload_offset 0
		.amdhsa_user_sgpr_private_segment_size 0
		.amdhsa_uses_dynamic_stack 0
		.amdhsa_system_sgpr_private_segment_wavefront_offset 1
		.amdhsa_system_sgpr_workgroup_id_x 1
		.amdhsa_system_sgpr_workgroup_id_y 0
		.amdhsa_system_sgpr_workgroup_id_z 0
		.amdhsa_system_sgpr_workgroup_info 0
		.amdhsa_system_vgpr_workitem_id 0
		.amdhsa_next_free_vgpr 41
		.amdhsa_next_free_sgpr 34
		.amdhsa_accum_offset 44
		.amdhsa_reserve_vcc 1
		.amdhsa_reserve_flat_scratch 1
		.amdhsa_float_round_mode_32 0
		.amdhsa_float_round_mode_16_64 0
		.amdhsa_float_denorm_mode_32 3
		.amdhsa_float_denorm_mode_16_64 3
		.amdhsa_dx10_clamp 1
		.amdhsa_ieee_mode 1
		.amdhsa_fp16_overflow 0
		.amdhsa_tg_split 0
		.amdhsa_exception_fp_ieee_invalid_op 0
		.amdhsa_exception_fp_denorm_src 0
		.amdhsa_exception_fp_ieee_div_zero 0
		.amdhsa_exception_fp_ieee_overflow 0
		.amdhsa_exception_fp_ieee_underflow 0
		.amdhsa_exception_fp_ieee_inexact 0
		.amdhsa_exception_int_div_zero 0
	.end_amdhsa_kernel
	.section	.text._ZL9mul_mat_fIfLi32ELi13ELi7ELb1EEvPKT_PKfPKiPfiiiiiiiiiiiiiiii,"axG",@progbits,_ZL9mul_mat_fIfLi32ELi13ELi7ELb1EEvPKT_PKfPKiPfiiiiiiiiiiiiiiii,comdat
.Lfunc_end22:
	.size	_ZL9mul_mat_fIfLi32ELi13ELi7ELb1EEvPKT_PKfPKiPfiiiiiiiiiiiiiiii, .Lfunc_end22-_ZL9mul_mat_fIfLi32ELi13ELi7ELb1EEvPKT_PKfPKiPfiiiiiiiiiiiiiiii
                                        ; -- End function
	.section	.AMDGPU.csdata,"",@progbits
; Kernel info:
; codeLenInByte = 88
; NumSgprs: 40
; NumVgprs: 41
; NumAgprs: 0
; TotalNumVgprs: 41
; ScratchSize: 16
; MemoryBound: 0
; FloatMode: 240
; IeeeMode: 1
; LDSByteSize: 0 bytes/workgroup (compile time only)
; SGPRBlocks: 4
; VGPRBlocks: 5
; NumSGPRsForWavesPerEU: 40
; NumVGPRsForWavesPerEU: 41
; AccumOffset: 44
; Occupancy: 7
; WaveLimiterHint : 1
; COMPUTE_PGM_RSRC2:SCRATCH_EN: 1
; COMPUTE_PGM_RSRC2:USER_SGPR: 8
; COMPUTE_PGM_RSRC2:TRAP_HANDLER: 0
; COMPUTE_PGM_RSRC2:TGID_X_EN: 1
; COMPUTE_PGM_RSRC2:TGID_Y_EN: 0
; COMPUTE_PGM_RSRC2:TGID_Z_EN: 0
; COMPUTE_PGM_RSRC2:TIDIG_COMP_CNT: 0
; COMPUTE_PGM_RSRC3_GFX90A:ACCUM_OFFSET: 10
; COMPUTE_PGM_RSRC3_GFX90A:TG_SPLIT: 0
	.section	.text._ZL9mul_mat_fIfLi32ELi13ELi7ELb0EEvPKT_PKfPKiPfiiiiiiiiiiiiiiii,"axG",@progbits,_ZL9mul_mat_fIfLi32ELi13ELi7ELb0EEvPKT_PKfPKiPfiiiiiiiiiiiiiiii,comdat
	.globl	_ZL9mul_mat_fIfLi32ELi13ELi7ELb0EEvPKT_PKfPKiPfiiiiiiiiiiiiiiii ; -- Begin function _ZL9mul_mat_fIfLi32ELi13ELi7ELb0EEvPKT_PKfPKiPfiiiiiiiiiiiiiiii
	.p2align	8
	.type	_ZL9mul_mat_fIfLi32ELi13ELi7ELb0EEvPKT_PKfPKiPfiiiiiiiiiiiiiiii,@function
_ZL9mul_mat_fIfLi32ELi13ELi7ELb0EEvPKT_PKfPKiPfiiiiiiiiiiiiiiii: ; @_ZL9mul_mat_fIfLi32ELi13ELi7ELb0EEvPKT_PKfPKiPfiiiiiiiiiiiiiiii
; %bb.0:
	s_add_u32 flat_scratch_lo, s6, s9
	s_addc_u32 flat_scratch_hi, s7, 0
	s_add_u32 s0, s0, s9
	s_addc_u32 s1, s1, 0
	s_add_u32 s8, s4, 0x60
	s_addc_u32 s9, s5, 0
	s_getpc_b64 s[4:5]
	s_add_u32 s4, s4, __FUNCTION__._ZL9mul_mat_fIfLi32ELi13ELi1ELb1EEvPKT_PKfPKiPfiiiiiiiiiiiiiiii@rel32@lo+4
	s_addc_u32 s5, s5, __FUNCTION__._ZL9mul_mat_fIfLi32ELi13ELi1ELb1EEvPKT_PKfPKiPfiiiiiiiiiiiiiiii@rel32@hi+12
	v_mov_b32_e32 v0, 64
	v_mov_b32_e32 v1, s4
	;; [unrolled: 1-line block ×3, first 2 shown]
	s_mov_b32 s32, 0
	s_getpc_b64 s[6:7]
	s_add_u32 s6, s6, _ZL14no_device_codePKciS0_iS0_@rel32@lo+4
	s_addc_u32 s7, s7, _ZL14no_device_codePKciS0_iS0_@rel32@hi+12
	s_swappc_b64 s[30:31], s[6:7]
	.section	.rodata,"a",@progbits
	.p2align	6, 0x0
	.amdhsa_kernel _ZL9mul_mat_fIfLi32ELi13ELi7ELb0EEvPKT_PKfPKiPfiiiiiiiiiiiiiiii
		.amdhsa_group_segment_fixed_size 0
		.amdhsa_private_segment_fixed_size 16
		.amdhsa_kernarg_size 352
		.amdhsa_user_sgpr_count 8
		.amdhsa_user_sgpr_private_segment_buffer 1
		.amdhsa_user_sgpr_dispatch_ptr 0
		.amdhsa_user_sgpr_queue_ptr 0
		.amdhsa_user_sgpr_kernarg_segment_ptr 1
		.amdhsa_user_sgpr_dispatch_id 0
		.amdhsa_user_sgpr_flat_scratch_init 1
		.amdhsa_user_sgpr_kernarg_preload_length 0
		.amdhsa_user_sgpr_kernarg_preload_offset 0
		.amdhsa_user_sgpr_private_segment_size 0
		.amdhsa_uses_dynamic_stack 0
		.amdhsa_system_sgpr_private_segment_wavefront_offset 1
		.amdhsa_system_sgpr_workgroup_id_x 1
		.amdhsa_system_sgpr_workgroup_id_y 0
		.amdhsa_system_sgpr_workgroup_id_z 0
		.amdhsa_system_sgpr_workgroup_info 0
		.amdhsa_system_vgpr_workitem_id 0
		.amdhsa_next_free_vgpr 41
		.amdhsa_next_free_sgpr 34
		.amdhsa_accum_offset 44
		.amdhsa_reserve_vcc 1
		.amdhsa_reserve_flat_scratch 1
		.amdhsa_float_round_mode_32 0
		.amdhsa_float_round_mode_16_64 0
		.amdhsa_float_denorm_mode_32 3
		.amdhsa_float_denorm_mode_16_64 3
		.amdhsa_dx10_clamp 1
		.amdhsa_ieee_mode 1
		.amdhsa_fp16_overflow 0
		.amdhsa_tg_split 0
		.amdhsa_exception_fp_ieee_invalid_op 0
		.amdhsa_exception_fp_denorm_src 0
		.amdhsa_exception_fp_ieee_div_zero 0
		.amdhsa_exception_fp_ieee_overflow 0
		.amdhsa_exception_fp_ieee_underflow 0
		.amdhsa_exception_fp_ieee_inexact 0
		.amdhsa_exception_int_div_zero 0
	.end_amdhsa_kernel
	.section	.text._ZL9mul_mat_fIfLi32ELi13ELi7ELb0EEvPKT_PKfPKiPfiiiiiiiiiiiiiiii,"axG",@progbits,_ZL9mul_mat_fIfLi32ELi13ELi7ELb0EEvPKT_PKfPKiPfiiiiiiiiiiiiiiii,comdat
.Lfunc_end23:
	.size	_ZL9mul_mat_fIfLi32ELi13ELi7ELb0EEvPKT_PKfPKiPfiiiiiiiiiiiiiiii, .Lfunc_end23-_ZL9mul_mat_fIfLi32ELi13ELi7ELb0EEvPKT_PKfPKiPfiiiiiiiiiiiiiiii
                                        ; -- End function
	.section	.AMDGPU.csdata,"",@progbits
; Kernel info:
; codeLenInByte = 88
; NumSgprs: 40
; NumVgprs: 41
; NumAgprs: 0
; TotalNumVgprs: 41
; ScratchSize: 16
; MemoryBound: 0
; FloatMode: 240
; IeeeMode: 1
; LDSByteSize: 0 bytes/workgroup (compile time only)
; SGPRBlocks: 4
; VGPRBlocks: 5
; NumSGPRsForWavesPerEU: 40
; NumVGPRsForWavesPerEU: 41
; AccumOffset: 44
; Occupancy: 7
; WaveLimiterHint : 1
; COMPUTE_PGM_RSRC2:SCRATCH_EN: 1
; COMPUTE_PGM_RSRC2:USER_SGPR: 8
; COMPUTE_PGM_RSRC2:TRAP_HANDLER: 0
; COMPUTE_PGM_RSRC2:TGID_X_EN: 1
; COMPUTE_PGM_RSRC2:TGID_Y_EN: 0
; COMPUTE_PGM_RSRC2:TGID_Z_EN: 0
; COMPUTE_PGM_RSRC2:TIDIG_COMP_CNT: 0
; COMPUTE_PGM_RSRC3_GFX90A:ACCUM_OFFSET: 10
; COMPUTE_PGM_RSRC3_GFX90A:TG_SPLIT: 0
	.section	.text._ZL13mul_mat_f_idsIfLi32ELi13ELi8EEvPKT_PKfPKiS6_S6_Pfiiiiiiiiiiiiii15HIP_vector_typeIjLj3EES9_,"axG",@progbits,_ZL13mul_mat_f_idsIfLi32ELi13ELi8EEvPKT_PKfPKiS6_S6_Pfiiiiiiiiiiiiii15HIP_vector_typeIjLj3EES9_,comdat
	.globl	_ZL13mul_mat_f_idsIfLi32ELi13ELi8EEvPKT_PKfPKiS6_S6_Pfiiiiiiiiiiiiii15HIP_vector_typeIjLj3EES9_ ; -- Begin function _ZL13mul_mat_f_idsIfLi32ELi13ELi8EEvPKT_PKfPKiS6_S6_Pfiiiiiiiiiiiiii15HIP_vector_typeIjLj3EES9_
	.p2align	8
	.type	_ZL13mul_mat_f_idsIfLi32ELi13ELi8EEvPKT_PKfPKiS6_S6_Pfiiiiiiiiiiiiii15HIP_vector_typeIjLj3EES9_,@function
_ZL13mul_mat_f_idsIfLi32ELi13ELi8EEvPKT_PKfPKiS6_S6_Pfiiiiiiiiiiiiii15HIP_vector_typeIjLj3EES9_: ; @_ZL13mul_mat_f_idsIfLi32ELi13ELi8EEvPKT_PKfPKiS6_S6_Pfiiiiiiiiiiiiii15HIP_vector_typeIjLj3EES9_
; %bb.0:
	s_add_u32 flat_scratch_lo, s6, s9
	s_addc_u32 flat_scratch_hi, s7, 0
	s_add_u32 s0, s0, s9
	s_addc_u32 s1, s1, 0
	s_add_u32 s8, s4, 0x80
	s_addc_u32 s9, s5, 0
	s_getpc_b64 s[4:5]
	s_add_u32 s4, s4, __FUNCTION__._ZL13mul_mat_f_idsIfLi32ELi13ELi1EEvPKT_PKfPKiS6_S6_Pfiiiiiiiiiiiiii15HIP_vector_typeIjLj3EES9_@rel32@lo+4
	s_addc_u32 s5, s5, __FUNCTION__._ZL13mul_mat_f_idsIfLi32ELi13ELi1EEvPKT_PKfPKiS6_S6_Pfiiiiiiiiiiiiii15HIP_vector_typeIjLj3EES9_@rel32@hi+12
	v_mov_b32_e32 v0, 0x13b
	v_mov_b32_e32 v1, s4
	;; [unrolled: 1-line block ×3, first 2 shown]
	s_mov_b32 s32, 0
	s_getpc_b64 s[6:7]
	s_add_u32 s6, s6, _ZL14no_device_codePKciS0_iS0_@rel32@lo+4
	s_addc_u32 s7, s7, _ZL14no_device_codePKciS0_iS0_@rel32@hi+12
	s_swappc_b64 s[30:31], s[6:7]
	.section	.rodata,"a",@progbits
	.p2align	6, 0x0
	.amdhsa_kernel _ZL13mul_mat_f_idsIfLi32ELi13ELi8EEvPKT_PKfPKiS6_S6_Pfiiiiiiiiiiiiii15HIP_vector_typeIjLj3EES9_
		.amdhsa_group_segment_fixed_size 0
		.amdhsa_private_segment_fixed_size 16
		.amdhsa_kernarg_size 384
		.amdhsa_user_sgpr_count 8
		.amdhsa_user_sgpr_private_segment_buffer 1
		.amdhsa_user_sgpr_dispatch_ptr 0
		.amdhsa_user_sgpr_queue_ptr 0
		.amdhsa_user_sgpr_kernarg_segment_ptr 1
		.amdhsa_user_sgpr_dispatch_id 0
		.amdhsa_user_sgpr_flat_scratch_init 1
		.amdhsa_user_sgpr_kernarg_preload_length 0
		.amdhsa_user_sgpr_kernarg_preload_offset 0
		.amdhsa_user_sgpr_private_segment_size 0
		.amdhsa_uses_dynamic_stack 0
		.amdhsa_system_sgpr_private_segment_wavefront_offset 1
		.amdhsa_system_sgpr_workgroup_id_x 1
		.amdhsa_system_sgpr_workgroup_id_y 0
		.amdhsa_system_sgpr_workgroup_id_z 0
		.amdhsa_system_sgpr_workgroup_info 0
		.amdhsa_system_vgpr_workitem_id 0
		.amdhsa_next_free_vgpr 41
		.amdhsa_next_free_sgpr 34
		.amdhsa_accum_offset 44
		.amdhsa_reserve_vcc 1
		.amdhsa_reserve_flat_scratch 1
		.amdhsa_float_round_mode_32 0
		.amdhsa_float_round_mode_16_64 0
		.amdhsa_float_denorm_mode_32 3
		.amdhsa_float_denorm_mode_16_64 3
		.amdhsa_dx10_clamp 1
		.amdhsa_ieee_mode 1
		.amdhsa_fp16_overflow 0
		.amdhsa_tg_split 0
		.amdhsa_exception_fp_ieee_invalid_op 0
		.amdhsa_exception_fp_denorm_src 0
		.amdhsa_exception_fp_ieee_div_zero 0
		.amdhsa_exception_fp_ieee_overflow 0
		.amdhsa_exception_fp_ieee_underflow 0
		.amdhsa_exception_fp_ieee_inexact 0
		.amdhsa_exception_int_div_zero 0
	.end_amdhsa_kernel
	.section	.text._ZL13mul_mat_f_idsIfLi32ELi13ELi8EEvPKT_PKfPKiS6_S6_Pfiiiiiiiiiiiiii15HIP_vector_typeIjLj3EES9_,"axG",@progbits,_ZL13mul_mat_f_idsIfLi32ELi13ELi8EEvPKT_PKfPKiS6_S6_Pfiiiiiiiiiiiiii15HIP_vector_typeIjLj3EES9_,comdat
.Lfunc_end24:
	.size	_ZL13mul_mat_f_idsIfLi32ELi13ELi8EEvPKT_PKfPKiS6_S6_Pfiiiiiiiiiiiiii15HIP_vector_typeIjLj3EES9_, .Lfunc_end24-_ZL13mul_mat_f_idsIfLi32ELi13ELi8EEvPKT_PKfPKiS6_S6_Pfiiiiiiiiiiiiii15HIP_vector_typeIjLj3EES9_
                                        ; -- End function
	.section	.AMDGPU.csdata,"",@progbits
; Kernel info:
; codeLenInByte = 92
; NumSgprs: 40
; NumVgprs: 41
; NumAgprs: 0
; TotalNumVgprs: 41
; ScratchSize: 16
; MemoryBound: 0
; FloatMode: 240
; IeeeMode: 1
; LDSByteSize: 0 bytes/workgroup (compile time only)
; SGPRBlocks: 4
; VGPRBlocks: 5
; NumSGPRsForWavesPerEU: 40
; NumVGPRsForWavesPerEU: 41
; AccumOffset: 44
; Occupancy: 8
; WaveLimiterHint : 1
; COMPUTE_PGM_RSRC2:SCRATCH_EN: 1
; COMPUTE_PGM_RSRC2:USER_SGPR: 8
; COMPUTE_PGM_RSRC2:TRAP_HANDLER: 0
; COMPUTE_PGM_RSRC2:TGID_X_EN: 1
; COMPUTE_PGM_RSRC2:TGID_Y_EN: 0
; COMPUTE_PGM_RSRC2:TGID_Z_EN: 0
; COMPUTE_PGM_RSRC2:TIDIG_COMP_CNT: 0
; COMPUTE_PGM_RSRC3_GFX90A:ACCUM_OFFSET: 10
; COMPUTE_PGM_RSRC3_GFX90A:TG_SPLIT: 0
	.section	.text._ZL9mul_mat_fIfLi32ELi13ELi8ELb1EEvPKT_PKfPKiPfiiiiiiiiiiiiiiii,"axG",@progbits,_ZL9mul_mat_fIfLi32ELi13ELi8ELb1EEvPKT_PKfPKiPfiiiiiiiiiiiiiiii,comdat
	.globl	_ZL9mul_mat_fIfLi32ELi13ELi8ELb1EEvPKT_PKfPKiPfiiiiiiiiiiiiiiii ; -- Begin function _ZL9mul_mat_fIfLi32ELi13ELi8ELb1EEvPKT_PKfPKiPfiiiiiiiiiiiiiiii
	.p2align	8
	.type	_ZL9mul_mat_fIfLi32ELi13ELi8ELb1EEvPKT_PKfPKiPfiiiiiiiiiiiiiiii,@function
_ZL9mul_mat_fIfLi32ELi13ELi8ELb1EEvPKT_PKfPKiPfiiiiiiiiiiiiiiii: ; @_ZL9mul_mat_fIfLi32ELi13ELi8ELb1EEvPKT_PKfPKiPfiiiiiiiiiiiiiiii
; %bb.0:
	s_add_u32 flat_scratch_lo, s6, s9
	s_addc_u32 flat_scratch_hi, s7, 0
	s_add_u32 s0, s0, s9
	s_addc_u32 s1, s1, 0
	s_add_u32 s8, s4, 0x60
	s_addc_u32 s9, s5, 0
	s_getpc_b64 s[4:5]
	s_add_u32 s4, s4, __FUNCTION__._ZL9mul_mat_fIfLi32ELi13ELi1ELb1EEvPKT_PKfPKiPfiiiiiiiiiiiiiiii@rel32@lo+4
	s_addc_u32 s5, s5, __FUNCTION__._ZL9mul_mat_fIfLi32ELi13ELi1ELb1EEvPKT_PKfPKiPfiiiiiiiiiiiiiiii@rel32@hi+12
	v_mov_b32_e32 v0, 64
	v_mov_b32_e32 v1, s4
	;; [unrolled: 1-line block ×3, first 2 shown]
	s_mov_b32 s32, 0
	s_getpc_b64 s[6:7]
	s_add_u32 s6, s6, _ZL14no_device_codePKciS0_iS0_@rel32@lo+4
	s_addc_u32 s7, s7, _ZL14no_device_codePKciS0_iS0_@rel32@hi+12
	s_swappc_b64 s[30:31], s[6:7]
	.section	.rodata,"a",@progbits
	.p2align	6, 0x0
	.amdhsa_kernel _ZL9mul_mat_fIfLi32ELi13ELi8ELb1EEvPKT_PKfPKiPfiiiiiiiiiiiiiiii
		.amdhsa_group_segment_fixed_size 0
		.amdhsa_private_segment_fixed_size 16
		.amdhsa_kernarg_size 352
		.amdhsa_user_sgpr_count 8
		.amdhsa_user_sgpr_private_segment_buffer 1
		.amdhsa_user_sgpr_dispatch_ptr 0
		.amdhsa_user_sgpr_queue_ptr 0
		.amdhsa_user_sgpr_kernarg_segment_ptr 1
		.amdhsa_user_sgpr_dispatch_id 0
		.amdhsa_user_sgpr_flat_scratch_init 1
		.amdhsa_user_sgpr_kernarg_preload_length 0
		.amdhsa_user_sgpr_kernarg_preload_offset 0
		.amdhsa_user_sgpr_private_segment_size 0
		.amdhsa_uses_dynamic_stack 0
		.amdhsa_system_sgpr_private_segment_wavefront_offset 1
		.amdhsa_system_sgpr_workgroup_id_x 1
		.amdhsa_system_sgpr_workgroup_id_y 0
		.amdhsa_system_sgpr_workgroup_id_z 0
		.amdhsa_system_sgpr_workgroup_info 0
		.amdhsa_system_vgpr_workitem_id 0
		.amdhsa_next_free_vgpr 41
		.amdhsa_next_free_sgpr 34
		.amdhsa_accum_offset 44
		.amdhsa_reserve_vcc 1
		.amdhsa_reserve_flat_scratch 1
		.amdhsa_float_round_mode_32 0
		.amdhsa_float_round_mode_16_64 0
		.amdhsa_float_denorm_mode_32 3
		.amdhsa_float_denorm_mode_16_64 3
		.amdhsa_dx10_clamp 1
		.amdhsa_ieee_mode 1
		.amdhsa_fp16_overflow 0
		.amdhsa_tg_split 0
		.amdhsa_exception_fp_ieee_invalid_op 0
		.amdhsa_exception_fp_denorm_src 0
		.amdhsa_exception_fp_ieee_div_zero 0
		.amdhsa_exception_fp_ieee_overflow 0
		.amdhsa_exception_fp_ieee_underflow 0
		.amdhsa_exception_fp_ieee_inexact 0
		.amdhsa_exception_int_div_zero 0
	.end_amdhsa_kernel
	.section	.text._ZL9mul_mat_fIfLi32ELi13ELi8ELb1EEvPKT_PKfPKiPfiiiiiiiiiiiiiiii,"axG",@progbits,_ZL9mul_mat_fIfLi32ELi13ELi8ELb1EEvPKT_PKfPKiPfiiiiiiiiiiiiiiii,comdat
.Lfunc_end25:
	.size	_ZL9mul_mat_fIfLi32ELi13ELi8ELb1EEvPKT_PKfPKiPfiiiiiiiiiiiiiiii, .Lfunc_end25-_ZL9mul_mat_fIfLi32ELi13ELi8ELb1EEvPKT_PKfPKiPfiiiiiiiiiiiiiiii
                                        ; -- End function
	.section	.AMDGPU.csdata,"",@progbits
; Kernel info:
; codeLenInByte = 88
; NumSgprs: 40
; NumVgprs: 41
; NumAgprs: 0
; TotalNumVgprs: 41
; ScratchSize: 16
; MemoryBound: 0
; FloatMode: 240
; IeeeMode: 1
; LDSByteSize: 0 bytes/workgroup (compile time only)
; SGPRBlocks: 4
; VGPRBlocks: 5
; NumSGPRsForWavesPerEU: 40
; NumVGPRsForWavesPerEU: 41
; AccumOffset: 44
; Occupancy: 8
; WaveLimiterHint : 1
; COMPUTE_PGM_RSRC2:SCRATCH_EN: 1
; COMPUTE_PGM_RSRC2:USER_SGPR: 8
; COMPUTE_PGM_RSRC2:TRAP_HANDLER: 0
; COMPUTE_PGM_RSRC2:TGID_X_EN: 1
; COMPUTE_PGM_RSRC2:TGID_Y_EN: 0
; COMPUTE_PGM_RSRC2:TGID_Z_EN: 0
; COMPUTE_PGM_RSRC2:TIDIG_COMP_CNT: 0
; COMPUTE_PGM_RSRC3_GFX90A:ACCUM_OFFSET: 10
; COMPUTE_PGM_RSRC3_GFX90A:TG_SPLIT: 0
	.section	.text._ZL9mul_mat_fIfLi32ELi13ELi8ELb0EEvPKT_PKfPKiPfiiiiiiiiiiiiiiii,"axG",@progbits,_ZL9mul_mat_fIfLi32ELi13ELi8ELb0EEvPKT_PKfPKiPfiiiiiiiiiiiiiiii,comdat
	.globl	_ZL9mul_mat_fIfLi32ELi13ELi8ELb0EEvPKT_PKfPKiPfiiiiiiiiiiiiiiii ; -- Begin function _ZL9mul_mat_fIfLi32ELi13ELi8ELb0EEvPKT_PKfPKiPfiiiiiiiiiiiiiiii
	.p2align	8
	.type	_ZL9mul_mat_fIfLi32ELi13ELi8ELb0EEvPKT_PKfPKiPfiiiiiiiiiiiiiiii,@function
_ZL9mul_mat_fIfLi32ELi13ELi8ELb0EEvPKT_PKfPKiPfiiiiiiiiiiiiiiii: ; @_ZL9mul_mat_fIfLi32ELi13ELi8ELb0EEvPKT_PKfPKiPfiiiiiiiiiiiiiiii
; %bb.0:
	s_add_u32 flat_scratch_lo, s6, s9
	s_addc_u32 flat_scratch_hi, s7, 0
	s_add_u32 s0, s0, s9
	s_addc_u32 s1, s1, 0
	s_add_u32 s8, s4, 0x60
	s_addc_u32 s9, s5, 0
	s_getpc_b64 s[4:5]
	s_add_u32 s4, s4, __FUNCTION__._ZL9mul_mat_fIfLi32ELi13ELi1ELb1EEvPKT_PKfPKiPfiiiiiiiiiiiiiiii@rel32@lo+4
	s_addc_u32 s5, s5, __FUNCTION__._ZL9mul_mat_fIfLi32ELi13ELi1ELb1EEvPKT_PKfPKiPfiiiiiiiiiiiiiiii@rel32@hi+12
	v_mov_b32_e32 v0, 64
	v_mov_b32_e32 v1, s4
	;; [unrolled: 1-line block ×3, first 2 shown]
	s_mov_b32 s32, 0
	s_getpc_b64 s[6:7]
	s_add_u32 s6, s6, _ZL14no_device_codePKciS0_iS0_@rel32@lo+4
	s_addc_u32 s7, s7, _ZL14no_device_codePKciS0_iS0_@rel32@hi+12
	s_swappc_b64 s[30:31], s[6:7]
	.section	.rodata,"a",@progbits
	.p2align	6, 0x0
	.amdhsa_kernel _ZL9mul_mat_fIfLi32ELi13ELi8ELb0EEvPKT_PKfPKiPfiiiiiiiiiiiiiiii
		.amdhsa_group_segment_fixed_size 0
		.amdhsa_private_segment_fixed_size 16
		.amdhsa_kernarg_size 352
		.amdhsa_user_sgpr_count 8
		.amdhsa_user_sgpr_private_segment_buffer 1
		.amdhsa_user_sgpr_dispatch_ptr 0
		.amdhsa_user_sgpr_queue_ptr 0
		.amdhsa_user_sgpr_kernarg_segment_ptr 1
		.amdhsa_user_sgpr_dispatch_id 0
		.amdhsa_user_sgpr_flat_scratch_init 1
		.amdhsa_user_sgpr_kernarg_preload_length 0
		.amdhsa_user_sgpr_kernarg_preload_offset 0
		.amdhsa_user_sgpr_private_segment_size 0
		.amdhsa_uses_dynamic_stack 0
		.amdhsa_system_sgpr_private_segment_wavefront_offset 1
		.amdhsa_system_sgpr_workgroup_id_x 1
		.amdhsa_system_sgpr_workgroup_id_y 0
		.amdhsa_system_sgpr_workgroup_id_z 0
		.amdhsa_system_sgpr_workgroup_info 0
		.amdhsa_system_vgpr_workitem_id 0
		.amdhsa_next_free_vgpr 41
		.amdhsa_next_free_sgpr 34
		.amdhsa_accum_offset 44
		.amdhsa_reserve_vcc 1
		.amdhsa_reserve_flat_scratch 1
		.amdhsa_float_round_mode_32 0
		.amdhsa_float_round_mode_16_64 0
		.amdhsa_float_denorm_mode_32 3
		.amdhsa_float_denorm_mode_16_64 3
		.amdhsa_dx10_clamp 1
		.amdhsa_ieee_mode 1
		.amdhsa_fp16_overflow 0
		.amdhsa_tg_split 0
		.amdhsa_exception_fp_ieee_invalid_op 0
		.amdhsa_exception_fp_denorm_src 0
		.amdhsa_exception_fp_ieee_div_zero 0
		.amdhsa_exception_fp_ieee_overflow 0
		.amdhsa_exception_fp_ieee_underflow 0
		.amdhsa_exception_fp_ieee_inexact 0
		.amdhsa_exception_int_div_zero 0
	.end_amdhsa_kernel
	.section	.text._ZL9mul_mat_fIfLi32ELi13ELi8ELb0EEvPKT_PKfPKiPfiiiiiiiiiiiiiiii,"axG",@progbits,_ZL9mul_mat_fIfLi32ELi13ELi8ELb0EEvPKT_PKfPKiPfiiiiiiiiiiiiiiii,comdat
.Lfunc_end26:
	.size	_ZL9mul_mat_fIfLi32ELi13ELi8ELb0EEvPKT_PKfPKiPfiiiiiiiiiiiiiiii, .Lfunc_end26-_ZL9mul_mat_fIfLi32ELi13ELi8ELb0EEvPKT_PKfPKiPfiiiiiiiiiiiiiiii
                                        ; -- End function
	.section	.AMDGPU.csdata,"",@progbits
; Kernel info:
; codeLenInByte = 88
; NumSgprs: 40
; NumVgprs: 41
; NumAgprs: 0
; TotalNumVgprs: 41
; ScratchSize: 16
; MemoryBound: 0
; FloatMode: 240
; IeeeMode: 1
; LDSByteSize: 0 bytes/workgroup (compile time only)
; SGPRBlocks: 4
; VGPRBlocks: 5
; NumSGPRsForWavesPerEU: 40
; NumVGPRsForWavesPerEU: 41
; AccumOffset: 44
; Occupancy: 8
; WaveLimiterHint : 1
; COMPUTE_PGM_RSRC2:SCRATCH_EN: 1
; COMPUTE_PGM_RSRC2:USER_SGPR: 8
; COMPUTE_PGM_RSRC2:TRAP_HANDLER: 0
; COMPUTE_PGM_RSRC2:TGID_X_EN: 1
; COMPUTE_PGM_RSRC2:TGID_Y_EN: 0
; COMPUTE_PGM_RSRC2:TGID_Z_EN: 0
; COMPUTE_PGM_RSRC2:TIDIG_COMP_CNT: 0
; COMPUTE_PGM_RSRC3_GFX90A:ACCUM_OFFSET: 10
; COMPUTE_PGM_RSRC3_GFX90A:TG_SPLIT: 0
	.section	.text._ZL13mul_mat_f_idsI7__half2Li32ELi13ELi1EEvPKT_PKfPKiS7_S7_Pfiiiiiiiiiiiiii15HIP_vector_typeIjLj3EESA_,"axG",@progbits,_ZL13mul_mat_f_idsI7__half2Li32ELi13ELi1EEvPKT_PKfPKiS7_S7_Pfiiiiiiiiiiiiii15HIP_vector_typeIjLj3EESA_,comdat
	.globl	_ZL13mul_mat_f_idsI7__half2Li32ELi13ELi1EEvPKT_PKfPKiS7_S7_Pfiiiiiiiiiiiiii15HIP_vector_typeIjLj3EESA_ ; -- Begin function _ZL13mul_mat_f_idsI7__half2Li32ELi13ELi1EEvPKT_PKfPKiS7_S7_Pfiiiiiiiiiiiiii15HIP_vector_typeIjLj3EESA_
	.p2align	8
	.type	_ZL13mul_mat_f_idsI7__half2Li32ELi13ELi1EEvPKT_PKfPKiS7_S7_Pfiiiiiiiiiiiiii15HIP_vector_typeIjLj3EESA_,@function
_ZL13mul_mat_f_idsI7__half2Li32ELi13ELi1EEvPKT_PKfPKiS7_S7_Pfiiiiiiiiiiiiii15HIP_vector_typeIjLj3EESA_: ; @_ZL13mul_mat_f_idsI7__half2Li32ELi13ELi1EEvPKT_PKfPKiS7_S7_Pfiiiiiiiiiiiiii15HIP_vector_typeIjLj3EESA_
; %bb.0:
	s_add_u32 flat_scratch_lo, s6, s9
	s_addc_u32 flat_scratch_hi, s7, 0
	s_add_u32 s0, s0, s9
	s_addc_u32 s1, s1, 0
	s_add_u32 s8, s4, 0x80
	s_addc_u32 s9, s5, 0
	s_getpc_b64 s[4:5]
	s_add_u32 s4, s4, __FUNCTION__._ZL13mul_mat_f_idsIfLi32ELi13ELi1EEvPKT_PKfPKiS6_S6_Pfiiiiiiiiiiiiii15HIP_vector_typeIjLj3EES9_@rel32@lo+4
	s_addc_u32 s5, s5, __FUNCTION__._ZL13mul_mat_f_idsIfLi32ELi13ELi1EEvPKT_PKfPKiS6_S6_Pfiiiiiiiiiiiiii15HIP_vector_typeIjLj3EES9_@rel32@hi+12
	v_mov_b32_e32 v0, 0x13b
	v_mov_b32_e32 v1, s4
	;; [unrolled: 1-line block ×3, first 2 shown]
	s_mov_b32 s32, 0
	s_getpc_b64 s[6:7]
	s_add_u32 s6, s6, _ZL14no_device_codePKciS0_iS0_@rel32@lo+4
	s_addc_u32 s7, s7, _ZL14no_device_codePKciS0_iS0_@rel32@hi+12
	s_swappc_b64 s[30:31], s[6:7]
	.section	.rodata,"a",@progbits
	.p2align	6, 0x0
	.amdhsa_kernel _ZL13mul_mat_f_idsI7__half2Li32ELi13ELi1EEvPKT_PKfPKiS7_S7_Pfiiiiiiiiiiiiii15HIP_vector_typeIjLj3EESA_
		.amdhsa_group_segment_fixed_size 0
		.amdhsa_private_segment_fixed_size 16
		.amdhsa_kernarg_size 384
		.amdhsa_user_sgpr_count 8
		.amdhsa_user_sgpr_private_segment_buffer 1
		.amdhsa_user_sgpr_dispatch_ptr 0
		.amdhsa_user_sgpr_queue_ptr 0
		.amdhsa_user_sgpr_kernarg_segment_ptr 1
		.amdhsa_user_sgpr_dispatch_id 0
		.amdhsa_user_sgpr_flat_scratch_init 1
		.amdhsa_user_sgpr_kernarg_preload_length 0
		.amdhsa_user_sgpr_kernarg_preload_offset 0
		.amdhsa_user_sgpr_private_segment_size 0
		.amdhsa_uses_dynamic_stack 0
		.amdhsa_system_sgpr_private_segment_wavefront_offset 1
		.amdhsa_system_sgpr_workgroup_id_x 1
		.amdhsa_system_sgpr_workgroup_id_y 0
		.amdhsa_system_sgpr_workgroup_id_z 0
		.amdhsa_system_sgpr_workgroup_info 0
		.amdhsa_system_vgpr_workitem_id 0
		.amdhsa_next_free_vgpr 41
		.amdhsa_next_free_sgpr 34
		.amdhsa_accum_offset 44
		.amdhsa_reserve_vcc 1
		.amdhsa_reserve_flat_scratch 1
		.amdhsa_float_round_mode_32 0
		.amdhsa_float_round_mode_16_64 0
		.amdhsa_float_denorm_mode_32 3
		.amdhsa_float_denorm_mode_16_64 3
		.amdhsa_dx10_clamp 1
		.amdhsa_ieee_mode 1
		.amdhsa_fp16_overflow 0
		.amdhsa_tg_split 0
		.amdhsa_exception_fp_ieee_invalid_op 0
		.amdhsa_exception_fp_denorm_src 0
		.amdhsa_exception_fp_ieee_div_zero 0
		.amdhsa_exception_fp_ieee_overflow 0
		.amdhsa_exception_fp_ieee_underflow 0
		.amdhsa_exception_fp_ieee_inexact 0
		.amdhsa_exception_int_div_zero 0
	.end_amdhsa_kernel
	.section	.text._ZL13mul_mat_f_idsI7__half2Li32ELi13ELi1EEvPKT_PKfPKiS7_S7_Pfiiiiiiiiiiiiii15HIP_vector_typeIjLj3EESA_,"axG",@progbits,_ZL13mul_mat_f_idsI7__half2Li32ELi13ELi1EEvPKT_PKfPKiS7_S7_Pfiiiiiiiiiiiiii15HIP_vector_typeIjLj3EESA_,comdat
.Lfunc_end27:
	.size	_ZL13mul_mat_f_idsI7__half2Li32ELi13ELi1EEvPKT_PKfPKiS7_S7_Pfiiiiiiiiiiiiii15HIP_vector_typeIjLj3EESA_, .Lfunc_end27-_ZL13mul_mat_f_idsI7__half2Li32ELi13ELi1EEvPKT_PKfPKiS7_S7_Pfiiiiiiiiiiiiii15HIP_vector_typeIjLj3EESA_
                                        ; -- End function
	.section	.AMDGPU.csdata,"",@progbits
; Kernel info:
; codeLenInByte = 92
; NumSgprs: 40
; NumVgprs: 41
; NumAgprs: 0
; TotalNumVgprs: 41
; ScratchSize: 16
; MemoryBound: 0
; FloatMode: 240
; IeeeMode: 1
; LDSByteSize: 0 bytes/workgroup (compile time only)
; SGPRBlocks: 4
; VGPRBlocks: 5
; NumSGPRsForWavesPerEU: 40
; NumVGPRsForWavesPerEU: 41
; AccumOffset: 44
; Occupancy: 8
; WaveLimiterHint : 1
; COMPUTE_PGM_RSRC2:SCRATCH_EN: 1
; COMPUTE_PGM_RSRC2:USER_SGPR: 8
; COMPUTE_PGM_RSRC2:TRAP_HANDLER: 0
; COMPUTE_PGM_RSRC2:TGID_X_EN: 1
; COMPUTE_PGM_RSRC2:TGID_Y_EN: 0
; COMPUTE_PGM_RSRC2:TGID_Z_EN: 0
; COMPUTE_PGM_RSRC2:TIDIG_COMP_CNT: 0
; COMPUTE_PGM_RSRC3_GFX90A:ACCUM_OFFSET: 10
; COMPUTE_PGM_RSRC3_GFX90A:TG_SPLIT: 0
	.section	.text._ZL9mul_mat_fI7__half2Li32ELi13ELi1ELb1EEvPKT_PKfPKiPfiiiiiiiiiiiiiiii,"axG",@progbits,_ZL9mul_mat_fI7__half2Li32ELi13ELi1ELb1EEvPKT_PKfPKiPfiiiiiiiiiiiiiiii,comdat
	.globl	_ZL9mul_mat_fI7__half2Li32ELi13ELi1ELb1EEvPKT_PKfPKiPfiiiiiiiiiiiiiiii ; -- Begin function _ZL9mul_mat_fI7__half2Li32ELi13ELi1ELb1EEvPKT_PKfPKiPfiiiiiiiiiiiiiiii
	.p2align	8
	.type	_ZL9mul_mat_fI7__half2Li32ELi13ELi1ELb1EEvPKT_PKfPKiPfiiiiiiiiiiiiiiii,@function
_ZL9mul_mat_fI7__half2Li32ELi13ELi1ELb1EEvPKT_PKfPKiPfiiiiiiiiiiiiiiii: ; @_ZL9mul_mat_fI7__half2Li32ELi13ELi1ELb1EEvPKT_PKfPKiPfiiiiiiiiiiiiiiii
; %bb.0:
	s_add_u32 flat_scratch_lo, s6, s9
	s_addc_u32 flat_scratch_hi, s7, 0
	s_add_u32 s0, s0, s9
	s_addc_u32 s1, s1, 0
	s_add_u32 s8, s4, 0x60
	s_addc_u32 s9, s5, 0
	s_getpc_b64 s[4:5]
	s_add_u32 s4, s4, __FUNCTION__._ZL9mul_mat_fIfLi32ELi13ELi1ELb1EEvPKT_PKfPKiPfiiiiiiiiiiiiiiii@rel32@lo+4
	s_addc_u32 s5, s5, __FUNCTION__._ZL9mul_mat_fIfLi32ELi13ELi1ELb1EEvPKT_PKfPKiPfiiiiiiiiiiiiiiii@rel32@hi+12
	v_mov_b32_e32 v0, 64
	v_mov_b32_e32 v1, s4
	;; [unrolled: 1-line block ×3, first 2 shown]
	s_mov_b32 s32, 0
	s_getpc_b64 s[6:7]
	s_add_u32 s6, s6, _ZL14no_device_codePKciS0_iS0_@rel32@lo+4
	s_addc_u32 s7, s7, _ZL14no_device_codePKciS0_iS0_@rel32@hi+12
	s_swappc_b64 s[30:31], s[6:7]
	.section	.rodata,"a",@progbits
	.p2align	6, 0x0
	.amdhsa_kernel _ZL9mul_mat_fI7__half2Li32ELi13ELi1ELb1EEvPKT_PKfPKiPfiiiiiiiiiiiiiiii
		.amdhsa_group_segment_fixed_size 0
		.amdhsa_private_segment_fixed_size 16
		.amdhsa_kernarg_size 352
		.amdhsa_user_sgpr_count 8
		.amdhsa_user_sgpr_private_segment_buffer 1
		.amdhsa_user_sgpr_dispatch_ptr 0
		.amdhsa_user_sgpr_queue_ptr 0
		.amdhsa_user_sgpr_kernarg_segment_ptr 1
		.amdhsa_user_sgpr_dispatch_id 0
		.amdhsa_user_sgpr_flat_scratch_init 1
		.amdhsa_user_sgpr_kernarg_preload_length 0
		.amdhsa_user_sgpr_kernarg_preload_offset 0
		.amdhsa_user_sgpr_private_segment_size 0
		.amdhsa_uses_dynamic_stack 0
		.amdhsa_system_sgpr_private_segment_wavefront_offset 1
		.amdhsa_system_sgpr_workgroup_id_x 1
		.amdhsa_system_sgpr_workgroup_id_y 0
		.amdhsa_system_sgpr_workgroup_id_z 0
		.amdhsa_system_sgpr_workgroup_info 0
		.amdhsa_system_vgpr_workitem_id 0
		.amdhsa_next_free_vgpr 41
		.amdhsa_next_free_sgpr 34
		.amdhsa_accum_offset 44
		.amdhsa_reserve_vcc 1
		.amdhsa_reserve_flat_scratch 1
		.amdhsa_float_round_mode_32 0
		.amdhsa_float_round_mode_16_64 0
		.amdhsa_float_denorm_mode_32 3
		.amdhsa_float_denorm_mode_16_64 3
		.amdhsa_dx10_clamp 1
		.amdhsa_ieee_mode 1
		.amdhsa_fp16_overflow 0
		.amdhsa_tg_split 0
		.amdhsa_exception_fp_ieee_invalid_op 0
		.amdhsa_exception_fp_denorm_src 0
		.amdhsa_exception_fp_ieee_div_zero 0
		.amdhsa_exception_fp_ieee_overflow 0
		.amdhsa_exception_fp_ieee_underflow 0
		.amdhsa_exception_fp_ieee_inexact 0
		.amdhsa_exception_int_div_zero 0
	.end_amdhsa_kernel
	.section	.text._ZL9mul_mat_fI7__half2Li32ELi13ELi1ELb1EEvPKT_PKfPKiPfiiiiiiiiiiiiiiii,"axG",@progbits,_ZL9mul_mat_fI7__half2Li32ELi13ELi1ELb1EEvPKT_PKfPKiPfiiiiiiiiiiiiiiii,comdat
.Lfunc_end28:
	.size	_ZL9mul_mat_fI7__half2Li32ELi13ELi1ELb1EEvPKT_PKfPKiPfiiiiiiiiiiiiiiii, .Lfunc_end28-_ZL9mul_mat_fI7__half2Li32ELi13ELi1ELb1EEvPKT_PKfPKiPfiiiiiiiiiiiiiiii
                                        ; -- End function
	.section	.AMDGPU.csdata,"",@progbits
; Kernel info:
; codeLenInByte = 88
; NumSgprs: 40
; NumVgprs: 41
; NumAgprs: 0
; TotalNumVgprs: 41
; ScratchSize: 16
; MemoryBound: 0
; FloatMode: 240
; IeeeMode: 1
; LDSByteSize: 0 bytes/workgroup (compile time only)
; SGPRBlocks: 4
; VGPRBlocks: 5
; NumSGPRsForWavesPerEU: 40
; NumVGPRsForWavesPerEU: 41
; AccumOffset: 44
; Occupancy: 8
; WaveLimiterHint : 1
; COMPUTE_PGM_RSRC2:SCRATCH_EN: 1
; COMPUTE_PGM_RSRC2:USER_SGPR: 8
; COMPUTE_PGM_RSRC2:TRAP_HANDLER: 0
; COMPUTE_PGM_RSRC2:TGID_X_EN: 1
; COMPUTE_PGM_RSRC2:TGID_Y_EN: 0
; COMPUTE_PGM_RSRC2:TGID_Z_EN: 0
; COMPUTE_PGM_RSRC2:TIDIG_COMP_CNT: 0
; COMPUTE_PGM_RSRC3_GFX90A:ACCUM_OFFSET: 10
; COMPUTE_PGM_RSRC3_GFX90A:TG_SPLIT: 0
	.section	.text._ZL9mul_mat_fI7__half2Li32ELi13ELi1ELb0EEvPKT_PKfPKiPfiiiiiiiiiiiiiiii,"axG",@progbits,_ZL9mul_mat_fI7__half2Li32ELi13ELi1ELb0EEvPKT_PKfPKiPfiiiiiiiiiiiiiiii,comdat
	.globl	_ZL9mul_mat_fI7__half2Li32ELi13ELi1ELb0EEvPKT_PKfPKiPfiiiiiiiiiiiiiiii ; -- Begin function _ZL9mul_mat_fI7__half2Li32ELi13ELi1ELb0EEvPKT_PKfPKiPfiiiiiiiiiiiiiiii
	.p2align	8
	.type	_ZL9mul_mat_fI7__half2Li32ELi13ELi1ELb0EEvPKT_PKfPKiPfiiiiiiiiiiiiiiii,@function
_ZL9mul_mat_fI7__half2Li32ELi13ELi1ELb0EEvPKT_PKfPKiPfiiiiiiiiiiiiiiii: ; @_ZL9mul_mat_fI7__half2Li32ELi13ELi1ELb0EEvPKT_PKfPKiPfiiiiiiiiiiiiiiii
; %bb.0:
	s_add_u32 flat_scratch_lo, s6, s9
	s_addc_u32 flat_scratch_hi, s7, 0
	s_add_u32 s0, s0, s9
	s_addc_u32 s1, s1, 0
	s_add_u32 s8, s4, 0x60
	s_addc_u32 s9, s5, 0
	s_getpc_b64 s[4:5]
	s_add_u32 s4, s4, __FUNCTION__._ZL9mul_mat_fIfLi32ELi13ELi1ELb1EEvPKT_PKfPKiPfiiiiiiiiiiiiiiii@rel32@lo+4
	s_addc_u32 s5, s5, __FUNCTION__._ZL9mul_mat_fIfLi32ELi13ELi1ELb1EEvPKT_PKfPKiPfiiiiiiiiiiiiiiii@rel32@hi+12
	v_mov_b32_e32 v0, 64
	v_mov_b32_e32 v1, s4
	v_mov_b32_e32 v2, s5
	s_mov_b32 s32, 0
	s_getpc_b64 s[6:7]
	s_add_u32 s6, s6, _ZL14no_device_codePKciS0_iS0_@rel32@lo+4
	s_addc_u32 s7, s7, _ZL14no_device_codePKciS0_iS0_@rel32@hi+12
	s_swappc_b64 s[30:31], s[6:7]
	.section	.rodata,"a",@progbits
	.p2align	6, 0x0
	.amdhsa_kernel _ZL9mul_mat_fI7__half2Li32ELi13ELi1ELb0EEvPKT_PKfPKiPfiiiiiiiiiiiiiiii
		.amdhsa_group_segment_fixed_size 0
		.amdhsa_private_segment_fixed_size 16
		.amdhsa_kernarg_size 352
		.amdhsa_user_sgpr_count 8
		.amdhsa_user_sgpr_private_segment_buffer 1
		.amdhsa_user_sgpr_dispatch_ptr 0
		.amdhsa_user_sgpr_queue_ptr 0
		.amdhsa_user_sgpr_kernarg_segment_ptr 1
		.amdhsa_user_sgpr_dispatch_id 0
		.amdhsa_user_sgpr_flat_scratch_init 1
		.amdhsa_user_sgpr_kernarg_preload_length 0
		.amdhsa_user_sgpr_kernarg_preload_offset 0
		.amdhsa_user_sgpr_private_segment_size 0
		.amdhsa_uses_dynamic_stack 0
		.amdhsa_system_sgpr_private_segment_wavefront_offset 1
		.amdhsa_system_sgpr_workgroup_id_x 1
		.amdhsa_system_sgpr_workgroup_id_y 0
		.amdhsa_system_sgpr_workgroup_id_z 0
		.amdhsa_system_sgpr_workgroup_info 0
		.amdhsa_system_vgpr_workitem_id 0
		.amdhsa_next_free_vgpr 41
		.amdhsa_next_free_sgpr 34
		.amdhsa_accum_offset 44
		.amdhsa_reserve_vcc 1
		.amdhsa_reserve_flat_scratch 1
		.amdhsa_float_round_mode_32 0
		.amdhsa_float_round_mode_16_64 0
		.amdhsa_float_denorm_mode_32 3
		.amdhsa_float_denorm_mode_16_64 3
		.amdhsa_dx10_clamp 1
		.amdhsa_ieee_mode 1
		.amdhsa_fp16_overflow 0
		.amdhsa_tg_split 0
		.amdhsa_exception_fp_ieee_invalid_op 0
		.amdhsa_exception_fp_denorm_src 0
		.amdhsa_exception_fp_ieee_div_zero 0
		.amdhsa_exception_fp_ieee_overflow 0
		.amdhsa_exception_fp_ieee_underflow 0
		.amdhsa_exception_fp_ieee_inexact 0
		.amdhsa_exception_int_div_zero 0
	.end_amdhsa_kernel
	.section	.text._ZL9mul_mat_fI7__half2Li32ELi13ELi1ELb0EEvPKT_PKfPKiPfiiiiiiiiiiiiiiii,"axG",@progbits,_ZL9mul_mat_fI7__half2Li32ELi13ELi1ELb0EEvPKT_PKfPKiPfiiiiiiiiiiiiiiii,comdat
.Lfunc_end29:
	.size	_ZL9mul_mat_fI7__half2Li32ELi13ELi1ELb0EEvPKT_PKfPKiPfiiiiiiiiiiiiiiii, .Lfunc_end29-_ZL9mul_mat_fI7__half2Li32ELi13ELi1ELb0EEvPKT_PKfPKiPfiiiiiiiiiiiiiiii
                                        ; -- End function
	.section	.AMDGPU.csdata,"",@progbits
; Kernel info:
; codeLenInByte = 88
; NumSgprs: 40
; NumVgprs: 41
; NumAgprs: 0
; TotalNumVgprs: 41
; ScratchSize: 16
; MemoryBound: 0
; FloatMode: 240
; IeeeMode: 1
; LDSByteSize: 0 bytes/workgroup (compile time only)
; SGPRBlocks: 4
; VGPRBlocks: 5
; NumSGPRsForWavesPerEU: 40
; NumVGPRsForWavesPerEU: 41
; AccumOffset: 44
; Occupancy: 8
; WaveLimiterHint : 1
; COMPUTE_PGM_RSRC2:SCRATCH_EN: 1
; COMPUTE_PGM_RSRC2:USER_SGPR: 8
; COMPUTE_PGM_RSRC2:TRAP_HANDLER: 0
; COMPUTE_PGM_RSRC2:TGID_X_EN: 1
; COMPUTE_PGM_RSRC2:TGID_Y_EN: 0
; COMPUTE_PGM_RSRC2:TGID_Z_EN: 0
; COMPUTE_PGM_RSRC2:TIDIG_COMP_CNT: 0
; COMPUTE_PGM_RSRC3_GFX90A:ACCUM_OFFSET: 10
; COMPUTE_PGM_RSRC3_GFX90A:TG_SPLIT: 0
	.section	.text._ZL13mul_mat_f_idsI7__half2Li32ELi13ELi2EEvPKT_PKfPKiS7_S7_Pfiiiiiiiiiiiiii15HIP_vector_typeIjLj3EESA_,"axG",@progbits,_ZL13mul_mat_f_idsI7__half2Li32ELi13ELi2EEvPKT_PKfPKiS7_S7_Pfiiiiiiiiiiiiii15HIP_vector_typeIjLj3EESA_,comdat
	.globl	_ZL13mul_mat_f_idsI7__half2Li32ELi13ELi2EEvPKT_PKfPKiS7_S7_Pfiiiiiiiiiiiiii15HIP_vector_typeIjLj3EESA_ ; -- Begin function _ZL13mul_mat_f_idsI7__half2Li32ELi13ELi2EEvPKT_PKfPKiS7_S7_Pfiiiiiiiiiiiiii15HIP_vector_typeIjLj3EESA_
	.p2align	8
	.type	_ZL13mul_mat_f_idsI7__half2Li32ELi13ELi2EEvPKT_PKfPKiS7_S7_Pfiiiiiiiiiiiiii15HIP_vector_typeIjLj3EESA_,@function
_ZL13mul_mat_f_idsI7__half2Li32ELi13ELi2EEvPKT_PKfPKiS7_S7_Pfiiiiiiiiiiiiii15HIP_vector_typeIjLj3EESA_: ; @_ZL13mul_mat_f_idsI7__half2Li32ELi13ELi2EEvPKT_PKfPKiS7_S7_Pfiiiiiiiiiiiiii15HIP_vector_typeIjLj3EESA_
; %bb.0:
	s_add_u32 flat_scratch_lo, s6, s9
	s_addc_u32 flat_scratch_hi, s7, 0
	s_add_u32 s0, s0, s9
	s_addc_u32 s1, s1, 0
	s_add_u32 s8, s4, 0x80
	s_addc_u32 s9, s5, 0
	s_getpc_b64 s[4:5]
	s_add_u32 s4, s4, __FUNCTION__._ZL13mul_mat_f_idsIfLi32ELi13ELi1EEvPKT_PKfPKiS6_S6_Pfiiiiiiiiiiiiii15HIP_vector_typeIjLj3EES9_@rel32@lo+4
	s_addc_u32 s5, s5, __FUNCTION__._ZL13mul_mat_f_idsIfLi32ELi13ELi1EEvPKT_PKfPKiS6_S6_Pfiiiiiiiiiiiiii15HIP_vector_typeIjLj3EES9_@rel32@hi+12
	v_mov_b32_e32 v0, 0x13b
	v_mov_b32_e32 v1, s4
	;; [unrolled: 1-line block ×3, first 2 shown]
	s_mov_b32 s32, 0
	s_getpc_b64 s[6:7]
	s_add_u32 s6, s6, _ZL14no_device_codePKciS0_iS0_@rel32@lo+4
	s_addc_u32 s7, s7, _ZL14no_device_codePKciS0_iS0_@rel32@hi+12
	s_swappc_b64 s[30:31], s[6:7]
	.section	.rodata,"a",@progbits
	.p2align	6, 0x0
	.amdhsa_kernel _ZL13mul_mat_f_idsI7__half2Li32ELi13ELi2EEvPKT_PKfPKiS7_S7_Pfiiiiiiiiiiiiii15HIP_vector_typeIjLj3EESA_
		.amdhsa_group_segment_fixed_size 0
		.amdhsa_private_segment_fixed_size 16
		.amdhsa_kernarg_size 384
		.amdhsa_user_sgpr_count 8
		.amdhsa_user_sgpr_private_segment_buffer 1
		.amdhsa_user_sgpr_dispatch_ptr 0
		.amdhsa_user_sgpr_queue_ptr 0
		.amdhsa_user_sgpr_kernarg_segment_ptr 1
		.amdhsa_user_sgpr_dispatch_id 0
		.amdhsa_user_sgpr_flat_scratch_init 1
		.amdhsa_user_sgpr_kernarg_preload_length 0
		.amdhsa_user_sgpr_kernarg_preload_offset 0
		.amdhsa_user_sgpr_private_segment_size 0
		.amdhsa_uses_dynamic_stack 0
		.amdhsa_system_sgpr_private_segment_wavefront_offset 1
		.amdhsa_system_sgpr_workgroup_id_x 1
		.amdhsa_system_sgpr_workgroup_id_y 0
		.amdhsa_system_sgpr_workgroup_id_z 0
		.amdhsa_system_sgpr_workgroup_info 0
		.amdhsa_system_vgpr_workitem_id 0
		.amdhsa_next_free_vgpr 41
		.amdhsa_next_free_sgpr 34
		.amdhsa_accum_offset 44
		.amdhsa_reserve_vcc 1
		.amdhsa_reserve_flat_scratch 1
		.amdhsa_float_round_mode_32 0
		.amdhsa_float_round_mode_16_64 0
		.amdhsa_float_denorm_mode_32 3
		.amdhsa_float_denorm_mode_16_64 3
		.amdhsa_dx10_clamp 1
		.amdhsa_ieee_mode 1
		.amdhsa_fp16_overflow 0
		.amdhsa_tg_split 0
		.amdhsa_exception_fp_ieee_invalid_op 0
		.amdhsa_exception_fp_denorm_src 0
		.amdhsa_exception_fp_ieee_div_zero 0
		.amdhsa_exception_fp_ieee_overflow 0
		.amdhsa_exception_fp_ieee_underflow 0
		.amdhsa_exception_fp_ieee_inexact 0
		.amdhsa_exception_int_div_zero 0
	.end_amdhsa_kernel
	.section	.text._ZL13mul_mat_f_idsI7__half2Li32ELi13ELi2EEvPKT_PKfPKiS7_S7_Pfiiiiiiiiiiiiii15HIP_vector_typeIjLj3EESA_,"axG",@progbits,_ZL13mul_mat_f_idsI7__half2Li32ELi13ELi2EEvPKT_PKfPKiS7_S7_Pfiiiiiiiiiiiiii15HIP_vector_typeIjLj3EESA_,comdat
.Lfunc_end30:
	.size	_ZL13mul_mat_f_idsI7__half2Li32ELi13ELi2EEvPKT_PKfPKiS7_S7_Pfiiiiiiiiiiiiii15HIP_vector_typeIjLj3EESA_, .Lfunc_end30-_ZL13mul_mat_f_idsI7__half2Li32ELi13ELi2EEvPKT_PKfPKiS7_S7_Pfiiiiiiiiiiiiii15HIP_vector_typeIjLj3EESA_
                                        ; -- End function
	.section	.AMDGPU.csdata,"",@progbits
; Kernel info:
; codeLenInByte = 92
; NumSgprs: 40
; NumVgprs: 41
; NumAgprs: 0
; TotalNumVgprs: 41
; ScratchSize: 16
; MemoryBound: 0
; FloatMode: 240
; IeeeMode: 1
; LDSByteSize: 0 bytes/workgroup (compile time only)
; SGPRBlocks: 4
; VGPRBlocks: 5
; NumSGPRsForWavesPerEU: 40
; NumVGPRsForWavesPerEU: 41
; AccumOffset: 44
; Occupancy: 8
; WaveLimiterHint : 1
; COMPUTE_PGM_RSRC2:SCRATCH_EN: 1
; COMPUTE_PGM_RSRC2:USER_SGPR: 8
; COMPUTE_PGM_RSRC2:TRAP_HANDLER: 0
; COMPUTE_PGM_RSRC2:TGID_X_EN: 1
; COMPUTE_PGM_RSRC2:TGID_Y_EN: 0
; COMPUTE_PGM_RSRC2:TGID_Z_EN: 0
; COMPUTE_PGM_RSRC2:TIDIG_COMP_CNT: 0
; COMPUTE_PGM_RSRC3_GFX90A:ACCUM_OFFSET: 10
; COMPUTE_PGM_RSRC3_GFX90A:TG_SPLIT: 0
	.section	.text._ZL9mul_mat_fI7__half2Li32ELi13ELi2ELb1EEvPKT_PKfPKiPfiiiiiiiiiiiiiiii,"axG",@progbits,_ZL9mul_mat_fI7__half2Li32ELi13ELi2ELb1EEvPKT_PKfPKiPfiiiiiiiiiiiiiiii,comdat
	.globl	_ZL9mul_mat_fI7__half2Li32ELi13ELi2ELb1EEvPKT_PKfPKiPfiiiiiiiiiiiiiiii ; -- Begin function _ZL9mul_mat_fI7__half2Li32ELi13ELi2ELb1EEvPKT_PKfPKiPfiiiiiiiiiiiiiiii
	.p2align	8
	.type	_ZL9mul_mat_fI7__half2Li32ELi13ELi2ELb1EEvPKT_PKfPKiPfiiiiiiiiiiiiiiii,@function
_ZL9mul_mat_fI7__half2Li32ELi13ELi2ELb1EEvPKT_PKfPKiPfiiiiiiiiiiiiiiii: ; @_ZL9mul_mat_fI7__half2Li32ELi13ELi2ELb1EEvPKT_PKfPKiPfiiiiiiiiiiiiiiii
; %bb.0:
	s_add_u32 flat_scratch_lo, s6, s9
	s_addc_u32 flat_scratch_hi, s7, 0
	s_add_u32 s0, s0, s9
	s_addc_u32 s1, s1, 0
	s_add_u32 s8, s4, 0x60
	s_addc_u32 s9, s5, 0
	s_getpc_b64 s[4:5]
	s_add_u32 s4, s4, __FUNCTION__._ZL9mul_mat_fIfLi32ELi13ELi1ELb1EEvPKT_PKfPKiPfiiiiiiiiiiiiiiii@rel32@lo+4
	s_addc_u32 s5, s5, __FUNCTION__._ZL9mul_mat_fIfLi32ELi13ELi1ELb1EEvPKT_PKfPKiPfiiiiiiiiiiiiiiii@rel32@hi+12
	v_mov_b32_e32 v0, 64
	v_mov_b32_e32 v1, s4
	;; [unrolled: 1-line block ×3, first 2 shown]
	s_mov_b32 s32, 0
	s_getpc_b64 s[6:7]
	s_add_u32 s6, s6, _ZL14no_device_codePKciS0_iS0_@rel32@lo+4
	s_addc_u32 s7, s7, _ZL14no_device_codePKciS0_iS0_@rel32@hi+12
	s_swappc_b64 s[30:31], s[6:7]
	.section	.rodata,"a",@progbits
	.p2align	6, 0x0
	.amdhsa_kernel _ZL9mul_mat_fI7__half2Li32ELi13ELi2ELb1EEvPKT_PKfPKiPfiiiiiiiiiiiiiiii
		.amdhsa_group_segment_fixed_size 0
		.amdhsa_private_segment_fixed_size 16
		.amdhsa_kernarg_size 352
		.amdhsa_user_sgpr_count 8
		.amdhsa_user_sgpr_private_segment_buffer 1
		.amdhsa_user_sgpr_dispatch_ptr 0
		.amdhsa_user_sgpr_queue_ptr 0
		.amdhsa_user_sgpr_kernarg_segment_ptr 1
		.amdhsa_user_sgpr_dispatch_id 0
		.amdhsa_user_sgpr_flat_scratch_init 1
		.amdhsa_user_sgpr_kernarg_preload_length 0
		.amdhsa_user_sgpr_kernarg_preload_offset 0
		.amdhsa_user_sgpr_private_segment_size 0
		.amdhsa_uses_dynamic_stack 0
		.amdhsa_system_sgpr_private_segment_wavefront_offset 1
		.amdhsa_system_sgpr_workgroup_id_x 1
		.amdhsa_system_sgpr_workgroup_id_y 0
		.amdhsa_system_sgpr_workgroup_id_z 0
		.amdhsa_system_sgpr_workgroup_info 0
		.amdhsa_system_vgpr_workitem_id 0
		.amdhsa_next_free_vgpr 41
		.amdhsa_next_free_sgpr 34
		.amdhsa_accum_offset 44
		.amdhsa_reserve_vcc 1
		.amdhsa_reserve_flat_scratch 1
		.amdhsa_float_round_mode_32 0
		.amdhsa_float_round_mode_16_64 0
		.amdhsa_float_denorm_mode_32 3
		.amdhsa_float_denorm_mode_16_64 3
		.amdhsa_dx10_clamp 1
		.amdhsa_ieee_mode 1
		.amdhsa_fp16_overflow 0
		.amdhsa_tg_split 0
		.amdhsa_exception_fp_ieee_invalid_op 0
		.amdhsa_exception_fp_denorm_src 0
		.amdhsa_exception_fp_ieee_div_zero 0
		.amdhsa_exception_fp_ieee_overflow 0
		.amdhsa_exception_fp_ieee_underflow 0
		.amdhsa_exception_fp_ieee_inexact 0
		.amdhsa_exception_int_div_zero 0
	.end_amdhsa_kernel
	.section	.text._ZL9mul_mat_fI7__half2Li32ELi13ELi2ELb1EEvPKT_PKfPKiPfiiiiiiiiiiiiiiii,"axG",@progbits,_ZL9mul_mat_fI7__half2Li32ELi13ELi2ELb1EEvPKT_PKfPKiPfiiiiiiiiiiiiiiii,comdat
.Lfunc_end31:
	.size	_ZL9mul_mat_fI7__half2Li32ELi13ELi2ELb1EEvPKT_PKfPKiPfiiiiiiiiiiiiiiii, .Lfunc_end31-_ZL9mul_mat_fI7__half2Li32ELi13ELi2ELb1EEvPKT_PKfPKiPfiiiiiiiiiiiiiiii
                                        ; -- End function
	.section	.AMDGPU.csdata,"",@progbits
; Kernel info:
; codeLenInByte = 88
; NumSgprs: 40
; NumVgprs: 41
; NumAgprs: 0
; TotalNumVgprs: 41
; ScratchSize: 16
; MemoryBound: 0
; FloatMode: 240
; IeeeMode: 1
; LDSByteSize: 0 bytes/workgroup (compile time only)
; SGPRBlocks: 4
; VGPRBlocks: 5
; NumSGPRsForWavesPerEU: 40
; NumVGPRsForWavesPerEU: 41
; AccumOffset: 44
; Occupancy: 8
; WaveLimiterHint : 1
; COMPUTE_PGM_RSRC2:SCRATCH_EN: 1
; COMPUTE_PGM_RSRC2:USER_SGPR: 8
; COMPUTE_PGM_RSRC2:TRAP_HANDLER: 0
; COMPUTE_PGM_RSRC2:TGID_X_EN: 1
; COMPUTE_PGM_RSRC2:TGID_Y_EN: 0
; COMPUTE_PGM_RSRC2:TGID_Z_EN: 0
; COMPUTE_PGM_RSRC2:TIDIG_COMP_CNT: 0
; COMPUTE_PGM_RSRC3_GFX90A:ACCUM_OFFSET: 10
; COMPUTE_PGM_RSRC3_GFX90A:TG_SPLIT: 0
	.section	.text._ZL9mul_mat_fI7__half2Li32ELi13ELi2ELb0EEvPKT_PKfPKiPfiiiiiiiiiiiiiiii,"axG",@progbits,_ZL9mul_mat_fI7__half2Li32ELi13ELi2ELb0EEvPKT_PKfPKiPfiiiiiiiiiiiiiiii,comdat
	.globl	_ZL9mul_mat_fI7__half2Li32ELi13ELi2ELb0EEvPKT_PKfPKiPfiiiiiiiiiiiiiiii ; -- Begin function _ZL9mul_mat_fI7__half2Li32ELi13ELi2ELb0EEvPKT_PKfPKiPfiiiiiiiiiiiiiiii
	.p2align	8
	.type	_ZL9mul_mat_fI7__half2Li32ELi13ELi2ELb0EEvPKT_PKfPKiPfiiiiiiiiiiiiiiii,@function
_ZL9mul_mat_fI7__half2Li32ELi13ELi2ELb0EEvPKT_PKfPKiPfiiiiiiiiiiiiiiii: ; @_ZL9mul_mat_fI7__half2Li32ELi13ELi2ELb0EEvPKT_PKfPKiPfiiiiiiiiiiiiiiii
; %bb.0:
	s_add_u32 flat_scratch_lo, s6, s9
	s_addc_u32 flat_scratch_hi, s7, 0
	s_add_u32 s0, s0, s9
	s_addc_u32 s1, s1, 0
	s_add_u32 s8, s4, 0x60
	s_addc_u32 s9, s5, 0
	s_getpc_b64 s[4:5]
	s_add_u32 s4, s4, __FUNCTION__._ZL9mul_mat_fIfLi32ELi13ELi1ELb1EEvPKT_PKfPKiPfiiiiiiiiiiiiiiii@rel32@lo+4
	s_addc_u32 s5, s5, __FUNCTION__._ZL9mul_mat_fIfLi32ELi13ELi1ELb1EEvPKT_PKfPKiPfiiiiiiiiiiiiiiii@rel32@hi+12
	v_mov_b32_e32 v0, 64
	v_mov_b32_e32 v1, s4
	;; [unrolled: 1-line block ×3, first 2 shown]
	s_mov_b32 s32, 0
	s_getpc_b64 s[6:7]
	s_add_u32 s6, s6, _ZL14no_device_codePKciS0_iS0_@rel32@lo+4
	s_addc_u32 s7, s7, _ZL14no_device_codePKciS0_iS0_@rel32@hi+12
	s_swappc_b64 s[30:31], s[6:7]
	.section	.rodata,"a",@progbits
	.p2align	6, 0x0
	.amdhsa_kernel _ZL9mul_mat_fI7__half2Li32ELi13ELi2ELb0EEvPKT_PKfPKiPfiiiiiiiiiiiiiiii
		.amdhsa_group_segment_fixed_size 0
		.amdhsa_private_segment_fixed_size 16
		.amdhsa_kernarg_size 352
		.amdhsa_user_sgpr_count 8
		.amdhsa_user_sgpr_private_segment_buffer 1
		.amdhsa_user_sgpr_dispatch_ptr 0
		.amdhsa_user_sgpr_queue_ptr 0
		.amdhsa_user_sgpr_kernarg_segment_ptr 1
		.amdhsa_user_sgpr_dispatch_id 0
		.amdhsa_user_sgpr_flat_scratch_init 1
		.amdhsa_user_sgpr_kernarg_preload_length 0
		.amdhsa_user_sgpr_kernarg_preload_offset 0
		.amdhsa_user_sgpr_private_segment_size 0
		.amdhsa_uses_dynamic_stack 0
		.amdhsa_system_sgpr_private_segment_wavefront_offset 1
		.amdhsa_system_sgpr_workgroup_id_x 1
		.amdhsa_system_sgpr_workgroup_id_y 0
		.amdhsa_system_sgpr_workgroup_id_z 0
		.amdhsa_system_sgpr_workgroup_info 0
		.amdhsa_system_vgpr_workitem_id 0
		.amdhsa_next_free_vgpr 41
		.amdhsa_next_free_sgpr 34
		.amdhsa_accum_offset 44
		.amdhsa_reserve_vcc 1
		.amdhsa_reserve_flat_scratch 1
		.amdhsa_float_round_mode_32 0
		.amdhsa_float_round_mode_16_64 0
		.amdhsa_float_denorm_mode_32 3
		.amdhsa_float_denorm_mode_16_64 3
		.amdhsa_dx10_clamp 1
		.amdhsa_ieee_mode 1
		.amdhsa_fp16_overflow 0
		.amdhsa_tg_split 0
		.amdhsa_exception_fp_ieee_invalid_op 0
		.amdhsa_exception_fp_denorm_src 0
		.amdhsa_exception_fp_ieee_div_zero 0
		.amdhsa_exception_fp_ieee_overflow 0
		.amdhsa_exception_fp_ieee_underflow 0
		.amdhsa_exception_fp_ieee_inexact 0
		.amdhsa_exception_int_div_zero 0
	.end_amdhsa_kernel
	.section	.text._ZL9mul_mat_fI7__half2Li32ELi13ELi2ELb0EEvPKT_PKfPKiPfiiiiiiiiiiiiiiii,"axG",@progbits,_ZL9mul_mat_fI7__half2Li32ELi13ELi2ELb0EEvPKT_PKfPKiPfiiiiiiiiiiiiiiii,comdat
.Lfunc_end32:
	.size	_ZL9mul_mat_fI7__half2Li32ELi13ELi2ELb0EEvPKT_PKfPKiPfiiiiiiiiiiiiiiii, .Lfunc_end32-_ZL9mul_mat_fI7__half2Li32ELi13ELi2ELb0EEvPKT_PKfPKiPfiiiiiiiiiiiiiiii
                                        ; -- End function
	.section	.AMDGPU.csdata,"",@progbits
; Kernel info:
; codeLenInByte = 88
; NumSgprs: 40
; NumVgprs: 41
; NumAgprs: 0
; TotalNumVgprs: 41
; ScratchSize: 16
; MemoryBound: 0
; FloatMode: 240
; IeeeMode: 1
; LDSByteSize: 0 bytes/workgroup (compile time only)
; SGPRBlocks: 4
; VGPRBlocks: 5
; NumSGPRsForWavesPerEU: 40
; NumVGPRsForWavesPerEU: 41
; AccumOffset: 44
; Occupancy: 8
; WaveLimiterHint : 1
; COMPUTE_PGM_RSRC2:SCRATCH_EN: 1
; COMPUTE_PGM_RSRC2:USER_SGPR: 8
; COMPUTE_PGM_RSRC2:TRAP_HANDLER: 0
; COMPUTE_PGM_RSRC2:TGID_X_EN: 1
; COMPUTE_PGM_RSRC2:TGID_Y_EN: 0
; COMPUTE_PGM_RSRC2:TGID_Z_EN: 0
; COMPUTE_PGM_RSRC2:TIDIG_COMP_CNT: 0
; COMPUTE_PGM_RSRC3_GFX90A:ACCUM_OFFSET: 10
; COMPUTE_PGM_RSRC3_GFX90A:TG_SPLIT: 0
	.section	.text._ZL13mul_mat_f_idsI7__half2Li32ELi13ELi3EEvPKT_PKfPKiS7_S7_Pfiiiiiiiiiiiiii15HIP_vector_typeIjLj3EESA_,"axG",@progbits,_ZL13mul_mat_f_idsI7__half2Li32ELi13ELi3EEvPKT_PKfPKiS7_S7_Pfiiiiiiiiiiiiii15HIP_vector_typeIjLj3EESA_,comdat
	.globl	_ZL13mul_mat_f_idsI7__half2Li32ELi13ELi3EEvPKT_PKfPKiS7_S7_Pfiiiiiiiiiiiiii15HIP_vector_typeIjLj3EESA_ ; -- Begin function _ZL13mul_mat_f_idsI7__half2Li32ELi13ELi3EEvPKT_PKfPKiS7_S7_Pfiiiiiiiiiiiiii15HIP_vector_typeIjLj3EESA_
	.p2align	8
	.type	_ZL13mul_mat_f_idsI7__half2Li32ELi13ELi3EEvPKT_PKfPKiS7_S7_Pfiiiiiiiiiiiiii15HIP_vector_typeIjLj3EESA_,@function
_ZL13mul_mat_f_idsI7__half2Li32ELi13ELi3EEvPKT_PKfPKiS7_S7_Pfiiiiiiiiiiiiii15HIP_vector_typeIjLj3EESA_: ; @_ZL13mul_mat_f_idsI7__half2Li32ELi13ELi3EEvPKT_PKfPKiS7_S7_Pfiiiiiiiiiiiiii15HIP_vector_typeIjLj3EESA_
; %bb.0:
	s_add_u32 flat_scratch_lo, s6, s9
	s_addc_u32 flat_scratch_hi, s7, 0
	s_add_u32 s0, s0, s9
	s_addc_u32 s1, s1, 0
	s_add_u32 s8, s4, 0x80
	s_addc_u32 s9, s5, 0
	s_getpc_b64 s[4:5]
	s_add_u32 s4, s4, __FUNCTION__._ZL13mul_mat_f_idsIfLi32ELi13ELi1EEvPKT_PKfPKiS6_S6_Pfiiiiiiiiiiiiii15HIP_vector_typeIjLj3EES9_@rel32@lo+4
	s_addc_u32 s5, s5, __FUNCTION__._ZL13mul_mat_f_idsIfLi32ELi13ELi1EEvPKT_PKfPKiS6_S6_Pfiiiiiiiiiiiiii15HIP_vector_typeIjLj3EES9_@rel32@hi+12
	v_mov_b32_e32 v0, 0x13b
	v_mov_b32_e32 v1, s4
	;; [unrolled: 1-line block ×3, first 2 shown]
	s_mov_b32 s32, 0
	s_getpc_b64 s[6:7]
	s_add_u32 s6, s6, _ZL14no_device_codePKciS0_iS0_@rel32@lo+4
	s_addc_u32 s7, s7, _ZL14no_device_codePKciS0_iS0_@rel32@hi+12
	s_swappc_b64 s[30:31], s[6:7]
	.section	.rodata,"a",@progbits
	.p2align	6, 0x0
	.amdhsa_kernel _ZL13mul_mat_f_idsI7__half2Li32ELi13ELi3EEvPKT_PKfPKiS7_S7_Pfiiiiiiiiiiiiii15HIP_vector_typeIjLj3EESA_
		.amdhsa_group_segment_fixed_size 0
		.amdhsa_private_segment_fixed_size 16
		.amdhsa_kernarg_size 384
		.amdhsa_user_sgpr_count 8
		.amdhsa_user_sgpr_private_segment_buffer 1
		.amdhsa_user_sgpr_dispatch_ptr 0
		.amdhsa_user_sgpr_queue_ptr 0
		.amdhsa_user_sgpr_kernarg_segment_ptr 1
		.amdhsa_user_sgpr_dispatch_id 0
		.amdhsa_user_sgpr_flat_scratch_init 1
		.amdhsa_user_sgpr_kernarg_preload_length 0
		.amdhsa_user_sgpr_kernarg_preload_offset 0
		.amdhsa_user_sgpr_private_segment_size 0
		.amdhsa_uses_dynamic_stack 0
		.amdhsa_system_sgpr_private_segment_wavefront_offset 1
		.amdhsa_system_sgpr_workgroup_id_x 1
		.amdhsa_system_sgpr_workgroup_id_y 0
		.amdhsa_system_sgpr_workgroup_id_z 0
		.amdhsa_system_sgpr_workgroup_info 0
		.amdhsa_system_vgpr_workitem_id 0
		.amdhsa_next_free_vgpr 41
		.amdhsa_next_free_sgpr 34
		.amdhsa_accum_offset 44
		.amdhsa_reserve_vcc 1
		.amdhsa_reserve_flat_scratch 1
		.amdhsa_float_round_mode_32 0
		.amdhsa_float_round_mode_16_64 0
		.amdhsa_float_denorm_mode_32 3
		.amdhsa_float_denorm_mode_16_64 3
		.amdhsa_dx10_clamp 1
		.amdhsa_ieee_mode 1
		.amdhsa_fp16_overflow 0
		.amdhsa_tg_split 0
		.amdhsa_exception_fp_ieee_invalid_op 0
		.amdhsa_exception_fp_denorm_src 0
		.amdhsa_exception_fp_ieee_div_zero 0
		.amdhsa_exception_fp_ieee_overflow 0
		.amdhsa_exception_fp_ieee_underflow 0
		.amdhsa_exception_fp_ieee_inexact 0
		.amdhsa_exception_int_div_zero 0
	.end_amdhsa_kernel
	.section	.text._ZL13mul_mat_f_idsI7__half2Li32ELi13ELi3EEvPKT_PKfPKiS7_S7_Pfiiiiiiiiiiiiii15HIP_vector_typeIjLj3EESA_,"axG",@progbits,_ZL13mul_mat_f_idsI7__half2Li32ELi13ELi3EEvPKT_PKfPKiS7_S7_Pfiiiiiiiiiiiiii15HIP_vector_typeIjLj3EESA_,comdat
.Lfunc_end33:
	.size	_ZL13mul_mat_f_idsI7__half2Li32ELi13ELi3EEvPKT_PKfPKiS7_S7_Pfiiiiiiiiiiiiii15HIP_vector_typeIjLj3EESA_, .Lfunc_end33-_ZL13mul_mat_f_idsI7__half2Li32ELi13ELi3EEvPKT_PKfPKiS7_S7_Pfiiiiiiiiiiiiii15HIP_vector_typeIjLj3EESA_
                                        ; -- End function
	.section	.AMDGPU.csdata,"",@progbits
; Kernel info:
; codeLenInByte = 92
; NumSgprs: 40
; NumVgprs: 41
; NumAgprs: 0
; TotalNumVgprs: 41
; ScratchSize: 16
; MemoryBound: 0
; FloatMode: 240
; IeeeMode: 1
; LDSByteSize: 0 bytes/workgroup (compile time only)
; SGPRBlocks: 4
; VGPRBlocks: 5
; NumSGPRsForWavesPerEU: 40
; NumVGPRsForWavesPerEU: 41
; AccumOffset: 44
; Occupancy: 8
; WaveLimiterHint : 1
; COMPUTE_PGM_RSRC2:SCRATCH_EN: 1
; COMPUTE_PGM_RSRC2:USER_SGPR: 8
; COMPUTE_PGM_RSRC2:TRAP_HANDLER: 0
; COMPUTE_PGM_RSRC2:TGID_X_EN: 1
; COMPUTE_PGM_RSRC2:TGID_Y_EN: 0
; COMPUTE_PGM_RSRC2:TGID_Z_EN: 0
; COMPUTE_PGM_RSRC2:TIDIG_COMP_CNT: 0
; COMPUTE_PGM_RSRC3_GFX90A:ACCUM_OFFSET: 10
; COMPUTE_PGM_RSRC3_GFX90A:TG_SPLIT: 0
	.section	.text._ZL9mul_mat_fI7__half2Li32ELi13ELi3ELb1EEvPKT_PKfPKiPfiiiiiiiiiiiiiiii,"axG",@progbits,_ZL9mul_mat_fI7__half2Li32ELi13ELi3ELb1EEvPKT_PKfPKiPfiiiiiiiiiiiiiiii,comdat
	.globl	_ZL9mul_mat_fI7__half2Li32ELi13ELi3ELb1EEvPKT_PKfPKiPfiiiiiiiiiiiiiiii ; -- Begin function _ZL9mul_mat_fI7__half2Li32ELi13ELi3ELb1EEvPKT_PKfPKiPfiiiiiiiiiiiiiiii
	.p2align	8
	.type	_ZL9mul_mat_fI7__half2Li32ELi13ELi3ELb1EEvPKT_PKfPKiPfiiiiiiiiiiiiiiii,@function
_ZL9mul_mat_fI7__half2Li32ELi13ELi3ELb1EEvPKT_PKfPKiPfiiiiiiiiiiiiiiii: ; @_ZL9mul_mat_fI7__half2Li32ELi13ELi3ELb1EEvPKT_PKfPKiPfiiiiiiiiiiiiiiii
; %bb.0:
	s_add_u32 flat_scratch_lo, s6, s9
	s_addc_u32 flat_scratch_hi, s7, 0
	s_add_u32 s0, s0, s9
	s_addc_u32 s1, s1, 0
	s_add_u32 s8, s4, 0x60
	s_addc_u32 s9, s5, 0
	s_getpc_b64 s[4:5]
	s_add_u32 s4, s4, __FUNCTION__._ZL9mul_mat_fIfLi32ELi13ELi1ELb1EEvPKT_PKfPKiPfiiiiiiiiiiiiiiii@rel32@lo+4
	s_addc_u32 s5, s5, __FUNCTION__._ZL9mul_mat_fIfLi32ELi13ELi1ELb1EEvPKT_PKfPKiPfiiiiiiiiiiiiiiii@rel32@hi+12
	v_mov_b32_e32 v0, 64
	v_mov_b32_e32 v1, s4
	v_mov_b32_e32 v2, s5
	s_mov_b32 s32, 0
	s_getpc_b64 s[6:7]
	s_add_u32 s6, s6, _ZL14no_device_codePKciS0_iS0_@rel32@lo+4
	s_addc_u32 s7, s7, _ZL14no_device_codePKciS0_iS0_@rel32@hi+12
	s_swappc_b64 s[30:31], s[6:7]
	.section	.rodata,"a",@progbits
	.p2align	6, 0x0
	.amdhsa_kernel _ZL9mul_mat_fI7__half2Li32ELi13ELi3ELb1EEvPKT_PKfPKiPfiiiiiiiiiiiiiiii
		.amdhsa_group_segment_fixed_size 0
		.amdhsa_private_segment_fixed_size 16
		.amdhsa_kernarg_size 352
		.amdhsa_user_sgpr_count 8
		.amdhsa_user_sgpr_private_segment_buffer 1
		.amdhsa_user_sgpr_dispatch_ptr 0
		.amdhsa_user_sgpr_queue_ptr 0
		.amdhsa_user_sgpr_kernarg_segment_ptr 1
		.amdhsa_user_sgpr_dispatch_id 0
		.amdhsa_user_sgpr_flat_scratch_init 1
		.amdhsa_user_sgpr_kernarg_preload_length 0
		.amdhsa_user_sgpr_kernarg_preload_offset 0
		.amdhsa_user_sgpr_private_segment_size 0
		.amdhsa_uses_dynamic_stack 0
		.amdhsa_system_sgpr_private_segment_wavefront_offset 1
		.amdhsa_system_sgpr_workgroup_id_x 1
		.amdhsa_system_sgpr_workgroup_id_y 0
		.amdhsa_system_sgpr_workgroup_id_z 0
		.amdhsa_system_sgpr_workgroup_info 0
		.amdhsa_system_vgpr_workitem_id 0
		.amdhsa_next_free_vgpr 41
		.amdhsa_next_free_sgpr 34
		.amdhsa_accum_offset 44
		.amdhsa_reserve_vcc 1
		.amdhsa_reserve_flat_scratch 1
		.amdhsa_float_round_mode_32 0
		.amdhsa_float_round_mode_16_64 0
		.amdhsa_float_denorm_mode_32 3
		.amdhsa_float_denorm_mode_16_64 3
		.amdhsa_dx10_clamp 1
		.amdhsa_ieee_mode 1
		.amdhsa_fp16_overflow 0
		.amdhsa_tg_split 0
		.amdhsa_exception_fp_ieee_invalid_op 0
		.amdhsa_exception_fp_denorm_src 0
		.amdhsa_exception_fp_ieee_div_zero 0
		.amdhsa_exception_fp_ieee_overflow 0
		.amdhsa_exception_fp_ieee_underflow 0
		.amdhsa_exception_fp_ieee_inexact 0
		.amdhsa_exception_int_div_zero 0
	.end_amdhsa_kernel
	.section	.text._ZL9mul_mat_fI7__half2Li32ELi13ELi3ELb1EEvPKT_PKfPKiPfiiiiiiiiiiiiiiii,"axG",@progbits,_ZL9mul_mat_fI7__half2Li32ELi13ELi3ELb1EEvPKT_PKfPKiPfiiiiiiiiiiiiiiii,comdat
.Lfunc_end34:
	.size	_ZL9mul_mat_fI7__half2Li32ELi13ELi3ELb1EEvPKT_PKfPKiPfiiiiiiiiiiiiiiii, .Lfunc_end34-_ZL9mul_mat_fI7__half2Li32ELi13ELi3ELb1EEvPKT_PKfPKiPfiiiiiiiiiiiiiiii
                                        ; -- End function
	.section	.AMDGPU.csdata,"",@progbits
; Kernel info:
; codeLenInByte = 88
; NumSgprs: 40
; NumVgprs: 41
; NumAgprs: 0
; TotalNumVgprs: 41
; ScratchSize: 16
; MemoryBound: 0
; FloatMode: 240
; IeeeMode: 1
; LDSByteSize: 0 bytes/workgroup (compile time only)
; SGPRBlocks: 4
; VGPRBlocks: 5
; NumSGPRsForWavesPerEU: 40
; NumVGPRsForWavesPerEU: 41
; AccumOffset: 44
; Occupancy: 8
; WaveLimiterHint : 1
; COMPUTE_PGM_RSRC2:SCRATCH_EN: 1
; COMPUTE_PGM_RSRC2:USER_SGPR: 8
; COMPUTE_PGM_RSRC2:TRAP_HANDLER: 0
; COMPUTE_PGM_RSRC2:TGID_X_EN: 1
; COMPUTE_PGM_RSRC2:TGID_Y_EN: 0
; COMPUTE_PGM_RSRC2:TGID_Z_EN: 0
; COMPUTE_PGM_RSRC2:TIDIG_COMP_CNT: 0
; COMPUTE_PGM_RSRC3_GFX90A:ACCUM_OFFSET: 10
; COMPUTE_PGM_RSRC3_GFX90A:TG_SPLIT: 0
	.section	.text._ZL9mul_mat_fI7__half2Li32ELi13ELi3ELb0EEvPKT_PKfPKiPfiiiiiiiiiiiiiiii,"axG",@progbits,_ZL9mul_mat_fI7__half2Li32ELi13ELi3ELb0EEvPKT_PKfPKiPfiiiiiiiiiiiiiiii,comdat
	.globl	_ZL9mul_mat_fI7__half2Li32ELi13ELi3ELb0EEvPKT_PKfPKiPfiiiiiiiiiiiiiiii ; -- Begin function _ZL9mul_mat_fI7__half2Li32ELi13ELi3ELb0EEvPKT_PKfPKiPfiiiiiiiiiiiiiiii
	.p2align	8
	.type	_ZL9mul_mat_fI7__half2Li32ELi13ELi3ELb0EEvPKT_PKfPKiPfiiiiiiiiiiiiiiii,@function
_ZL9mul_mat_fI7__half2Li32ELi13ELi3ELb0EEvPKT_PKfPKiPfiiiiiiiiiiiiiiii: ; @_ZL9mul_mat_fI7__half2Li32ELi13ELi3ELb0EEvPKT_PKfPKiPfiiiiiiiiiiiiiiii
; %bb.0:
	s_add_u32 flat_scratch_lo, s6, s9
	s_addc_u32 flat_scratch_hi, s7, 0
	s_add_u32 s0, s0, s9
	s_addc_u32 s1, s1, 0
	s_add_u32 s8, s4, 0x60
	s_addc_u32 s9, s5, 0
	s_getpc_b64 s[4:5]
	s_add_u32 s4, s4, __FUNCTION__._ZL9mul_mat_fIfLi32ELi13ELi1ELb1EEvPKT_PKfPKiPfiiiiiiiiiiiiiiii@rel32@lo+4
	s_addc_u32 s5, s5, __FUNCTION__._ZL9mul_mat_fIfLi32ELi13ELi1ELb1EEvPKT_PKfPKiPfiiiiiiiiiiiiiiii@rel32@hi+12
	v_mov_b32_e32 v0, 64
	v_mov_b32_e32 v1, s4
	;; [unrolled: 1-line block ×3, first 2 shown]
	s_mov_b32 s32, 0
	s_getpc_b64 s[6:7]
	s_add_u32 s6, s6, _ZL14no_device_codePKciS0_iS0_@rel32@lo+4
	s_addc_u32 s7, s7, _ZL14no_device_codePKciS0_iS0_@rel32@hi+12
	s_swappc_b64 s[30:31], s[6:7]
	.section	.rodata,"a",@progbits
	.p2align	6, 0x0
	.amdhsa_kernel _ZL9mul_mat_fI7__half2Li32ELi13ELi3ELb0EEvPKT_PKfPKiPfiiiiiiiiiiiiiiii
		.amdhsa_group_segment_fixed_size 0
		.amdhsa_private_segment_fixed_size 16
		.amdhsa_kernarg_size 352
		.amdhsa_user_sgpr_count 8
		.amdhsa_user_sgpr_private_segment_buffer 1
		.amdhsa_user_sgpr_dispatch_ptr 0
		.amdhsa_user_sgpr_queue_ptr 0
		.amdhsa_user_sgpr_kernarg_segment_ptr 1
		.amdhsa_user_sgpr_dispatch_id 0
		.amdhsa_user_sgpr_flat_scratch_init 1
		.amdhsa_user_sgpr_kernarg_preload_length 0
		.amdhsa_user_sgpr_kernarg_preload_offset 0
		.amdhsa_user_sgpr_private_segment_size 0
		.amdhsa_uses_dynamic_stack 0
		.amdhsa_system_sgpr_private_segment_wavefront_offset 1
		.amdhsa_system_sgpr_workgroup_id_x 1
		.amdhsa_system_sgpr_workgroup_id_y 0
		.amdhsa_system_sgpr_workgroup_id_z 0
		.amdhsa_system_sgpr_workgroup_info 0
		.amdhsa_system_vgpr_workitem_id 0
		.amdhsa_next_free_vgpr 41
		.amdhsa_next_free_sgpr 34
		.amdhsa_accum_offset 44
		.amdhsa_reserve_vcc 1
		.amdhsa_reserve_flat_scratch 1
		.amdhsa_float_round_mode_32 0
		.amdhsa_float_round_mode_16_64 0
		.amdhsa_float_denorm_mode_32 3
		.amdhsa_float_denorm_mode_16_64 3
		.amdhsa_dx10_clamp 1
		.amdhsa_ieee_mode 1
		.amdhsa_fp16_overflow 0
		.amdhsa_tg_split 0
		.amdhsa_exception_fp_ieee_invalid_op 0
		.amdhsa_exception_fp_denorm_src 0
		.amdhsa_exception_fp_ieee_div_zero 0
		.amdhsa_exception_fp_ieee_overflow 0
		.amdhsa_exception_fp_ieee_underflow 0
		.amdhsa_exception_fp_ieee_inexact 0
		.amdhsa_exception_int_div_zero 0
	.end_amdhsa_kernel
	.section	.text._ZL9mul_mat_fI7__half2Li32ELi13ELi3ELb0EEvPKT_PKfPKiPfiiiiiiiiiiiiiiii,"axG",@progbits,_ZL9mul_mat_fI7__half2Li32ELi13ELi3ELb0EEvPKT_PKfPKiPfiiiiiiiiiiiiiiii,comdat
.Lfunc_end35:
	.size	_ZL9mul_mat_fI7__half2Li32ELi13ELi3ELb0EEvPKT_PKfPKiPfiiiiiiiiiiiiiiii, .Lfunc_end35-_ZL9mul_mat_fI7__half2Li32ELi13ELi3ELb0EEvPKT_PKfPKiPfiiiiiiiiiiiiiiii
                                        ; -- End function
	.section	.AMDGPU.csdata,"",@progbits
; Kernel info:
; codeLenInByte = 88
; NumSgprs: 40
; NumVgprs: 41
; NumAgprs: 0
; TotalNumVgprs: 41
; ScratchSize: 16
; MemoryBound: 0
; FloatMode: 240
; IeeeMode: 1
; LDSByteSize: 0 bytes/workgroup (compile time only)
; SGPRBlocks: 4
; VGPRBlocks: 5
; NumSGPRsForWavesPerEU: 40
; NumVGPRsForWavesPerEU: 41
; AccumOffset: 44
; Occupancy: 8
; WaveLimiterHint : 1
; COMPUTE_PGM_RSRC2:SCRATCH_EN: 1
; COMPUTE_PGM_RSRC2:USER_SGPR: 8
; COMPUTE_PGM_RSRC2:TRAP_HANDLER: 0
; COMPUTE_PGM_RSRC2:TGID_X_EN: 1
; COMPUTE_PGM_RSRC2:TGID_Y_EN: 0
; COMPUTE_PGM_RSRC2:TGID_Z_EN: 0
; COMPUTE_PGM_RSRC2:TIDIG_COMP_CNT: 0
; COMPUTE_PGM_RSRC3_GFX90A:ACCUM_OFFSET: 10
; COMPUTE_PGM_RSRC3_GFX90A:TG_SPLIT: 0
	.section	.text._ZL13mul_mat_f_idsI7__half2Li32ELi13ELi4EEvPKT_PKfPKiS7_S7_Pfiiiiiiiiiiiiii15HIP_vector_typeIjLj3EESA_,"axG",@progbits,_ZL13mul_mat_f_idsI7__half2Li32ELi13ELi4EEvPKT_PKfPKiS7_S7_Pfiiiiiiiiiiiiii15HIP_vector_typeIjLj3EESA_,comdat
	.globl	_ZL13mul_mat_f_idsI7__half2Li32ELi13ELi4EEvPKT_PKfPKiS7_S7_Pfiiiiiiiiiiiiii15HIP_vector_typeIjLj3EESA_ ; -- Begin function _ZL13mul_mat_f_idsI7__half2Li32ELi13ELi4EEvPKT_PKfPKiS7_S7_Pfiiiiiiiiiiiiii15HIP_vector_typeIjLj3EESA_
	.p2align	8
	.type	_ZL13mul_mat_f_idsI7__half2Li32ELi13ELi4EEvPKT_PKfPKiS7_S7_Pfiiiiiiiiiiiiii15HIP_vector_typeIjLj3EESA_,@function
_ZL13mul_mat_f_idsI7__half2Li32ELi13ELi4EEvPKT_PKfPKiS7_S7_Pfiiiiiiiiiiiiii15HIP_vector_typeIjLj3EESA_: ; @_ZL13mul_mat_f_idsI7__half2Li32ELi13ELi4EEvPKT_PKfPKiS7_S7_Pfiiiiiiiiiiiiii15HIP_vector_typeIjLj3EESA_
; %bb.0:
	s_add_u32 flat_scratch_lo, s6, s9
	s_addc_u32 flat_scratch_hi, s7, 0
	s_add_u32 s0, s0, s9
	s_addc_u32 s1, s1, 0
	s_add_u32 s8, s4, 0x80
	s_addc_u32 s9, s5, 0
	s_getpc_b64 s[4:5]
	s_add_u32 s4, s4, __FUNCTION__._ZL13mul_mat_f_idsIfLi32ELi13ELi1EEvPKT_PKfPKiS6_S6_Pfiiiiiiiiiiiiii15HIP_vector_typeIjLj3EES9_@rel32@lo+4
	s_addc_u32 s5, s5, __FUNCTION__._ZL13mul_mat_f_idsIfLi32ELi13ELi1EEvPKT_PKfPKiS6_S6_Pfiiiiiiiiiiiiii15HIP_vector_typeIjLj3EES9_@rel32@hi+12
	v_mov_b32_e32 v0, 0x13b
	v_mov_b32_e32 v1, s4
	;; [unrolled: 1-line block ×3, first 2 shown]
	s_mov_b32 s32, 0
	s_getpc_b64 s[6:7]
	s_add_u32 s6, s6, _ZL14no_device_codePKciS0_iS0_@rel32@lo+4
	s_addc_u32 s7, s7, _ZL14no_device_codePKciS0_iS0_@rel32@hi+12
	s_swappc_b64 s[30:31], s[6:7]
	.section	.rodata,"a",@progbits
	.p2align	6, 0x0
	.amdhsa_kernel _ZL13mul_mat_f_idsI7__half2Li32ELi13ELi4EEvPKT_PKfPKiS7_S7_Pfiiiiiiiiiiiiii15HIP_vector_typeIjLj3EESA_
		.amdhsa_group_segment_fixed_size 0
		.amdhsa_private_segment_fixed_size 16
		.amdhsa_kernarg_size 384
		.amdhsa_user_sgpr_count 8
		.amdhsa_user_sgpr_private_segment_buffer 1
		.amdhsa_user_sgpr_dispatch_ptr 0
		.amdhsa_user_sgpr_queue_ptr 0
		.amdhsa_user_sgpr_kernarg_segment_ptr 1
		.amdhsa_user_sgpr_dispatch_id 0
		.amdhsa_user_sgpr_flat_scratch_init 1
		.amdhsa_user_sgpr_kernarg_preload_length 0
		.amdhsa_user_sgpr_kernarg_preload_offset 0
		.amdhsa_user_sgpr_private_segment_size 0
		.amdhsa_uses_dynamic_stack 0
		.amdhsa_system_sgpr_private_segment_wavefront_offset 1
		.amdhsa_system_sgpr_workgroup_id_x 1
		.amdhsa_system_sgpr_workgroup_id_y 0
		.amdhsa_system_sgpr_workgroup_id_z 0
		.amdhsa_system_sgpr_workgroup_info 0
		.amdhsa_system_vgpr_workitem_id 0
		.amdhsa_next_free_vgpr 41
		.amdhsa_next_free_sgpr 34
		.amdhsa_accum_offset 44
		.amdhsa_reserve_vcc 1
		.amdhsa_reserve_flat_scratch 1
		.amdhsa_float_round_mode_32 0
		.amdhsa_float_round_mode_16_64 0
		.amdhsa_float_denorm_mode_32 3
		.amdhsa_float_denorm_mode_16_64 3
		.amdhsa_dx10_clamp 1
		.amdhsa_ieee_mode 1
		.amdhsa_fp16_overflow 0
		.amdhsa_tg_split 0
		.amdhsa_exception_fp_ieee_invalid_op 0
		.amdhsa_exception_fp_denorm_src 0
		.amdhsa_exception_fp_ieee_div_zero 0
		.amdhsa_exception_fp_ieee_overflow 0
		.amdhsa_exception_fp_ieee_underflow 0
		.amdhsa_exception_fp_ieee_inexact 0
		.amdhsa_exception_int_div_zero 0
	.end_amdhsa_kernel
	.section	.text._ZL13mul_mat_f_idsI7__half2Li32ELi13ELi4EEvPKT_PKfPKiS7_S7_Pfiiiiiiiiiiiiii15HIP_vector_typeIjLj3EESA_,"axG",@progbits,_ZL13mul_mat_f_idsI7__half2Li32ELi13ELi4EEvPKT_PKfPKiS7_S7_Pfiiiiiiiiiiiiii15HIP_vector_typeIjLj3EESA_,comdat
.Lfunc_end36:
	.size	_ZL13mul_mat_f_idsI7__half2Li32ELi13ELi4EEvPKT_PKfPKiS7_S7_Pfiiiiiiiiiiiiii15HIP_vector_typeIjLj3EESA_, .Lfunc_end36-_ZL13mul_mat_f_idsI7__half2Li32ELi13ELi4EEvPKT_PKfPKiS7_S7_Pfiiiiiiiiiiiiii15HIP_vector_typeIjLj3EESA_
                                        ; -- End function
	.section	.AMDGPU.csdata,"",@progbits
; Kernel info:
; codeLenInByte = 92
; NumSgprs: 40
; NumVgprs: 41
; NumAgprs: 0
; TotalNumVgprs: 41
; ScratchSize: 16
; MemoryBound: 0
; FloatMode: 240
; IeeeMode: 1
; LDSByteSize: 0 bytes/workgroup (compile time only)
; SGPRBlocks: 4
; VGPRBlocks: 5
; NumSGPRsForWavesPerEU: 40
; NumVGPRsForWavesPerEU: 41
; AccumOffset: 44
; Occupancy: 8
; WaveLimiterHint : 1
; COMPUTE_PGM_RSRC2:SCRATCH_EN: 1
; COMPUTE_PGM_RSRC2:USER_SGPR: 8
; COMPUTE_PGM_RSRC2:TRAP_HANDLER: 0
; COMPUTE_PGM_RSRC2:TGID_X_EN: 1
; COMPUTE_PGM_RSRC2:TGID_Y_EN: 0
; COMPUTE_PGM_RSRC2:TGID_Z_EN: 0
; COMPUTE_PGM_RSRC2:TIDIG_COMP_CNT: 0
; COMPUTE_PGM_RSRC3_GFX90A:ACCUM_OFFSET: 10
; COMPUTE_PGM_RSRC3_GFX90A:TG_SPLIT: 0
	.section	.text._ZL9mul_mat_fI7__half2Li32ELi13ELi4ELb1EEvPKT_PKfPKiPfiiiiiiiiiiiiiiii,"axG",@progbits,_ZL9mul_mat_fI7__half2Li32ELi13ELi4ELb1EEvPKT_PKfPKiPfiiiiiiiiiiiiiiii,comdat
	.globl	_ZL9mul_mat_fI7__half2Li32ELi13ELi4ELb1EEvPKT_PKfPKiPfiiiiiiiiiiiiiiii ; -- Begin function _ZL9mul_mat_fI7__half2Li32ELi13ELi4ELb1EEvPKT_PKfPKiPfiiiiiiiiiiiiiiii
	.p2align	8
	.type	_ZL9mul_mat_fI7__half2Li32ELi13ELi4ELb1EEvPKT_PKfPKiPfiiiiiiiiiiiiiiii,@function
_ZL9mul_mat_fI7__half2Li32ELi13ELi4ELb1EEvPKT_PKfPKiPfiiiiiiiiiiiiiiii: ; @_ZL9mul_mat_fI7__half2Li32ELi13ELi4ELb1EEvPKT_PKfPKiPfiiiiiiiiiiiiiiii
; %bb.0:
	s_add_u32 flat_scratch_lo, s6, s9
	s_addc_u32 flat_scratch_hi, s7, 0
	s_add_u32 s0, s0, s9
	s_addc_u32 s1, s1, 0
	s_add_u32 s8, s4, 0x60
	s_addc_u32 s9, s5, 0
	s_getpc_b64 s[4:5]
	s_add_u32 s4, s4, __FUNCTION__._ZL9mul_mat_fIfLi32ELi13ELi1ELb1EEvPKT_PKfPKiPfiiiiiiiiiiiiiiii@rel32@lo+4
	s_addc_u32 s5, s5, __FUNCTION__._ZL9mul_mat_fIfLi32ELi13ELi1ELb1EEvPKT_PKfPKiPfiiiiiiiiiiiiiiii@rel32@hi+12
	v_mov_b32_e32 v0, 64
	v_mov_b32_e32 v1, s4
	;; [unrolled: 1-line block ×3, first 2 shown]
	s_mov_b32 s32, 0
	s_getpc_b64 s[6:7]
	s_add_u32 s6, s6, _ZL14no_device_codePKciS0_iS0_@rel32@lo+4
	s_addc_u32 s7, s7, _ZL14no_device_codePKciS0_iS0_@rel32@hi+12
	s_swappc_b64 s[30:31], s[6:7]
	.section	.rodata,"a",@progbits
	.p2align	6, 0x0
	.amdhsa_kernel _ZL9mul_mat_fI7__half2Li32ELi13ELi4ELb1EEvPKT_PKfPKiPfiiiiiiiiiiiiiiii
		.amdhsa_group_segment_fixed_size 0
		.amdhsa_private_segment_fixed_size 16
		.amdhsa_kernarg_size 352
		.amdhsa_user_sgpr_count 8
		.amdhsa_user_sgpr_private_segment_buffer 1
		.amdhsa_user_sgpr_dispatch_ptr 0
		.amdhsa_user_sgpr_queue_ptr 0
		.amdhsa_user_sgpr_kernarg_segment_ptr 1
		.amdhsa_user_sgpr_dispatch_id 0
		.amdhsa_user_sgpr_flat_scratch_init 1
		.amdhsa_user_sgpr_kernarg_preload_length 0
		.amdhsa_user_sgpr_kernarg_preload_offset 0
		.amdhsa_user_sgpr_private_segment_size 0
		.amdhsa_uses_dynamic_stack 0
		.amdhsa_system_sgpr_private_segment_wavefront_offset 1
		.amdhsa_system_sgpr_workgroup_id_x 1
		.amdhsa_system_sgpr_workgroup_id_y 0
		.amdhsa_system_sgpr_workgroup_id_z 0
		.amdhsa_system_sgpr_workgroup_info 0
		.amdhsa_system_vgpr_workitem_id 0
		.amdhsa_next_free_vgpr 41
		.amdhsa_next_free_sgpr 34
		.amdhsa_accum_offset 44
		.amdhsa_reserve_vcc 1
		.amdhsa_reserve_flat_scratch 1
		.amdhsa_float_round_mode_32 0
		.amdhsa_float_round_mode_16_64 0
		.amdhsa_float_denorm_mode_32 3
		.amdhsa_float_denorm_mode_16_64 3
		.amdhsa_dx10_clamp 1
		.amdhsa_ieee_mode 1
		.amdhsa_fp16_overflow 0
		.amdhsa_tg_split 0
		.amdhsa_exception_fp_ieee_invalid_op 0
		.amdhsa_exception_fp_denorm_src 0
		.amdhsa_exception_fp_ieee_div_zero 0
		.amdhsa_exception_fp_ieee_overflow 0
		.amdhsa_exception_fp_ieee_underflow 0
		.amdhsa_exception_fp_ieee_inexact 0
		.amdhsa_exception_int_div_zero 0
	.end_amdhsa_kernel
	.section	.text._ZL9mul_mat_fI7__half2Li32ELi13ELi4ELb1EEvPKT_PKfPKiPfiiiiiiiiiiiiiiii,"axG",@progbits,_ZL9mul_mat_fI7__half2Li32ELi13ELi4ELb1EEvPKT_PKfPKiPfiiiiiiiiiiiiiiii,comdat
.Lfunc_end37:
	.size	_ZL9mul_mat_fI7__half2Li32ELi13ELi4ELb1EEvPKT_PKfPKiPfiiiiiiiiiiiiiiii, .Lfunc_end37-_ZL9mul_mat_fI7__half2Li32ELi13ELi4ELb1EEvPKT_PKfPKiPfiiiiiiiiiiiiiiii
                                        ; -- End function
	.section	.AMDGPU.csdata,"",@progbits
; Kernel info:
; codeLenInByte = 88
; NumSgprs: 40
; NumVgprs: 41
; NumAgprs: 0
; TotalNumVgprs: 41
; ScratchSize: 16
; MemoryBound: 0
; FloatMode: 240
; IeeeMode: 1
; LDSByteSize: 0 bytes/workgroup (compile time only)
; SGPRBlocks: 4
; VGPRBlocks: 5
; NumSGPRsForWavesPerEU: 40
; NumVGPRsForWavesPerEU: 41
; AccumOffset: 44
; Occupancy: 8
; WaveLimiterHint : 1
; COMPUTE_PGM_RSRC2:SCRATCH_EN: 1
; COMPUTE_PGM_RSRC2:USER_SGPR: 8
; COMPUTE_PGM_RSRC2:TRAP_HANDLER: 0
; COMPUTE_PGM_RSRC2:TGID_X_EN: 1
; COMPUTE_PGM_RSRC2:TGID_Y_EN: 0
; COMPUTE_PGM_RSRC2:TGID_Z_EN: 0
; COMPUTE_PGM_RSRC2:TIDIG_COMP_CNT: 0
; COMPUTE_PGM_RSRC3_GFX90A:ACCUM_OFFSET: 10
; COMPUTE_PGM_RSRC3_GFX90A:TG_SPLIT: 0
	.section	.text._ZL9mul_mat_fI7__half2Li32ELi13ELi4ELb0EEvPKT_PKfPKiPfiiiiiiiiiiiiiiii,"axG",@progbits,_ZL9mul_mat_fI7__half2Li32ELi13ELi4ELb0EEvPKT_PKfPKiPfiiiiiiiiiiiiiiii,comdat
	.globl	_ZL9mul_mat_fI7__half2Li32ELi13ELi4ELb0EEvPKT_PKfPKiPfiiiiiiiiiiiiiiii ; -- Begin function _ZL9mul_mat_fI7__half2Li32ELi13ELi4ELb0EEvPKT_PKfPKiPfiiiiiiiiiiiiiiii
	.p2align	8
	.type	_ZL9mul_mat_fI7__half2Li32ELi13ELi4ELb0EEvPKT_PKfPKiPfiiiiiiiiiiiiiiii,@function
_ZL9mul_mat_fI7__half2Li32ELi13ELi4ELb0EEvPKT_PKfPKiPfiiiiiiiiiiiiiiii: ; @_ZL9mul_mat_fI7__half2Li32ELi13ELi4ELb0EEvPKT_PKfPKiPfiiiiiiiiiiiiiiii
; %bb.0:
	s_add_u32 flat_scratch_lo, s6, s9
	s_addc_u32 flat_scratch_hi, s7, 0
	s_add_u32 s0, s0, s9
	s_addc_u32 s1, s1, 0
	s_add_u32 s8, s4, 0x60
	s_addc_u32 s9, s5, 0
	s_getpc_b64 s[4:5]
	s_add_u32 s4, s4, __FUNCTION__._ZL9mul_mat_fIfLi32ELi13ELi1ELb1EEvPKT_PKfPKiPfiiiiiiiiiiiiiiii@rel32@lo+4
	s_addc_u32 s5, s5, __FUNCTION__._ZL9mul_mat_fIfLi32ELi13ELi1ELb1EEvPKT_PKfPKiPfiiiiiiiiiiiiiiii@rel32@hi+12
	v_mov_b32_e32 v0, 64
	v_mov_b32_e32 v1, s4
	;; [unrolled: 1-line block ×3, first 2 shown]
	s_mov_b32 s32, 0
	s_getpc_b64 s[6:7]
	s_add_u32 s6, s6, _ZL14no_device_codePKciS0_iS0_@rel32@lo+4
	s_addc_u32 s7, s7, _ZL14no_device_codePKciS0_iS0_@rel32@hi+12
	s_swappc_b64 s[30:31], s[6:7]
	.section	.rodata,"a",@progbits
	.p2align	6, 0x0
	.amdhsa_kernel _ZL9mul_mat_fI7__half2Li32ELi13ELi4ELb0EEvPKT_PKfPKiPfiiiiiiiiiiiiiiii
		.amdhsa_group_segment_fixed_size 0
		.amdhsa_private_segment_fixed_size 16
		.amdhsa_kernarg_size 352
		.amdhsa_user_sgpr_count 8
		.amdhsa_user_sgpr_private_segment_buffer 1
		.amdhsa_user_sgpr_dispatch_ptr 0
		.amdhsa_user_sgpr_queue_ptr 0
		.amdhsa_user_sgpr_kernarg_segment_ptr 1
		.amdhsa_user_sgpr_dispatch_id 0
		.amdhsa_user_sgpr_flat_scratch_init 1
		.amdhsa_user_sgpr_kernarg_preload_length 0
		.amdhsa_user_sgpr_kernarg_preload_offset 0
		.amdhsa_user_sgpr_private_segment_size 0
		.amdhsa_uses_dynamic_stack 0
		.amdhsa_system_sgpr_private_segment_wavefront_offset 1
		.amdhsa_system_sgpr_workgroup_id_x 1
		.amdhsa_system_sgpr_workgroup_id_y 0
		.amdhsa_system_sgpr_workgroup_id_z 0
		.amdhsa_system_sgpr_workgroup_info 0
		.amdhsa_system_vgpr_workitem_id 0
		.amdhsa_next_free_vgpr 41
		.amdhsa_next_free_sgpr 34
		.amdhsa_accum_offset 44
		.amdhsa_reserve_vcc 1
		.amdhsa_reserve_flat_scratch 1
		.amdhsa_float_round_mode_32 0
		.amdhsa_float_round_mode_16_64 0
		.amdhsa_float_denorm_mode_32 3
		.amdhsa_float_denorm_mode_16_64 3
		.amdhsa_dx10_clamp 1
		.amdhsa_ieee_mode 1
		.amdhsa_fp16_overflow 0
		.amdhsa_tg_split 0
		.amdhsa_exception_fp_ieee_invalid_op 0
		.amdhsa_exception_fp_denorm_src 0
		.amdhsa_exception_fp_ieee_div_zero 0
		.amdhsa_exception_fp_ieee_overflow 0
		.amdhsa_exception_fp_ieee_underflow 0
		.amdhsa_exception_fp_ieee_inexact 0
		.amdhsa_exception_int_div_zero 0
	.end_amdhsa_kernel
	.section	.text._ZL9mul_mat_fI7__half2Li32ELi13ELi4ELb0EEvPKT_PKfPKiPfiiiiiiiiiiiiiiii,"axG",@progbits,_ZL9mul_mat_fI7__half2Li32ELi13ELi4ELb0EEvPKT_PKfPKiPfiiiiiiiiiiiiiiii,comdat
.Lfunc_end38:
	.size	_ZL9mul_mat_fI7__half2Li32ELi13ELi4ELb0EEvPKT_PKfPKiPfiiiiiiiiiiiiiiii, .Lfunc_end38-_ZL9mul_mat_fI7__half2Li32ELi13ELi4ELb0EEvPKT_PKfPKiPfiiiiiiiiiiiiiiii
                                        ; -- End function
	.section	.AMDGPU.csdata,"",@progbits
; Kernel info:
; codeLenInByte = 88
; NumSgprs: 40
; NumVgprs: 41
; NumAgprs: 0
; TotalNumVgprs: 41
; ScratchSize: 16
; MemoryBound: 0
; FloatMode: 240
; IeeeMode: 1
; LDSByteSize: 0 bytes/workgroup (compile time only)
; SGPRBlocks: 4
; VGPRBlocks: 5
; NumSGPRsForWavesPerEU: 40
; NumVGPRsForWavesPerEU: 41
; AccumOffset: 44
; Occupancy: 8
; WaveLimiterHint : 1
; COMPUTE_PGM_RSRC2:SCRATCH_EN: 1
; COMPUTE_PGM_RSRC2:USER_SGPR: 8
; COMPUTE_PGM_RSRC2:TRAP_HANDLER: 0
; COMPUTE_PGM_RSRC2:TGID_X_EN: 1
; COMPUTE_PGM_RSRC2:TGID_Y_EN: 0
; COMPUTE_PGM_RSRC2:TGID_Z_EN: 0
; COMPUTE_PGM_RSRC2:TIDIG_COMP_CNT: 0
; COMPUTE_PGM_RSRC3_GFX90A:ACCUM_OFFSET: 10
; COMPUTE_PGM_RSRC3_GFX90A:TG_SPLIT: 0
	.section	.text._ZL13mul_mat_f_idsI7__half2Li32ELi13ELi5EEvPKT_PKfPKiS7_S7_Pfiiiiiiiiiiiiii15HIP_vector_typeIjLj3EESA_,"axG",@progbits,_ZL13mul_mat_f_idsI7__half2Li32ELi13ELi5EEvPKT_PKfPKiS7_S7_Pfiiiiiiiiiiiiii15HIP_vector_typeIjLj3EESA_,comdat
	.globl	_ZL13mul_mat_f_idsI7__half2Li32ELi13ELi5EEvPKT_PKfPKiS7_S7_Pfiiiiiiiiiiiiii15HIP_vector_typeIjLj3EESA_ ; -- Begin function _ZL13mul_mat_f_idsI7__half2Li32ELi13ELi5EEvPKT_PKfPKiS7_S7_Pfiiiiiiiiiiiiii15HIP_vector_typeIjLj3EESA_
	.p2align	8
	.type	_ZL13mul_mat_f_idsI7__half2Li32ELi13ELi5EEvPKT_PKfPKiS7_S7_Pfiiiiiiiiiiiiii15HIP_vector_typeIjLj3EESA_,@function
_ZL13mul_mat_f_idsI7__half2Li32ELi13ELi5EEvPKT_PKfPKiS7_S7_Pfiiiiiiiiiiiiii15HIP_vector_typeIjLj3EESA_: ; @_ZL13mul_mat_f_idsI7__half2Li32ELi13ELi5EEvPKT_PKfPKiS7_S7_Pfiiiiiiiiiiiiii15HIP_vector_typeIjLj3EESA_
; %bb.0:
	s_add_u32 flat_scratch_lo, s6, s9
	s_addc_u32 flat_scratch_hi, s7, 0
	s_add_u32 s0, s0, s9
	s_addc_u32 s1, s1, 0
	s_add_u32 s8, s4, 0x80
	s_addc_u32 s9, s5, 0
	s_getpc_b64 s[4:5]
	s_add_u32 s4, s4, __FUNCTION__._ZL13mul_mat_f_idsIfLi32ELi13ELi1EEvPKT_PKfPKiS6_S6_Pfiiiiiiiiiiiiii15HIP_vector_typeIjLj3EES9_@rel32@lo+4
	s_addc_u32 s5, s5, __FUNCTION__._ZL13mul_mat_f_idsIfLi32ELi13ELi1EEvPKT_PKfPKiS6_S6_Pfiiiiiiiiiiiiii15HIP_vector_typeIjLj3EES9_@rel32@hi+12
	v_mov_b32_e32 v0, 0x13b
	v_mov_b32_e32 v1, s4
	v_mov_b32_e32 v2, s5
	s_mov_b32 s32, 0
	s_getpc_b64 s[6:7]
	s_add_u32 s6, s6, _ZL14no_device_codePKciS0_iS0_@rel32@lo+4
	s_addc_u32 s7, s7, _ZL14no_device_codePKciS0_iS0_@rel32@hi+12
	s_swappc_b64 s[30:31], s[6:7]
	.section	.rodata,"a",@progbits
	.p2align	6, 0x0
	.amdhsa_kernel _ZL13mul_mat_f_idsI7__half2Li32ELi13ELi5EEvPKT_PKfPKiS7_S7_Pfiiiiiiiiiiiiii15HIP_vector_typeIjLj3EESA_
		.amdhsa_group_segment_fixed_size 0
		.amdhsa_private_segment_fixed_size 16
		.amdhsa_kernarg_size 384
		.amdhsa_user_sgpr_count 8
		.amdhsa_user_sgpr_private_segment_buffer 1
		.amdhsa_user_sgpr_dispatch_ptr 0
		.amdhsa_user_sgpr_queue_ptr 0
		.amdhsa_user_sgpr_kernarg_segment_ptr 1
		.amdhsa_user_sgpr_dispatch_id 0
		.amdhsa_user_sgpr_flat_scratch_init 1
		.amdhsa_user_sgpr_kernarg_preload_length 0
		.amdhsa_user_sgpr_kernarg_preload_offset 0
		.amdhsa_user_sgpr_private_segment_size 0
		.amdhsa_uses_dynamic_stack 0
		.amdhsa_system_sgpr_private_segment_wavefront_offset 1
		.amdhsa_system_sgpr_workgroup_id_x 1
		.amdhsa_system_sgpr_workgroup_id_y 0
		.amdhsa_system_sgpr_workgroup_id_z 0
		.amdhsa_system_sgpr_workgroup_info 0
		.amdhsa_system_vgpr_workitem_id 0
		.amdhsa_next_free_vgpr 41
		.amdhsa_next_free_sgpr 34
		.amdhsa_accum_offset 44
		.amdhsa_reserve_vcc 1
		.amdhsa_reserve_flat_scratch 1
		.amdhsa_float_round_mode_32 0
		.amdhsa_float_round_mode_16_64 0
		.amdhsa_float_denorm_mode_32 3
		.amdhsa_float_denorm_mode_16_64 3
		.amdhsa_dx10_clamp 1
		.amdhsa_ieee_mode 1
		.amdhsa_fp16_overflow 0
		.amdhsa_tg_split 0
		.amdhsa_exception_fp_ieee_invalid_op 0
		.amdhsa_exception_fp_denorm_src 0
		.amdhsa_exception_fp_ieee_div_zero 0
		.amdhsa_exception_fp_ieee_overflow 0
		.amdhsa_exception_fp_ieee_underflow 0
		.amdhsa_exception_fp_ieee_inexact 0
		.amdhsa_exception_int_div_zero 0
	.end_amdhsa_kernel
	.section	.text._ZL13mul_mat_f_idsI7__half2Li32ELi13ELi5EEvPKT_PKfPKiS7_S7_Pfiiiiiiiiiiiiii15HIP_vector_typeIjLj3EESA_,"axG",@progbits,_ZL13mul_mat_f_idsI7__half2Li32ELi13ELi5EEvPKT_PKfPKiS7_S7_Pfiiiiiiiiiiiiii15HIP_vector_typeIjLj3EESA_,comdat
.Lfunc_end39:
	.size	_ZL13mul_mat_f_idsI7__half2Li32ELi13ELi5EEvPKT_PKfPKiS7_S7_Pfiiiiiiiiiiiiii15HIP_vector_typeIjLj3EESA_, .Lfunc_end39-_ZL13mul_mat_f_idsI7__half2Li32ELi13ELi5EEvPKT_PKfPKiS7_S7_Pfiiiiiiiiiiiiii15HIP_vector_typeIjLj3EESA_
                                        ; -- End function
	.section	.AMDGPU.csdata,"",@progbits
; Kernel info:
; codeLenInByte = 92
; NumSgprs: 40
; NumVgprs: 41
; NumAgprs: 0
; TotalNumVgprs: 41
; ScratchSize: 16
; MemoryBound: 0
; FloatMode: 240
; IeeeMode: 1
; LDSByteSize: 0 bytes/workgroup (compile time only)
; SGPRBlocks: 4
; VGPRBlocks: 5
; NumSGPRsForWavesPerEU: 40
; NumVGPRsForWavesPerEU: 41
; AccumOffset: 44
; Occupancy: 8
; WaveLimiterHint : 1
; COMPUTE_PGM_RSRC2:SCRATCH_EN: 1
; COMPUTE_PGM_RSRC2:USER_SGPR: 8
; COMPUTE_PGM_RSRC2:TRAP_HANDLER: 0
; COMPUTE_PGM_RSRC2:TGID_X_EN: 1
; COMPUTE_PGM_RSRC2:TGID_Y_EN: 0
; COMPUTE_PGM_RSRC2:TGID_Z_EN: 0
; COMPUTE_PGM_RSRC2:TIDIG_COMP_CNT: 0
; COMPUTE_PGM_RSRC3_GFX90A:ACCUM_OFFSET: 10
; COMPUTE_PGM_RSRC3_GFX90A:TG_SPLIT: 0
	.section	.text._ZL9mul_mat_fI7__half2Li32ELi13ELi5ELb1EEvPKT_PKfPKiPfiiiiiiiiiiiiiiii,"axG",@progbits,_ZL9mul_mat_fI7__half2Li32ELi13ELi5ELb1EEvPKT_PKfPKiPfiiiiiiiiiiiiiiii,comdat
	.globl	_ZL9mul_mat_fI7__half2Li32ELi13ELi5ELb1EEvPKT_PKfPKiPfiiiiiiiiiiiiiiii ; -- Begin function _ZL9mul_mat_fI7__half2Li32ELi13ELi5ELb1EEvPKT_PKfPKiPfiiiiiiiiiiiiiiii
	.p2align	8
	.type	_ZL9mul_mat_fI7__half2Li32ELi13ELi5ELb1EEvPKT_PKfPKiPfiiiiiiiiiiiiiiii,@function
_ZL9mul_mat_fI7__half2Li32ELi13ELi5ELb1EEvPKT_PKfPKiPfiiiiiiiiiiiiiiii: ; @_ZL9mul_mat_fI7__half2Li32ELi13ELi5ELb1EEvPKT_PKfPKiPfiiiiiiiiiiiiiiii
; %bb.0:
	s_add_u32 flat_scratch_lo, s6, s9
	s_addc_u32 flat_scratch_hi, s7, 0
	s_add_u32 s0, s0, s9
	s_addc_u32 s1, s1, 0
	s_add_u32 s8, s4, 0x60
	s_addc_u32 s9, s5, 0
	s_getpc_b64 s[4:5]
	s_add_u32 s4, s4, __FUNCTION__._ZL9mul_mat_fIfLi32ELi13ELi1ELb1EEvPKT_PKfPKiPfiiiiiiiiiiiiiiii@rel32@lo+4
	s_addc_u32 s5, s5, __FUNCTION__._ZL9mul_mat_fIfLi32ELi13ELi1ELb1EEvPKT_PKfPKiPfiiiiiiiiiiiiiiii@rel32@hi+12
	v_mov_b32_e32 v0, 64
	v_mov_b32_e32 v1, s4
	;; [unrolled: 1-line block ×3, first 2 shown]
	s_mov_b32 s32, 0
	s_getpc_b64 s[6:7]
	s_add_u32 s6, s6, _ZL14no_device_codePKciS0_iS0_@rel32@lo+4
	s_addc_u32 s7, s7, _ZL14no_device_codePKciS0_iS0_@rel32@hi+12
	s_swappc_b64 s[30:31], s[6:7]
	.section	.rodata,"a",@progbits
	.p2align	6, 0x0
	.amdhsa_kernel _ZL9mul_mat_fI7__half2Li32ELi13ELi5ELb1EEvPKT_PKfPKiPfiiiiiiiiiiiiiiii
		.amdhsa_group_segment_fixed_size 0
		.amdhsa_private_segment_fixed_size 16
		.amdhsa_kernarg_size 352
		.amdhsa_user_sgpr_count 8
		.amdhsa_user_sgpr_private_segment_buffer 1
		.amdhsa_user_sgpr_dispatch_ptr 0
		.amdhsa_user_sgpr_queue_ptr 0
		.amdhsa_user_sgpr_kernarg_segment_ptr 1
		.amdhsa_user_sgpr_dispatch_id 0
		.amdhsa_user_sgpr_flat_scratch_init 1
		.amdhsa_user_sgpr_kernarg_preload_length 0
		.amdhsa_user_sgpr_kernarg_preload_offset 0
		.amdhsa_user_sgpr_private_segment_size 0
		.amdhsa_uses_dynamic_stack 0
		.amdhsa_system_sgpr_private_segment_wavefront_offset 1
		.amdhsa_system_sgpr_workgroup_id_x 1
		.amdhsa_system_sgpr_workgroup_id_y 0
		.amdhsa_system_sgpr_workgroup_id_z 0
		.amdhsa_system_sgpr_workgroup_info 0
		.amdhsa_system_vgpr_workitem_id 0
		.amdhsa_next_free_vgpr 41
		.amdhsa_next_free_sgpr 34
		.amdhsa_accum_offset 44
		.amdhsa_reserve_vcc 1
		.amdhsa_reserve_flat_scratch 1
		.amdhsa_float_round_mode_32 0
		.amdhsa_float_round_mode_16_64 0
		.amdhsa_float_denorm_mode_32 3
		.amdhsa_float_denorm_mode_16_64 3
		.amdhsa_dx10_clamp 1
		.amdhsa_ieee_mode 1
		.amdhsa_fp16_overflow 0
		.amdhsa_tg_split 0
		.amdhsa_exception_fp_ieee_invalid_op 0
		.amdhsa_exception_fp_denorm_src 0
		.amdhsa_exception_fp_ieee_div_zero 0
		.amdhsa_exception_fp_ieee_overflow 0
		.amdhsa_exception_fp_ieee_underflow 0
		.amdhsa_exception_fp_ieee_inexact 0
		.amdhsa_exception_int_div_zero 0
	.end_amdhsa_kernel
	.section	.text._ZL9mul_mat_fI7__half2Li32ELi13ELi5ELb1EEvPKT_PKfPKiPfiiiiiiiiiiiiiiii,"axG",@progbits,_ZL9mul_mat_fI7__half2Li32ELi13ELi5ELb1EEvPKT_PKfPKiPfiiiiiiiiiiiiiiii,comdat
.Lfunc_end40:
	.size	_ZL9mul_mat_fI7__half2Li32ELi13ELi5ELb1EEvPKT_PKfPKiPfiiiiiiiiiiiiiiii, .Lfunc_end40-_ZL9mul_mat_fI7__half2Li32ELi13ELi5ELb1EEvPKT_PKfPKiPfiiiiiiiiiiiiiiii
                                        ; -- End function
	.section	.AMDGPU.csdata,"",@progbits
; Kernel info:
; codeLenInByte = 88
; NumSgprs: 40
; NumVgprs: 41
; NumAgprs: 0
; TotalNumVgprs: 41
; ScratchSize: 16
; MemoryBound: 0
; FloatMode: 240
; IeeeMode: 1
; LDSByteSize: 0 bytes/workgroup (compile time only)
; SGPRBlocks: 4
; VGPRBlocks: 5
; NumSGPRsForWavesPerEU: 40
; NumVGPRsForWavesPerEU: 41
; AccumOffset: 44
; Occupancy: 8
; WaveLimiterHint : 1
; COMPUTE_PGM_RSRC2:SCRATCH_EN: 1
; COMPUTE_PGM_RSRC2:USER_SGPR: 8
; COMPUTE_PGM_RSRC2:TRAP_HANDLER: 0
; COMPUTE_PGM_RSRC2:TGID_X_EN: 1
; COMPUTE_PGM_RSRC2:TGID_Y_EN: 0
; COMPUTE_PGM_RSRC2:TGID_Z_EN: 0
; COMPUTE_PGM_RSRC2:TIDIG_COMP_CNT: 0
; COMPUTE_PGM_RSRC3_GFX90A:ACCUM_OFFSET: 10
; COMPUTE_PGM_RSRC3_GFX90A:TG_SPLIT: 0
	.section	.text._ZL9mul_mat_fI7__half2Li32ELi13ELi5ELb0EEvPKT_PKfPKiPfiiiiiiiiiiiiiiii,"axG",@progbits,_ZL9mul_mat_fI7__half2Li32ELi13ELi5ELb0EEvPKT_PKfPKiPfiiiiiiiiiiiiiiii,comdat
	.globl	_ZL9mul_mat_fI7__half2Li32ELi13ELi5ELb0EEvPKT_PKfPKiPfiiiiiiiiiiiiiiii ; -- Begin function _ZL9mul_mat_fI7__half2Li32ELi13ELi5ELb0EEvPKT_PKfPKiPfiiiiiiiiiiiiiiii
	.p2align	8
	.type	_ZL9mul_mat_fI7__half2Li32ELi13ELi5ELb0EEvPKT_PKfPKiPfiiiiiiiiiiiiiiii,@function
_ZL9mul_mat_fI7__half2Li32ELi13ELi5ELb0EEvPKT_PKfPKiPfiiiiiiiiiiiiiiii: ; @_ZL9mul_mat_fI7__half2Li32ELi13ELi5ELb0EEvPKT_PKfPKiPfiiiiiiiiiiiiiiii
; %bb.0:
	s_add_u32 flat_scratch_lo, s6, s9
	s_addc_u32 flat_scratch_hi, s7, 0
	s_add_u32 s0, s0, s9
	s_addc_u32 s1, s1, 0
	s_add_u32 s8, s4, 0x60
	s_addc_u32 s9, s5, 0
	s_getpc_b64 s[4:5]
	s_add_u32 s4, s4, __FUNCTION__._ZL9mul_mat_fIfLi32ELi13ELi1ELb1EEvPKT_PKfPKiPfiiiiiiiiiiiiiiii@rel32@lo+4
	s_addc_u32 s5, s5, __FUNCTION__._ZL9mul_mat_fIfLi32ELi13ELi1ELb1EEvPKT_PKfPKiPfiiiiiiiiiiiiiiii@rel32@hi+12
	v_mov_b32_e32 v0, 64
	v_mov_b32_e32 v1, s4
	;; [unrolled: 1-line block ×3, first 2 shown]
	s_mov_b32 s32, 0
	s_getpc_b64 s[6:7]
	s_add_u32 s6, s6, _ZL14no_device_codePKciS0_iS0_@rel32@lo+4
	s_addc_u32 s7, s7, _ZL14no_device_codePKciS0_iS0_@rel32@hi+12
	s_swappc_b64 s[30:31], s[6:7]
	.section	.rodata,"a",@progbits
	.p2align	6, 0x0
	.amdhsa_kernel _ZL9mul_mat_fI7__half2Li32ELi13ELi5ELb0EEvPKT_PKfPKiPfiiiiiiiiiiiiiiii
		.amdhsa_group_segment_fixed_size 0
		.amdhsa_private_segment_fixed_size 16
		.amdhsa_kernarg_size 352
		.amdhsa_user_sgpr_count 8
		.amdhsa_user_sgpr_private_segment_buffer 1
		.amdhsa_user_sgpr_dispatch_ptr 0
		.amdhsa_user_sgpr_queue_ptr 0
		.amdhsa_user_sgpr_kernarg_segment_ptr 1
		.amdhsa_user_sgpr_dispatch_id 0
		.amdhsa_user_sgpr_flat_scratch_init 1
		.amdhsa_user_sgpr_kernarg_preload_length 0
		.amdhsa_user_sgpr_kernarg_preload_offset 0
		.amdhsa_user_sgpr_private_segment_size 0
		.amdhsa_uses_dynamic_stack 0
		.amdhsa_system_sgpr_private_segment_wavefront_offset 1
		.amdhsa_system_sgpr_workgroup_id_x 1
		.amdhsa_system_sgpr_workgroup_id_y 0
		.amdhsa_system_sgpr_workgroup_id_z 0
		.amdhsa_system_sgpr_workgroup_info 0
		.amdhsa_system_vgpr_workitem_id 0
		.amdhsa_next_free_vgpr 41
		.amdhsa_next_free_sgpr 34
		.amdhsa_accum_offset 44
		.amdhsa_reserve_vcc 1
		.amdhsa_reserve_flat_scratch 1
		.amdhsa_float_round_mode_32 0
		.amdhsa_float_round_mode_16_64 0
		.amdhsa_float_denorm_mode_32 3
		.amdhsa_float_denorm_mode_16_64 3
		.amdhsa_dx10_clamp 1
		.amdhsa_ieee_mode 1
		.amdhsa_fp16_overflow 0
		.amdhsa_tg_split 0
		.amdhsa_exception_fp_ieee_invalid_op 0
		.amdhsa_exception_fp_denorm_src 0
		.amdhsa_exception_fp_ieee_div_zero 0
		.amdhsa_exception_fp_ieee_overflow 0
		.amdhsa_exception_fp_ieee_underflow 0
		.amdhsa_exception_fp_ieee_inexact 0
		.amdhsa_exception_int_div_zero 0
	.end_amdhsa_kernel
	.section	.text._ZL9mul_mat_fI7__half2Li32ELi13ELi5ELb0EEvPKT_PKfPKiPfiiiiiiiiiiiiiiii,"axG",@progbits,_ZL9mul_mat_fI7__half2Li32ELi13ELi5ELb0EEvPKT_PKfPKiPfiiiiiiiiiiiiiiii,comdat
.Lfunc_end41:
	.size	_ZL9mul_mat_fI7__half2Li32ELi13ELi5ELb0EEvPKT_PKfPKiPfiiiiiiiiiiiiiiii, .Lfunc_end41-_ZL9mul_mat_fI7__half2Li32ELi13ELi5ELb0EEvPKT_PKfPKiPfiiiiiiiiiiiiiiii
                                        ; -- End function
	.section	.AMDGPU.csdata,"",@progbits
; Kernel info:
; codeLenInByte = 88
; NumSgprs: 40
; NumVgprs: 41
; NumAgprs: 0
; TotalNumVgprs: 41
; ScratchSize: 16
; MemoryBound: 0
; FloatMode: 240
; IeeeMode: 1
; LDSByteSize: 0 bytes/workgroup (compile time only)
; SGPRBlocks: 4
; VGPRBlocks: 5
; NumSGPRsForWavesPerEU: 40
; NumVGPRsForWavesPerEU: 41
; AccumOffset: 44
; Occupancy: 8
; WaveLimiterHint : 1
; COMPUTE_PGM_RSRC2:SCRATCH_EN: 1
; COMPUTE_PGM_RSRC2:USER_SGPR: 8
; COMPUTE_PGM_RSRC2:TRAP_HANDLER: 0
; COMPUTE_PGM_RSRC2:TGID_X_EN: 1
; COMPUTE_PGM_RSRC2:TGID_Y_EN: 0
; COMPUTE_PGM_RSRC2:TGID_Z_EN: 0
; COMPUTE_PGM_RSRC2:TIDIG_COMP_CNT: 0
; COMPUTE_PGM_RSRC3_GFX90A:ACCUM_OFFSET: 10
; COMPUTE_PGM_RSRC3_GFX90A:TG_SPLIT: 0
	.section	.text._ZL13mul_mat_f_idsI7__half2Li32ELi13ELi6EEvPKT_PKfPKiS7_S7_Pfiiiiiiiiiiiiii15HIP_vector_typeIjLj3EESA_,"axG",@progbits,_ZL13mul_mat_f_idsI7__half2Li32ELi13ELi6EEvPKT_PKfPKiS7_S7_Pfiiiiiiiiiiiiii15HIP_vector_typeIjLj3EESA_,comdat
	.globl	_ZL13mul_mat_f_idsI7__half2Li32ELi13ELi6EEvPKT_PKfPKiS7_S7_Pfiiiiiiiiiiiiii15HIP_vector_typeIjLj3EESA_ ; -- Begin function _ZL13mul_mat_f_idsI7__half2Li32ELi13ELi6EEvPKT_PKfPKiS7_S7_Pfiiiiiiiiiiiiii15HIP_vector_typeIjLj3EESA_
	.p2align	8
	.type	_ZL13mul_mat_f_idsI7__half2Li32ELi13ELi6EEvPKT_PKfPKiS7_S7_Pfiiiiiiiiiiiiii15HIP_vector_typeIjLj3EESA_,@function
_ZL13mul_mat_f_idsI7__half2Li32ELi13ELi6EEvPKT_PKfPKiS7_S7_Pfiiiiiiiiiiiiii15HIP_vector_typeIjLj3EESA_: ; @_ZL13mul_mat_f_idsI7__half2Li32ELi13ELi6EEvPKT_PKfPKiS7_S7_Pfiiiiiiiiiiiiii15HIP_vector_typeIjLj3EESA_
; %bb.0:
	s_add_u32 flat_scratch_lo, s6, s9
	s_addc_u32 flat_scratch_hi, s7, 0
	s_add_u32 s0, s0, s9
	s_addc_u32 s1, s1, 0
	s_add_u32 s8, s4, 0x80
	s_addc_u32 s9, s5, 0
	s_getpc_b64 s[4:5]
	s_add_u32 s4, s4, __FUNCTION__._ZL13mul_mat_f_idsIfLi32ELi13ELi1EEvPKT_PKfPKiS6_S6_Pfiiiiiiiiiiiiii15HIP_vector_typeIjLj3EES9_@rel32@lo+4
	s_addc_u32 s5, s5, __FUNCTION__._ZL13mul_mat_f_idsIfLi32ELi13ELi1EEvPKT_PKfPKiS6_S6_Pfiiiiiiiiiiiiii15HIP_vector_typeIjLj3EES9_@rel32@hi+12
	v_mov_b32_e32 v0, 0x13b
	v_mov_b32_e32 v1, s4
	;; [unrolled: 1-line block ×3, first 2 shown]
	s_mov_b32 s32, 0
	s_getpc_b64 s[6:7]
	s_add_u32 s6, s6, _ZL14no_device_codePKciS0_iS0_@rel32@lo+4
	s_addc_u32 s7, s7, _ZL14no_device_codePKciS0_iS0_@rel32@hi+12
	s_swappc_b64 s[30:31], s[6:7]
	.section	.rodata,"a",@progbits
	.p2align	6, 0x0
	.amdhsa_kernel _ZL13mul_mat_f_idsI7__half2Li32ELi13ELi6EEvPKT_PKfPKiS7_S7_Pfiiiiiiiiiiiiii15HIP_vector_typeIjLj3EESA_
		.amdhsa_group_segment_fixed_size 0
		.amdhsa_private_segment_fixed_size 16
		.amdhsa_kernarg_size 384
		.amdhsa_user_sgpr_count 8
		.amdhsa_user_sgpr_private_segment_buffer 1
		.amdhsa_user_sgpr_dispatch_ptr 0
		.amdhsa_user_sgpr_queue_ptr 0
		.amdhsa_user_sgpr_kernarg_segment_ptr 1
		.amdhsa_user_sgpr_dispatch_id 0
		.amdhsa_user_sgpr_flat_scratch_init 1
		.amdhsa_user_sgpr_kernarg_preload_length 0
		.amdhsa_user_sgpr_kernarg_preload_offset 0
		.amdhsa_user_sgpr_private_segment_size 0
		.amdhsa_uses_dynamic_stack 0
		.amdhsa_system_sgpr_private_segment_wavefront_offset 1
		.amdhsa_system_sgpr_workgroup_id_x 1
		.amdhsa_system_sgpr_workgroup_id_y 0
		.amdhsa_system_sgpr_workgroup_id_z 0
		.amdhsa_system_sgpr_workgroup_info 0
		.amdhsa_system_vgpr_workitem_id 0
		.amdhsa_next_free_vgpr 41
		.amdhsa_next_free_sgpr 34
		.amdhsa_accum_offset 44
		.amdhsa_reserve_vcc 1
		.amdhsa_reserve_flat_scratch 1
		.amdhsa_float_round_mode_32 0
		.amdhsa_float_round_mode_16_64 0
		.amdhsa_float_denorm_mode_32 3
		.amdhsa_float_denorm_mode_16_64 3
		.amdhsa_dx10_clamp 1
		.amdhsa_ieee_mode 1
		.amdhsa_fp16_overflow 0
		.amdhsa_tg_split 0
		.amdhsa_exception_fp_ieee_invalid_op 0
		.amdhsa_exception_fp_denorm_src 0
		.amdhsa_exception_fp_ieee_div_zero 0
		.amdhsa_exception_fp_ieee_overflow 0
		.amdhsa_exception_fp_ieee_underflow 0
		.amdhsa_exception_fp_ieee_inexact 0
		.amdhsa_exception_int_div_zero 0
	.end_amdhsa_kernel
	.section	.text._ZL13mul_mat_f_idsI7__half2Li32ELi13ELi6EEvPKT_PKfPKiS7_S7_Pfiiiiiiiiiiiiii15HIP_vector_typeIjLj3EESA_,"axG",@progbits,_ZL13mul_mat_f_idsI7__half2Li32ELi13ELi6EEvPKT_PKfPKiS7_S7_Pfiiiiiiiiiiiiii15HIP_vector_typeIjLj3EESA_,comdat
.Lfunc_end42:
	.size	_ZL13mul_mat_f_idsI7__half2Li32ELi13ELi6EEvPKT_PKfPKiS7_S7_Pfiiiiiiiiiiiiii15HIP_vector_typeIjLj3EESA_, .Lfunc_end42-_ZL13mul_mat_f_idsI7__half2Li32ELi13ELi6EEvPKT_PKfPKiS7_S7_Pfiiiiiiiiiiiiii15HIP_vector_typeIjLj3EESA_
                                        ; -- End function
	.section	.AMDGPU.csdata,"",@progbits
; Kernel info:
; codeLenInByte = 92
; NumSgprs: 40
; NumVgprs: 41
; NumAgprs: 0
; TotalNumVgprs: 41
; ScratchSize: 16
; MemoryBound: 0
; FloatMode: 240
; IeeeMode: 1
; LDSByteSize: 0 bytes/workgroup (compile time only)
; SGPRBlocks: 4
; VGPRBlocks: 5
; NumSGPRsForWavesPerEU: 40
; NumVGPRsForWavesPerEU: 41
; AccumOffset: 44
; Occupancy: 8
; WaveLimiterHint : 1
; COMPUTE_PGM_RSRC2:SCRATCH_EN: 1
; COMPUTE_PGM_RSRC2:USER_SGPR: 8
; COMPUTE_PGM_RSRC2:TRAP_HANDLER: 0
; COMPUTE_PGM_RSRC2:TGID_X_EN: 1
; COMPUTE_PGM_RSRC2:TGID_Y_EN: 0
; COMPUTE_PGM_RSRC2:TGID_Z_EN: 0
; COMPUTE_PGM_RSRC2:TIDIG_COMP_CNT: 0
; COMPUTE_PGM_RSRC3_GFX90A:ACCUM_OFFSET: 10
; COMPUTE_PGM_RSRC3_GFX90A:TG_SPLIT: 0
	.section	.text._ZL9mul_mat_fI7__half2Li32ELi13ELi6ELb1EEvPKT_PKfPKiPfiiiiiiiiiiiiiiii,"axG",@progbits,_ZL9mul_mat_fI7__half2Li32ELi13ELi6ELb1EEvPKT_PKfPKiPfiiiiiiiiiiiiiiii,comdat
	.globl	_ZL9mul_mat_fI7__half2Li32ELi13ELi6ELb1EEvPKT_PKfPKiPfiiiiiiiiiiiiiiii ; -- Begin function _ZL9mul_mat_fI7__half2Li32ELi13ELi6ELb1EEvPKT_PKfPKiPfiiiiiiiiiiiiiiii
	.p2align	8
	.type	_ZL9mul_mat_fI7__half2Li32ELi13ELi6ELb1EEvPKT_PKfPKiPfiiiiiiiiiiiiiiii,@function
_ZL9mul_mat_fI7__half2Li32ELi13ELi6ELb1EEvPKT_PKfPKiPfiiiiiiiiiiiiiiii: ; @_ZL9mul_mat_fI7__half2Li32ELi13ELi6ELb1EEvPKT_PKfPKiPfiiiiiiiiiiiiiiii
; %bb.0:
	s_add_u32 flat_scratch_lo, s6, s9
	s_addc_u32 flat_scratch_hi, s7, 0
	s_add_u32 s0, s0, s9
	s_addc_u32 s1, s1, 0
	s_add_u32 s8, s4, 0x60
	s_addc_u32 s9, s5, 0
	s_getpc_b64 s[4:5]
	s_add_u32 s4, s4, __FUNCTION__._ZL9mul_mat_fIfLi32ELi13ELi1ELb1EEvPKT_PKfPKiPfiiiiiiiiiiiiiiii@rel32@lo+4
	s_addc_u32 s5, s5, __FUNCTION__._ZL9mul_mat_fIfLi32ELi13ELi1ELb1EEvPKT_PKfPKiPfiiiiiiiiiiiiiiii@rel32@hi+12
	v_mov_b32_e32 v0, 64
	v_mov_b32_e32 v1, s4
	;; [unrolled: 1-line block ×3, first 2 shown]
	s_mov_b32 s32, 0
	s_getpc_b64 s[6:7]
	s_add_u32 s6, s6, _ZL14no_device_codePKciS0_iS0_@rel32@lo+4
	s_addc_u32 s7, s7, _ZL14no_device_codePKciS0_iS0_@rel32@hi+12
	s_swappc_b64 s[30:31], s[6:7]
	.section	.rodata,"a",@progbits
	.p2align	6, 0x0
	.amdhsa_kernel _ZL9mul_mat_fI7__half2Li32ELi13ELi6ELb1EEvPKT_PKfPKiPfiiiiiiiiiiiiiiii
		.amdhsa_group_segment_fixed_size 0
		.amdhsa_private_segment_fixed_size 16
		.amdhsa_kernarg_size 352
		.amdhsa_user_sgpr_count 8
		.amdhsa_user_sgpr_private_segment_buffer 1
		.amdhsa_user_sgpr_dispatch_ptr 0
		.amdhsa_user_sgpr_queue_ptr 0
		.amdhsa_user_sgpr_kernarg_segment_ptr 1
		.amdhsa_user_sgpr_dispatch_id 0
		.amdhsa_user_sgpr_flat_scratch_init 1
		.amdhsa_user_sgpr_kernarg_preload_length 0
		.amdhsa_user_sgpr_kernarg_preload_offset 0
		.amdhsa_user_sgpr_private_segment_size 0
		.amdhsa_uses_dynamic_stack 0
		.amdhsa_system_sgpr_private_segment_wavefront_offset 1
		.amdhsa_system_sgpr_workgroup_id_x 1
		.amdhsa_system_sgpr_workgroup_id_y 0
		.amdhsa_system_sgpr_workgroup_id_z 0
		.amdhsa_system_sgpr_workgroup_info 0
		.amdhsa_system_vgpr_workitem_id 0
		.amdhsa_next_free_vgpr 41
		.amdhsa_next_free_sgpr 34
		.amdhsa_accum_offset 44
		.amdhsa_reserve_vcc 1
		.amdhsa_reserve_flat_scratch 1
		.amdhsa_float_round_mode_32 0
		.amdhsa_float_round_mode_16_64 0
		.amdhsa_float_denorm_mode_32 3
		.amdhsa_float_denorm_mode_16_64 3
		.amdhsa_dx10_clamp 1
		.amdhsa_ieee_mode 1
		.amdhsa_fp16_overflow 0
		.amdhsa_tg_split 0
		.amdhsa_exception_fp_ieee_invalid_op 0
		.amdhsa_exception_fp_denorm_src 0
		.amdhsa_exception_fp_ieee_div_zero 0
		.amdhsa_exception_fp_ieee_overflow 0
		.amdhsa_exception_fp_ieee_underflow 0
		.amdhsa_exception_fp_ieee_inexact 0
		.amdhsa_exception_int_div_zero 0
	.end_amdhsa_kernel
	.section	.text._ZL9mul_mat_fI7__half2Li32ELi13ELi6ELb1EEvPKT_PKfPKiPfiiiiiiiiiiiiiiii,"axG",@progbits,_ZL9mul_mat_fI7__half2Li32ELi13ELi6ELb1EEvPKT_PKfPKiPfiiiiiiiiiiiiiiii,comdat
.Lfunc_end43:
	.size	_ZL9mul_mat_fI7__half2Li32ELi13ELi6ELb1EEvPKT_PKfPKiPfiiiiiiiiiiiiiiii, .Lfunc_end43-_ZL9mul_mat_fI7__half2Li32ELi13ELi6ELb1EEvPKT_PKfPKiPfiiiiiiiiiiiiiiii
                                        ; -- End function
	.section	.AMDGPU.csdata,"",@progbits
; Kernel info:
; codeLenInByte = 88
; NumSgprs: 40
; NumVgprs: 41
; NumAgprs: 0
; TotalNumVgprs: 41
; ScratchSize: 16
; MemoryBound: 0
; FloatMode: 240
; IeeeMode: 1
; LDSByteSize: 0 bytes/workgroup (compile time only)
; SGPRBlocks: 4
; VGPRBlocks: 5
; NumSGPRsForWavesPerEU: 40
; NumVGPRsForWavesPerEU: 41
; AccumOffset: 44
; Occupancy: 8
; WaveLimiterHint : 1
; COMPUTE_PGM_RSRC2:SCRATCH_EN: 1
; COMPUTE_PGM_RSRC2:USER_SGPR: 8
; COMPUTE_PGM_RSRC2:TRAP_HANDLER: 0
; COMPUTE_PGM_RSRC2:TGID_X_EN: 1
; COMPUTE_PGM_RSRC2:TGID_Y_EN: 0
; COMPUTE_PGM_RSRC2:TGID_Z_EN: 0
; COMPUTE_PGM_RSRC2:TIDIG_COMP_CNT: 0
; COMPUTE_PGM_RSRC3_GFX90A:ACCUM_OFFSET: 10
; COMPUTE_PGM_RSRC3_GFX90A:TG_SPLIT: 0
	.section	.text._ZL9mul_mat_fI7__half2Li32ELi13ELi6ELb0EEvPKT_PKfPKiPfiiiiiiiiiiiiiiii,"axG",@progbits,_ZL9mul_mat_fI7__half2Li32ELi13ELi6ELb0EEvPKT_PKfPKiPfiiiiiiiiiiiiiiii,comdat
	.globl	_ZL9mul_mat_fI7__half2Li32ELi13ELi6ELb0EEvPKT_PKfPKiPfiiiiiiiiiiiiiiii ; -- Begin function _ZL9mul_mat_fI7__half2Li32ELi13ELi6ELb0EEvPKT_PKfPKiPfiiiiiiiiiiiiiiii
	.p2align	8
	.type	_ZL9mul_mat_fI7__half2Li32ELi13ELi6ELb0EEvPKT_PKfPKiPfiiiiiiiiiiiiiiii,@function
_ZL9mul_mat_fI7__half2Li32ELi13ELi6ELb0EEvPKT_PKfPKiPfiiiiiiiiiiiiiiii: ; @_ZL9mul_mat_fI7__half2Li32ELi13ELi6ELb0EEvPKT_PKfPKiPfiiiiiiiiiiiiiiii
; %bb.0:
	s_add_u32 flat_scratch_lo, s6, s9
	s_addc_u32 flat_scratch_hi, s7, 0
	s_add_u32 s0, s0, s9
	s_addc_u32 s1, s1, 0
	s_add_u32 s8, s4, 0x60
	s_addc_u32 s9, s5, 0
	s_getpc_b64 s[4:5]
	s_add_u32 s4, s4, __FUNCTION__._ZL9mul_mat_fIfLi32ELi13ELi1ELb1EEvPKT_PKfPKiPfiiiiiiiiiiiiiiii@rel32@lo+4
	s_addc_u32 s5, s5, __FUNCTION__._ZL9mul_mat_fIfLi32ELi13ELi1ELb1EEvPKT_PKfPKiPfiiiiiiiiiiiiiiii@rel32@hi+12
	v_mov_b32_e32 v0, 64
	v_mov_b32_e32 v1, s4
	;; [unrolled: 1-line block ×3, first 2 shown]
	s_mov_b32 s32, 0
	s_getpc_b64 s[6:7]
	s_add_u32 s6, s6, _ZL14no_device_codePKciS0_iS0_@rel32@lo+4
	s_addc_u32 s7, s7, _ZL14no_device_codePKciS0_iS0_@rel32@hi+12
	s_swappc_b64 s[30:31], s[6:7]
	.section	.rodata,"a",@progbits
	.p2align	6, 0x0
	.amdhsa_kernel _ZL9mul_mat_fI7__half2Li32ELi13ELi6ELb0EEvPKT_PKfPKiPfiiiiiiiiiiiiiiii
		.amdhsa_group_segment_fixed_size 0
		.amdhsa_private_segment_fixed_size 16
		.amdhsa_kernarg_size 352
		.amdhsa_user_sgpr_count 8
		.amdhsa_user_sgpr_private_segment_buffer 1
		.amdhsa_user_sgpr_dispatch_ptr 0
		.amdhsa_user_sgpr_queue_ptr 0
		.amdhsa_user_sgpr_kernarg_segment_ptr 1
		.amdhsa_user_sgpr_dispatch_id 0
		.amdhsa_user_sgpr_flat_scratch_init 1
		.amdhsa_user_sgpr_kernarg_preload_length 0
		.amdhsa_user_sgpr_kernarg_preload_offset 0
		.amdhsa_user_sgpr_private_segment_size 0
		.amdhsa_uses_dynamic_stack 0
		.amdhsa_system_sgpr_private_segment_wavefront_offset 1
		.amdhsa_system_sgpr_workgroup_id_x 1
		.amdhsa_system_sgpr_workgroup_id_y 0
		.amdhsa_system_sgpr_workgroup_id_z 0
		.amdhsa_system_sgpr_workgroup_info 0
		.amdhsa_system_vgpr_workitem_id 0
		.amdhsa_next_free_vgpr 41
		.amdhsa_next_free_sgpr 34
		.amdhsa_accum_offset 44
		.amdhsa_reserve_vcc 1
		.amdhsa_reserve_flat_scratch 1
		.amdhsa_float_round_mode_32 0
		.amdhsa_float_round_mode_16_64 0
		.amdhsa_float_denorm_mode_32 3
		.amdhsa_float_denorm_mode_16_64 3
		.amdhsa_dx10_clamp 1
		.amdhsa_ieee_mode 1
		.amdhsa_fp16_overflow 0
		.amdhsa_tg_split 0
		.amdhsa_exception_fp_ieee_invalid_op 0
		.amdhsa_exception_fp_denorm_src 0
		.amdhsa_exception_fp_ieee_div_zero 0
		.amdhsa_exception_fp_ieee_overflow 0
		.amdhsa_exception_fp_ieee_underflow 0
		.amdhsa_exception_fp_ieee_inexact 0
		.amdhsa_exception_int_div_zero 0
	.end_amdhsa_kernel
	.section	.text._ZL9mul_mat_fI7__half2Li32ELi13ELi6ELb0EEvPKT_PKfPKiPfiiiiiiiiiiiiiiii,"axG",@progbits,_ZL9mul_mat_fI7__half2Li32ELi13ELi6ELb0EEvPKT_PKfPKiPfiiiiiiiiiiiiiiii,comdat
.Lfunc_end44:
	.size	_ZL9mul_mat_fI7__half2Li32ELi13ELi6ELb0EEvPKT_PKfPKiPfiiiiiiiiiiiiiiii, .Lfunc_end44-_ZL9mul_mat_fI7__half2Li32ELi13ELi6ELb0EEvPKT_PKfPKiPfiiiiiiiiiiiiiiii
                                        ; -- End function
	.section	.AMDGPU.csdata,"",@progbits
; Kernel info:
; codeLenInByte = 88
; NumSgprs: 40
; NumVgprs: 41
; NumAgprs: 0
; TotalNumVgprs: 41
; ScratchSize: 16
; MemoryBound: 0
; FloatMode: 240
; IeeeMode: 1
; LDSByteSize: 0 bytes/workgroup (compile time only)
; SGPRBlocks: 4
; VGPRBlocks: 5
; NumSGPRsForWavesPerEU: 40
; NumVGPRsForWavesPerEU: 41
; AccumOffset: 44
; Occupancy: 8
; WaveLimiterHint : 1
; COMPUTE_PGM_RSRC2:SCRATCH_EN: 1
; COMPUTE_PGM_RSRC2:USER_SGPR: 8
; COMPUTE_PGM_RSRC2:TRAP_HANDLER: 0
; COMPUTE_PGM_RSRC2:TGID_X_EN: 1
; COMPUTE_PGM_RSRC2:TGID_Y_EN: 0
; COMPUTE_PGM_RSRC2:TGID_Z_EN: 0
; COMPUTE_PGM_RSRC2:TIDIG_COMP_CNT: 0
; COMPUTE_PGM_RSRC3_GFX90A:ACCUM_OFFSET: 10
; COMPUTE_PGM_RSRC3_GFX90A:TG_SPLIT: 0
	.section	.text._ZL13mul_mat_f_idsI7__half2Li32ELi13ELi7EEvPKT_PKfPKiS7_S7_Pfiiiiiiiiiiiiii15HIP_vector_typeIjLj3EESA_,"axG",@progbits,_ZL13mul_mat_f_idsI7__half2Li32ELi13ELi7EEvPKT_PKfPKiS7_S7_Pfiiiiiiiiiiiiii15HIP_vector_typeIjLj3EESA_,comdat
	.globl	_ZL13mul_mat_f_idsI7__half2Li32ELi13ELi7EEvPKT_PKfPKiS7_S7_Pfiiiiiiiiiiiiii15HIP_vector_typeIjLj3EESA_ ; -- Begin function _ZL13mul_mat_f_idsI7__half2Li32ELi13ELi7EEvPKT_PKfPKiS7_S7_Pfiiiiiiiiiiiiii15HIP_vector_typeIjLj3EESA_
	.p2align	8
	.type	_ZL13mul_mat_f_idsI7__half2Li32ELi13ELi7EEvPKT_PKfPKiS7_S7_Pfiiiiiiiiiiiiii15HIP_vector_typeIjLj3EESA_,@function
_ZL13mul_mat_f_idsI7__half2Li32ELi13ELi7EEvPKT_PKfPKiS7_S7_Pfiiiiiiiiiiiiii15HIP_vector_typeIjLj3EESA_: ; @_ZL13mul_mat_f_idsI7__half2Li32ELi13ELi7EEvPKT_PKfPKiS7_S7_Pfiiiiiiiiiiiiii15HIP_vector_typeIjLj3EESA_
; %bb.0:
	s_add_u32 flat_scratch_lo, s6, s9
	s_addc_u32 flat_scratch_hi, s7, 0
	s_add_u32 s0, s0, s9
	s_addc_u32 s1, s1, 0
	s_add_u32 s8, s4, 0x80
	s_addc_u32 s9, s5, 0
	s_getpc_b64 s[4:5]
	s_add_u32 s4, s4, __FUNCTION__._ZL13mul_mat_f_idsIfLi32ELi13ELi1EEvPKT_PKfPKiS6_S6_Pfiiiiiiiiiiiiii15HIP_vector_typeIjLj3EES9_@rel32@lo+4
	s_addc_u32 s5, s5, __FUNCTION__._ZL13mul_mat_f_idsIfLi32ELi13ELi1EEvPKT_PKfPKiS6_S6_Pfiiiiiiiiiiiiii15HIP_vector_typeIjLj3EES9_@rel32@hi+12
	v_mov_b32_e32 v0, 0x13b
	v_mov_b32_e32 v1, s4
	;; [unrolled: 1-line block ×3, first 2 shown]
	s_mov_b32 s32, 0
	s_getpc_b64 s[6:7]
	s_add_u32 s6, s6, _ZL14no_device_codePKciS0_iS0_@rel32@lo+4
	s_addc_u32 s7, s7, _ZL14no_device_codePKciS0_iS0_@rel32@hi+12
	s_swappc_b64 s[30:31], s[6:7]
	.section	.rodata,"a",@progbits
	.p2align	6, 0x0
	.amdhsa_kernel _ZL13mul_mat_f_idsI7__half2Li32ELi13ELi7EEvPKT_PKfPKiS7_S7_Pfiiiiiiiiiiiiii15HIP_vector_typeIjLj3EESA_
		.amdhsa_group_segment_fixed_size 0
		.amdhsa_private_segment_fixed_size 16
		.amdhsa_kernarg_size 384
		.amdhsa_user_sgpr_count 8
		.amdhsa_user_sgpr_private_segment_buffer 1
		.amdhsa_user_sgpr_dispatch_ptr 0
		.amdhsa_user_sgpr_queue_ptr 0
		.amdhsa_user_sgpr_kernarg_segment_ptr 1
		.amdhsa_user_sgpr_dispatch_id 0
		.amdhsa_user_sgpr_flat_scratch_init 1
		.amdhsa_user_sgpr_kernarg_preload_length 0
		.amdhsa_user_sgpr_kernarg_preload_offset 0
		.amdhsa_user_sgpr_private_segment_size 0
		.amdhsa_uses_dynamic_stack 0
		.amdhsa_system_sgpr_private_segment_wavefront_offset 1
		.amdhsa_system_sgpr_workgroup_id_x 1
		.amdhsa_system_sgpr_workgroup_id_y 0
		.amdhsa_system_sgpr_workgroup_id_z 0
		.amdhsa_system_sgpr_workgroup_info 0
		.amdhsa_system_vgpr_workitem_id 0
		.amdhsa_next_free_vgpr 41
		.amdhsa_next_free_sgpr 34
		.amdhsa_accum_offset 44
		.amdhsa_reserve_vcc 1
		.amdhsa_reserve_flat_scratch 1
		.amdhsa_float_round_mode_32 0
		.amdhsa_float_round_mode_16_64 0
		.amdhsa_float_denorm_mode_32 3
		.amdhsa_float_denorm_mode_16_64 3
		.amdhsa_dx10_clamp 1
		.amdhsa_ieee_mode 1
		.amdhsa_fp16_overflow 0
		.amdhsa_tg_split 0
		.amdhsa_exception_fp_ieee_invalid_op 0
		.amdhsa_exception_fp_denorm_src 0
		.amdhsa_exception_fp_ieee_div_zero 0
		.amdhsa_exception_fp_ieee_overflow 0
		.amdhsa_exception_fp_ieee_underflow 0
		.amdhsa_exception_fp_ieee_inexact 0
		.amdhsa_exception_int_div_zero 0
	.end_amdhsa_kernel
	.section	.text._ZL13mul_mat_f_idsI7__half2Li32ELi13ELi7EEvPKT_PKfPKiS7_S7_Pfiiiiiiiiiiiiii15HIP_vector_typeIjLj3EESA_,"axG",@progbits,_ZL13mul_mat_f_idsI7__half2Li32ELi13ELi7EEvPKT_PKfPKiS7_S7_Pfiiiiiiiiiiiiii15HIP_vector_typeIjLj3EESA_,comdat
.Lfunc_end45:
	.size	_ZL13mul_mat_f_idsI7__half2Li32ELi13ELi7EEvPKT_PKfPKiS7_S7_Pfiiiiiiiiiiiiii15HIP_vector_typeIjLj3EESA_, .Lfunc_end45-_ZL13mul_mat_f_idsI7__half2Li32ELi13ELi7EEvPKT_PKfPKiS7_S7_Pfiiiiiiiiiiiiii15HIP_vector_typeIjLj3EESA_
                                        ; -- End function
	.section	.AMDGPU.csdata,"",@progbits
; Kernel info:
; codeLenInByte = 92
; NumSgprs: 40
; NumVgprs: 41
; NumAgprs: 0
; TotalNumVgprs: 41
; ScratchSize: 16
; MemoryBound: 0
; FloatMode: 240
; IeeeMode: 1
; LDSByteSize: 0 bytes/workgroup (compile time only)
; SGPRBlocks: 4
; VGPRBlocks: 5
; NumSGPRsForWavesPerEU: 40
; NumVGPRsForWavesPerEU: 41
; AccumOffset: 44
; Occupancy: 7
; WaveLimiterHint : 1
; COMPUTE_PGM_RSRC2:SCRATCH_EN: 1
; COMPUTE_PGM_RSRC2:USER_SGPR: 8
; COMPUTE_PGM_RSRC2:TRAP_HANDLER: 0
; COMPUTE_PGM_RSRC2:TGID_X_EN: 1
; COMPUTE_PGM_RSRC2:TGID_Y_EN: 0
; COMPUTE_PGM_RSRC2:TGID_Z_EN: 0
; COMPUTE_PGM_RSRC2:TIDIG_COMP_CNT: 0
; COMPUTE_PGM_RSRC3_GFX90A:ACCUM_OFFSET: 10
; COMPUTE_PGM_RSRC3_GFX90A:TG_SPLIT: 0
	.section	.text._ZL9mul_mat_fI7__half2Li32ELi13ELi7ELb1EEvPKT_PKfPKiPfiiiiiiiiiiiiiiii,"axG",@progbits,_ZL9mul_mat_fI7__half2Li32ELi13ELi7ELb1EEvPKT_PKfPKiPfiiiiiiiiiiiiiiii,comdat
	.globl	_ZL9mul_mat_fI7__half2Li32ELi13ELi7ELb1EEvPKT_PKfPKiPfiiiiiiiiiiiiiiii ; -- Begin function _ZL9mul_mat_fI7__half2Li32ELi13ELi7ELb1EEvPKT_PKfPKiPfiiiiiiiiiiiiiiii
	.p2align	8
	.type	_ZL9mul_mat_fI7__half2Li32ELi13ELi7ELb1EEvPKT_PKfPKiPfiiiiiiiiiiiiiiii,@function
_ZL9mul_mat_fI7__half2Li32ELi13ELi7ELb1EEvPKT_PKfPKiPfiiiiiiiiiiiiiiii: ; @_ZL9mul_mat_fI7__half2Li32ELi13ELi7ELb1EEvPKT_PKfPKiPfiiiiiiiiiiiiiiii
; %bb.0:
	s_add_u32 flat_scratch_lo, s6, s9
	s_addc_u32 flat_scratch_hi, s7, 0
	s_add_u32 s0, s0, s9
	s_addc_u32 s1, s1, 0
	s_add_u32 s8, s4, 0x60
	s_addc_u32 s9, s5, 0
	s_getpc_b64 s[4:5]
	s_add_u32 s4, s4, __FUNCTION__._ZL9mul_mat_fIfLi32ELi13ELi1ELb1EEvPKT_PKfPKiPfiiiiiiiiiiiiiiii@rel32@lo+4
	s_addc_u32 s5, s5, __FUNCTION__._ZL9mul_mat_fIfLi32ELi13ELi1ELb1EEvPKT_PKfPKiPfiiiiiiiiiiiiiiii@rel32@hi+12
	v_mov_b32_e32 v0, 64
	v_mov_b32_e32 v1, s4
	;; [unrolled: 1-line block ×3, first 2 shown]
	s_mov_b32 s32, 0
	s_getpc_b64 s[6:7]
	s_add_u32 s6, s6, _ZL14no_device_codePKciS0_iS0_@rel32@lo+4
	s_addc_u32 s7, s7, _ZL14no_device_codePKciS0_iS0_@rel32@hi+12
	s_swappc_b64 s[30:31], s[6:7]
	.section	.rodata,"a",@progbits
	.p2align	6, 0x0
	.amdhsa_kernel _ZL9mul_mat_fI7__half2Li32ELi13ELi7ELb1EEvPKT_PKfPKiPfiiiiiiiiiiiiiiii
		.amdhsa_group_segment_fixed_size 0
		.amdhsa_private_segment_fixed_size 16
		.amdhsa_kernarg_size 352
		.amdhsa_user_sgpr_count 8
		.amdhsa_user_sgpr_private_segment_buffer 1
		.amdhsa_user_sgpr_dispatch_ptr 0
		.amdhsa_user_sgpr_queue_ptr 0
		.amdhsa_user_sgpr_kernarg_segment_ptr 1
		.amdhsa_user_sgpr_dispatch_id 0
		.amdhsa_user_sgpr_flat_scratch_init 1
		.amdhsa_user_sgpr_kernarg_preload_length 0
		.amdhsa_user_sgpr_kernarg_preload_offset 0
		.amdhsa_user_sgpr_private_segment_size 0
		.amdhsa_uses_dynamic_stack 0
		.amdhsa_system_sgpr_private_segment_wavefront_offset 1
		.amdhsa_system_sgpr_workgroup_id_x 1
		.amdhsa_system_sgpr_workgroup_id_y 0
		.amdhsa_system_sgpr_workgroup_id_z 0
		.amdhsa_system_sgpr_workgroup_info 0
		.amdhsa_system_vgpr_workitem_id 0
		.amdhsa_next_free_vgpr 41
		.amdhsa_next_free_sgpr 34
		.amdhsa_accum_offset 44
		.amdhsa_reserve_vcc 1
		.amdhsa_reserve_flat_scratch 1
		.amdhsa_float_round_mode_32 0
		.amdhsa_float_round_mode_16_64 0
		.amdhsa_float_denorm_mode_32 3
		.amdhsa_float_denorm_mode_16_64 3
		.amdhsa_dx10_clamp 1
		.amdhsa_ieee_mode 1
		.amdhsa_fp16_overflow 0
		.amdhsa_tg_split 0
		.amdhsa_exception_fp_ieee_invalid_op 0
		.amdhsa_exception_fp_denorm_src 0
		.amdhsa_exception_fp_ieee_div_zero 0
		.amdhsa_exception_fp_ieee_overflow 0
		.amdhsa_exception_fp_ieee_underflow 0
		.amdhsa_exception_fp_ieee_inexact 0
		.amdhsa_exception_int_div_zero 0
	.end_amdhsa_kernel
	.section	.text._ZL9mul_mat_fI7__half2Li32ELi13ELi7ELb1EEvPKT_PKfPKiPfiiiiiiiiiiiiiiii,"axG",@progbits,_ZL9mul_mat_fI7__half2Li32ELi13ELi7ELb1EEvPKT_PKfPKiPfiiiiiiiiiiiiiiii,comdat
.Lfunc_end46:
	.size	_ZL9mul_mat_fI7__half2Li32ELi13ELi7ELb1EEvPKT_PKfPKiPfiiiiiiiiiiiiiiii, .Lfunc_end46-_ZL9mul_mat_fI7__half2Li32ELi13ELi7ELb1EEvPKT_PKfPKiPfiiiiiiiiiiiiiiii
                                        ; -- End function
	.section	.AMDGPU.csdata,"",@progbits
; Kernel info:
; codeLenInByte = 88
; NumSgprs: 40
; NumVgprs: 41
; NumAgprs: 0
; TotalNumVgprs: 41
; ScratchSize: 16
; MemoryBound: 0
; FloatMode: 240
; IeeeMode: 1
; LDSByteSize: 0 bytes/workgroup (compile time only)
; SGPRBlocks: 4
; VGPRBlocks: 5
; NumSGPRsForWavesPerEU: 40
; NumVGPRsForWavesPerEU: 41
; AccumOffset: 44
; Occupancy: 7
; WaveLimiterHint : 1
; COMPUTE_PGM_RSRC2:SCRATCH_EN: 1
; COMPUTE_PGM_RSRC2:USER_SGPR: 8
; COMPUTE_PGM_RSRC2:TRAP_HANDLER: 0
; COMPUTE_PGM_RSRC2:TGID_X_EN: 1
; COMPUTE_PGM_RSRC2:TGID_Y_EN: 0
; COMPUTE_PGM_RSRC2:TGID_Z_EN: 0
; COMPUTE_PGM_RSRC2:TIDIG_COMP_CNT: 0
; COMPUTE_PGM_RSRC3_GFX90A:ACCUM_OFFSET: 10
; COMPUTE_PGM_RSRC3_GFX90A:TG_SPLIT: 0
	.section	.text._ZL9mul_mat_fI7__half2Li32ELi13ELi7ELb0EEvPKT_PKfPKiPfiiiiiiiiiiiiiiii,"axG",@progbits,_ZL9mul_mat_fI7__half2Li32ELi13ELi7ELb0EEvPKT_PKfPKiPfiiiiiiiiiiiiiiii,comdat
	.globl	_ZL9mul_mat_fI7__half2Li32ELi13ELi7ELb0EEvPKT_PKfPKiPfiiiiiiiiiiiiiiii ; -- Begin function _ZL9mul_mat_fI7__half2Li32ELi13ELi7ELb0EEvPKT_PKfPKiPfiiiiiiiiiiiiiiii
	.p2align	8
	.type	_ZL9mul_mat_fI7__half2Li32ELi13ELi7ELb0EEvPKT_PKfPKiPfiiiiiiiiiiiiiiii,@function
_ZL9mul_mat_fI7__half2Li32ELi13ELi7ELb0EEvPKT_PKfPKiPfiiiiiiiiiiiiiiii: ; @_ZL9mul_mat_fI7__half2Li32ELi13ELi7ELb0EEvPKT_PKfPKiPfiiiiiiiiiiiiiiii
; %bb.0:
	s_add_u32 flat_scratch_lo, s6, s9
	s_addc_u32 flat_scratch_hi, s7, 0
	s_add_u32 s0, s0, s9
	s_addc_u32 s1, s1, 0
	s_add_u32 s8, s4, 0x60
	s_addc_u32 s9, s5, 0
	s_getpc_b64 s[4:5]
	s_add_u32 s4, s4, __FUNCTION__._ZL9mul_mat_fIfLi32ELi13ELi1ELb1EEvPKT_PKfPKiPfiiiiiiiiiiiiiiii@rel32@lo+4
	s_addc_u32 s5, s5, __FUNCTION__._ZL9mul_mat_fIfLi32ELi13ELi1ELb1EEvPKT_PKfPKiPfiiiiiiiiiiiiiiii@rel32@hi+12
	v_mov_b32_e32 v0, 64
	v_mov_b32_e32 v1, s4
	v_mov_b32_e32 v2, s5
	s_mov_b32 s32, 0
	s_getpc_b64 s[6:7]
	s_add_u32 s6, s6, _ZL14no_device_codePKciS0_iS0_@rel32@lo+4
	s_addc_u32 s7, s7, _ZL14no_device_codePKciS0_iS0_@rel32@hi+12
	s_swappc_b64 s[30:31], s[6:7]
	.section	.rodata,"a",@progbits
	.p2align	6, 0x0
	.amdhsa_kernel _ZL9mul_mat_fI7__half2Li32ELi13ELi7ELb0EEvPKT_PKfPKiPfiiiiiiiiiiiiiiii
		.amdhsa_group_segment_fixed_size 0
		.amdhsa_private_segment_fixed_size 16
		.amdhsa_kernarg_size 352
		.amdhsa_user_sgpr_count 8
		.amdhsa_user_sgpr_private_segment_buffer 1
		.amdhsa_user_sgpr_dispatch_ptr 0
		.amdhsa_user_sgpr_queue_ptr 0
		.amdhsa_user_sgpr_kernarg_segment_ptr 1
		.amdhsa_user_sgpr_dispatch_id 0
		.amdhsa_user_sgpr_flat_scratch_init 1
		.amdhsa_user_sgpr_kernarg_preload_length 0
		.amdhsa_user_sgpr_kernarg_preload_offset 0
		.amdhsa_user_sgpr_private_segment_size 0
		.amdhsa_uses_dynamic_stack 0
		.amdhsa_system_sgpr_private_segment_wavefront_offset 1
		.amdhsa_system_sgpr_workgroup_id_x 1
		.amdhsa_system_sgpr_workgroup_id_y 0
		.amdhsa_system_sgpr_workgroup_id_z 0
		.amdhsa_system_sgpr_workgroup_info 0
		.amdhsa_system_vgpr_workitem_id 0
		.amdhsa_next_free_vgpr 41
		.amdhsa_next_free_sgpr 34
		.amdhsa_accum_offset 44
		.amdhsa_reserve_vcc 1
		.amdhsa_reserve_flat_scratch 1
		.amdhsa_float_round_mode_32 0
		.amdhsa_float_round_mode_16_64 0
		.amdhsa_float_denorm_mode_32 3
		.amdhsa_float_denorm_mode_16_64 3
		.amdhsa_dx10_clamp 1
		.amdhsa_ieee_mode 1
		.amdhsa_fp16_overflow 0
		.amdhsa_tg_split 0
		.amdhsa_exception_fp_ieee_invalid_op 0
		.amdhsa_exception_fp_denorm_src 0
		.amdhsa_exception_fp_ieee_div_zero 0
		.amdhsa_exception_fp_ieee_overflow 0
		.amdhsa_exception_fp_ieee_underflow 0
		.amdhsa_exception_fp_ieee_inexact 0
		.amdhsa_exception_int_div_zero 0
	.end_amdhsa_kernel
	.section	.text._ZL9mul_mat_fI7__half2Li32ELi13ELi7ELb0EEvPKT_PKfPKiPfiiiiiiiiiiiiiiii,"axG",@progbits,_ZL9mul_mat_fI7__half2Li32ELi13ELi7ELb0EEvPKT_PKfPKiPfiiiiiiiiiiiiiiii,comdat
.Lfunc_end47:
	.size	_ZL9mul_mat_fI7__half2Li32ELi13ELi7ELb0EEvPKT_PKfPKiPfiiiiiiiiiiiiiiii, .Lfunc_end47-_ZL9mul_mat_fI7__half2Li32ELi13ELi7ELb0EEvPKT_PKfPKiPfiiiiiiiiiiiiiiii
                                        ; -- End function
	.section	.AMDGPU.csdata,"",@progbits
; Kernel info:
; codeLenInByte = 88
; NumSgprs: 40
; NumVgprs: 41
; NumAgprs: 0
; TotalNumVgprs: 41
; ScratchSize: 16
; MemoryBound: 0
; FloatMode: 240
; IeeeMode: 1
; LDSByteSize: 0 bytes/workgroup (compile time only)
; SGPRBlocks: 4
; VGPRBlocks: 5
; NumSGPRsForWavesPerEU: 40
; NumVGPRsForWavesPerEU: 41
; AccumOffset: 44
; Occupancy: 7
; WaveLimiterHint : 1
; COMPUTE_PGM_RSRC2:SCRATCH_EN: 1
; COMPUTE_PGM_RSRC2:USER_SGPR: 8
; COMPUTE_PGM_RSRC2:TRAP_HANDLER: 0
; COMPUTE_PGM_RSRC2:TGID_X_EN: 1
; COMPUTE_PGM_RSRC2:TGID_Y_EN: 0
; COMPUTE_PGM_RSRC2:TGID_Z_EN: 0
; COMPUTE_PGM_RSRC2:TIDIG_COMP_CNT: 0
; COMPUTE_PGM_RSRC3_GFX90A:ACCUM_OFFSET: 10
; COMPUTE_PGM_RSRC3_GFX90A:TG_SPLIT: 0
	.section	.text._ZL13mul_mat_f_idsI7__half2Li32ELi13ELi8EEvPKT_PKfPKiS7_S7_Pfiiiiiiiiiiiiii15HIP_vector_typeIjLj3EESA_,"axG",@progbits,_ZL13mul_mat_f_idsI7__half2Li32ELi13ELi8EEvPKT_PKfPKiS7_S7_Pfiiiiiiiiiiiiii15HIP_vector_typeIjLj3EESA_,comdat
	.globl	_ZL13mul_mat_f_idsI7__half2Li32ELi13ELi8EEvPKT_PKfPKiS7_S7_Pfiiiiiiiiiiiiii15HIP_vector_typeIjLj3EESA_ ; -- Begin function _ZL13mul_mat_f_idsI7__half2Li32ELi13ELi8EEvPKT_PKfPKiS7_S7_Pfiiiiiiiiiiiiii15HIP_vector_typeIjLj3EESA_
	.p2align	8
	.type	_ZL13mul_mat_f_idsI7__half2Li32ELi13ELi8EEvPKT_PKfPKiS7_S7_Pfiiiiiiiiiiiiii15HIP_vector_typeIjLj3EESA_,@function
_ZL13mul_mat_f_idsI7__half2Li32ELi13ELi8EEvPKT_PKfPKiS7_S7_Pfiiiiiiiiiiiiii15HIP_vector_typeIjLj3EESA_: ; @_ZL13mul_mat_f_idsI7__half2Li32ELi13ELi8EEvPKT_PKfPKiS7_S7_Pfiiiiiiiiiiiiii15HIP_vector_typeIjLj3EESA_
; %bb.0:
	s_add_u32 flat_scratch_lo, s6, s9
	s_addc_u32 flat_scratch_hi, s7, 0
	s_add_u32 s0, s0, s9
	s_addc_u32 s1, s1, 0
	s_add_u32 s8, s4, 0x80
	s_addc_u32 s9, s5, 0
	s_getpc_b64 s[4:5]
	s_add_u32 s4, s4, __FUNCTION__._ZL13mul_mat_f_idsIfLi32ELi13ELi1EEvPKT_PKfPKiS6_S6_Pfiiiiiiiiiiiiii15HIP_vector_typeIjLj3EES9_@rel32@lo+4
	s_addc_u32 s5, s5, __FUNCTION__._ZL13mul_mat_f_idsIfLi32ELi13ELi1EEvPKT_PKfPKiS6_S6_Pfiiiiiiiiiiiiii15HIP_vector_typeIjLj3EES9_@rel32@hi+12
	v_mov_b32_e32 v0, 0x13b
	v_mov_b32_e32 v1, s4
	;; [unrolled: 1-line block ×3, first 2 shown]
	s_mov_b32 s32, 0
	s_getpc_b64 s[6:7]
	s_add_u32 s6, s6, _ZL14no_device_codePKciS0_iS0_@rel32@lo+4
	s_addc_u32 s7, s7, _ZL14no_device_codePKciS0_iS0_@rel32@hi+12
	s_swappc_b64 s[30:31], s[6:7]
	.section	.rodata,"a",@progbits
	.p2align	6, 0x0
	.amdhsa_kernel _ZL13mul_mat_f_idsI7__half2Li32ELi13ELi8EEvPKT_PKfPKiS7_S7_Pfiiiiiiiiiiiiii15HIP_vector_typeIjLj3EESA_
		.amdhsa_group_segment_fixed_size 0
		.amdhsa_private_segment_fixed_size 16
		.amdhsa_kernarg_size 384
		.amdhsa_user_sgpr_count 8
		.amdhsa_user_sgpr_private_segment_buffer 1
		.amdhsa_user_sgpr_dispatch_ptr 0
		.amdhsa_user_sgpr_queue_ptr 0
		.amdhsa_user_sgpr_kernarg_segment_ptr 1
		.amdhsa_user_sgpr_dispatch_id 0
		.amdhsa_user_sgpr_flat_scratch_init 1
		.amdhsa_user_sgpr_kernarg_preload_length 0
		.amdhsa_user_sgpr_kernarg_preload_offset 0
		.amdhsa_user_sgpr_private_segment_size 0
		.amdhsa_uses_dynamic_stack 0
		.amdhsa_system_sgpr_private_segment_wavefront_offset 1
		.amdhsa_system_sgpr_workgroup_id_x 1
		.amdhsa_system_sgpr_workgroup_id_y 0
		.amdhsa_system_sgpr_workgroup_id_z 0
		.amdhsa_system_sgpr_workgroup_info 0
		.amdhsa_system_vgpr_workitem_id 0
		.amdhsa_next_free_vgpr 41
		.amdhsa_next_free_sgpr 34
		.amdhsa_accum_offset 44
		.amdhsa_reserve_vcc 1
		.amdhsa_reserve_flat_scratch 1
		.amdhsa_float_round_mode_32 0
		.amdhsa_float_round_mode_16_64 0
		.amdhsa_float_denorm_mode_32 3
		.amdhsa_float_denorm_mode_16_64 3
		.amdhsa_dx10_clamp 1
		.amdhsa_ieee_mode 1
		.amdhsa_fp16_overflow 0
		.amdhsa_tg_split 0
		.amdhsa_exception_fp_ieee_invalid_op 0
		.amdhsa_exception_fp_denorm_src 0
		.amdhsa_exception_fp_ieee_div_zero 0
		.amdhsa_exception_fp_ieee_overflow 0
		.amdhsa_exception_fp_ieee_underflow 0
		.amdhsa_exception_fp_ieee_inexact 0
		.amdhsa_exception_int_div_zero 0
	.end_amdhsa_kernel
	.section	.text._ZL13mul_mat_f_idsI7__half2Li32ELi13ELi8EEvPKT_PKfPKiS7_S7_Pfiiiiiiiiiiiiii15HIP_vector_typeIjLj3EESA_,"axG",@progbits,_ZL13mul_mat_f_idsI7__half2Li32ELi13ELi8EEvPKT_PKfPKiS7_S7_Pfiiiiiiiiiiiiii15HIP_vector_typeIjLj3EESA_,comdat
.Lfunc_end48:
	.size	_ZL13mul_mat_f_idsI7__half2Li32ELi13ELi8EEvPKT_PKfPKiS7_S7_Pfiiiiiiiiiiiiii15HIP_vector_typeIjLj3EESA_, .Lfunc_end48-_ZL13mul_mat_f_idsI7__half2Li32ELi13ELi8EEvPKT_PKfPKiS7_S7_Pfiiiiiiiiiiiiii15HIP_vector_typeIjLj3EESA_
                                        ; -- End function
	.section	.AMDGPU.csdata,"",@progbits
; Kernel info:
; codeLenInByte = 92
; NumSgprs: 40
; NumVgprs: 41
; NumAgprs: 0
; TotalNumVgprs: 41
; ScratchSize: 16
; MemoryBound: 0
; FloatMode: 240
; IeeeMode: 1
; LDSByteSize: 0 bytes/workgroup (compile time only)
; SGPRBlocks: 4
; VGPRBlocks: 5
; NumSGPRsForWavesPerEU: 40
; NumVGPRsForWavesPerEU: 41
; AccumOffset: 44
; Occupancy: 8
; WaveLimiterHint : 1
; COMPUTE_PGM_RSRC2:SCRATCH_EN: 1
; COMPUTE_PGM_RSRC2:USER_SGPR: 8
; COMPUTE_PGM_RSRC2:TRAP_HANDLER: 0
; COMPUTE_PGM_RSRC2:TGID_X_EN: 1
; COMPUTE_PGM_RSRC2:TGID_Y_EN: 0
; COMPUTE_PGM_RSRC2:TGID_Z_EN: 0
; COMPUTE_PGM_RSRC2:TIDIG_COMP_CNT: 0
; COMPUTE_PGM_RSRC3_GFX90A:ACCUM_OFFSET: 10
; COMPUTE_PGM_RSRC3_GFX90A:TG_SPLIT: 0
	.section	.text._ZL9mul_mat_fI7__half2Li32ELi13ELi8ELb1EEvPKT_PKfPKiPfiiiiiiiiiiiiiiii,"axG",@progbits,_ZL9mul_mat_fI7__half2Li32ELi13ELi8ELb1EEvPKT_PKfPKiPfiiiiiiiiiiiiiiii,comdat
	.globl	_ZL9mul_mat_fI7__half2Li32ELi13ELi8ELb1EEvPKT_PKfPKiPfiiiiiiiiiiiiiiii ; -- Begin function _ZL9mul_mat_fI7__half2Li32ELi13ELi8ELb1EEvPKT_PKfPKiPfiiiiiiiiiiiiiiii
	.p2align	8
	.type	_ZL9mul_mat_fI7__half2Li32ELi13ELi8ELb1EEvPKT_PKfPKiPfiiiiiiiiiiiiiiii,@function
_ZL9mul_mat_fI7__half2Li32ELi13ELi8ELb1EEvPKT_PKfPKiPfiiiiiiiiiiiiiiii: ; @_ZL9mul_mat_fI7__half2Li32ELi13ELi8ELb1EEvPKT_PKfPKiPfiiiiiiiiiiiiiiii
; %bb.0:
	s_add_u32 flat_scratch_lo, s6, s9
	s_addc_u32 flat_scratch_hi, s7, 0
	s_add_u32 s0, s0, s9
	s_addc_u32 s1, s1, 0
	s_add_u32 s8, s4, 0x60
	s_addc_u32 s9, s5, 0
	s_getpc_b64 s[4:5]
	s_add_u32 s4, s4, __FUNCTION__._ZL9mul_mat_fIfLi32ELi13ELi1ELb1EEvPKT_PKfPKiPfiiiiiiiiiiiiiiii@rel32@lo+4
	s_addc_u32 s5, s5, __FUNCTION__._ZL9mul_mat_fIfLi32ELi13ELi1ELb1EEvPKT_PKfPKiPfiiiiiiiiiiiiiiii@rel32@hi+12
	v_mov_b32_e32 v0, 64
	v_mov_b32_e32 v1, s4
	;; [unrolled: 1-line block ×3, first 2 shown]
	s_mov_b32 s32, 0
	s_getpc_b64 s[6:7]
	s_add_u32 s6, s6, _ZL14no_device_codePKciS0_iS0_@rel32@lo+4
	s_addc_u32 s7, s7, _ZL14no_device_codePKciS0_iS0_@rel32@hi+12
	s_swappc_b64 s[30:31], s[6:7]
	.section	.rodata,"a",@progbits
	.p2align	6, 0x0
	.amdhsa_kernel _ZL9mul_mat_fI7__half2Li32ELi13ELi8ELb1EEvPKT_PKfPKiPfiiiiiiiiiiiiiiii
		.amdhsa_group_segment_fixed_size 0
		.amdhsa_private_segment_fixed_size 16
		.amdhsa_kernarg_size 352
		.amdhsa_user_sgpr_count 8
		.amdhsa_user_sgpr_private_segment_buffer 1
		.amdhsa_user_sgpr_dispatch_ptr 0
		.amdhsa_user_sgpr_queue_ptr 0
		.amdhsa_user_sgpr_kernarg_segment_ptr 1
		.amdhsa_user_sgpr_dispatch_id 0
		.amdhsa_user_sgpr_flat_scratch_init 1
		.amdhsa_user_sgpr_kernarg_preload_length 0
		.amdhsa_user_sgpr_kernarg_preload_offset 0
		.amdhsa_user_sgpr_private_segment_size 0
		.amdhsa_uses_dynamic_stack 0
		.amdhsa_system_sgpr_private_segment_wavefront_offset 1
		.amdhsa_system_sgpr_workgroup_id_x 1
		.amdhsa_system_sgpr_workgroup_id_y 0
		.amdhsa_system_sgpr_workgroup_id_z 0
		.amdhsa_system_sgpr_workgroup_info 0
		.amdhsa_system_vgpr_workitem_id 0
		.amdhsa_next_free_vgpr 41
		.amdhsa_next_free_sgpr 34
		.amdhsa_accum_offset 44
		.amdhsa_reserve_vcc 1
		.amdhsa_reserve_flat_scratch 1
		.amdhsa_float_round_mode_32 0
		.amdhsa_float_round_mode_16_64 0
		.amdhsa_float_denorm_mode_32 3
		.amdhsa_float_denorm_mode_16_64 3
		.amdhsa_dx10_clamp 1
		.amdhsa_ieee_mode 1
		.amdhsa_fp16_overflow 0
		.amdhsa_tg_split 0
		.amdhsa_exception_fp_ieee_invalid_op 0
		.amdhsa_exception_fp_denorm_src 0
		.amdhsa_exception_fp_ieee_div_zero 0
		.amdhsa_exception_fp_ieee_overflow 0
		.amdhsa_exception_fp_ieee_underflow 0
		.amdhsa_exception_fp_ieee_inexact 0
		.amdhsa_exception_int_div_zero 0
	.end_amdhsa_kernel
	.section	.text._ZL9mul_mat_fI7__half2Li32ELi13ELi8ELb1EEvPKT_PKfPKiPfiiiiiiiiiiiiiiii,"axG",@progbits,_ZL9mul_mat_fI7__half2Li32ELi13ELi8ELb1EEvPKT_PKfPKiPfiiiiiiiiiiiiiiii,comdat
.Lfunc_end49:
	.size	_ZL9mul_mat_fI7__half2Li32ELi13ELi8ELb1EEvPKT_PKfPKiPfiiiiiiiiiiiiiiii, .Lfunc_end49-_ZL9mul_mat_fI7__half2Li32ELi13ELi8ELb1EEvPKT_PKfPKiPfiiiiiiiiiiiiiiii
                                        ; -- End function
	.section	.AMDGPU.csdata,"",@progbits
; Kernel info:
; codeLenInByte = 88
; NumSgprs: 40
; NumVgprs: 41
; NumAgprs: 0
; TotalNumVgprs: 41
; ScratchSize: 16
; MemoryBound: 0
; FloatMode: 240
; IeeeMode: 1
; LDSByteSize: 0 bytes/workgroup (compile time only)
; SGPRBlocks: 4
; VGPRBlocks: 5
; NumSGPRsForWavesPerEU: 40
; NumVGPRsForWavesPerEU: 41
; AccumOffset: 44
; Occupancy: 8
; WaveLimiterHint : 1
; COMPUTE_PGM_RSRC2:SCRATCH_EN: 1
; COMPUTE_PGM_RSRC2:USER_SGPR: 8
; COMPUTE_PGM_RSRC2:TRAP_HANDLER: 0
; COMPUTE_PGM_RSRC2:TGID_X_EN: 1
; COMPUTE_PGM_RSRC2:TGID_Y_EN: 0
; COMPUTE_PGM_RSRC2:TGID_Z_EN: 0
; COMPUTE_PGM_RSRC2:TIDIG_COMP_CNT: 0
; COMPUTE_PGM_RSRC3_GFX90A:ACCUM_OFFSET: 10
; COMPUTE_PGM_RSRC3_GFX90A:TG_SPLIT: 0
	.section	.text._ZL9mul_mat_fI7__half2Li32ELi13ELi8ELb0EEvPKT_PKfPKiPfiiiiiiiiiiiiiiii,"axG",@progbits,_ZL9mul_mat_fI7__half2Li32ELi13ELi8ELb0EEvPKT_PKfPKiPfiiiiiiiiiiiiiiii,comdat
	.globl	_ZL9mul_mat_fI7__half2Li32ELi13ELi8ELb0EEvPKT_PKfPKiPfiiiiiiiiiiiiiiii ; -- Begin function _ZL9mul_mat_fI7__half2Li32ELi13ELi8ELb0EEvPKT_PKfPKiPfiiiiiiiiiiiiiiii
	.p2align	8
	.type	_ZL9mul_mat_fI7__half2Li32ELi13ELi8ELb0EEvPKT_PKfPKiPfiiiiiiiiiiiiiiii,@function
_ZL9mul_mat_fI7__half2Li32ELi13ELi8ELb0EEvPKT_PKfPKiPfiiiiiiiiiiiiiiii: ; @_ZL9mul_mat_fI7__half2Li32ELi13ELi8ELb0EEvPKT_PKfPKiPfiiiiiiiiiiiiiiii
; %bb.0:
	s_add_u32 flat_scratch_lo, s6, s9
	s_addc_u32 flat_scratch_hi, s7, 0
	s_add_u32 s0, s0, s9
	s_addc_u32 s1, s1, 0
	s_add_u32 s8, s4, 0x60
	s_addc_u32 s9, s5, 0
	s_getpc_b64 s[4:5]
	s_add_u32 s4, s4, __FUNCTION__._ZL9mul_mat_fIfLi32ELi13ELi1ELb1EEvPKT_PKfPKiPfiiiiiiiiiiiiiiii@rel32@lo+4
	s_addc_u32 s5, s5, __FUNCTION__._ZL9mul_mat_fIfLi32ELi13ELi1ELb1EEvPKT_PKfPKiPfiiiiiiiiiiiiiiii@rel32@hi+12
	v_mov_b32_e32 v0, 64
	v_mov_b32_e32 v1, s4
	;; [unrolled: 1-line block ×3, first 2 shown]
	s_mov_b32 s32, 0
	s_getpc_b64 s[6:7]
	s_add_u32 s6, s6, _ZL14no_device_codePKciS0_iS0_@rel32@lo+4
	s_addc_u32 s7, s7, _ZL14no_device_codePKciS0_iS0_@rel32@hi+12
	s_swappc_b64 s[30:31], s[6:7]
	.section	.rodata,"a",@progbits
	.p2align	6, 0x0
	.amdhsa_kernel _ZL9mul_mat_fI7__half2Li32ELi13ELi8ELb0EEvPKT_PKfPKiPfiiiiiiiiiiiiiiii
		.amdhsa_group_segment_fixed_size 0
		.amdhsa_private_segment_fixed_size 16
		.amdhsa_kernarg_size 352
		.amdhsa_user_sgpr_count 8
		.amdhsa_user_sgpr_private_segment_buffer 1
		.amdhsa_user_sgpr_dispatch_ptr 0
		.amdhsa_user_sgpr_queue_ptr 0
		.amdhsa_user_sgpr_kernarg_segment_ptr 1
		.amdhsa_user_sgpr_dispatch_id 0
		.amdhsa_user_sgpr_flat_scratch_init 1
		.amdhsa_user_sgpr_kernarg_preload_length 0
		.amdhsa_user_sgpr_kernarg_preload_offset 0
		.amdhsa_user_sgpr_private_segment_size 0
		.amdhsa_uses_dynamic_stack 0
		.amdhsa_system_sgpr_private_segment_wavefront_offset 1
		.amdhsa_system_sgpr_workgroup_id_x 1
		.amdhsa_system_sgpr_workgroup_id_y 0
		.amdhsa_system_sgpr_workgroup_id_z 0
		.amdhsa_system_sgpr_workgroup_info 0
		.amdhsa_system_vgpr_workitem_id 0
		.amdhsa_next_free_vgpr 41
		.amdhsa_next_free_sgpr 34
		.amdhsa_accum_offset 44
		.amdhsa_reserve_vcc 1
		.amdhsa_reserve_flat_scratch 1
		.amdhsa_float_round_mode_32 0
		.amdhsa_float_round_mode_16_64 0
		.amdhsa_float_denorm_mode_32 3
		.amdhsa_float_denorm_mode_16_64 3
		.amdhsa_dx10_clamp 1
		.amdhsa_ieee_mode 1
		.amdhsa_fp16_overflow 0
		.amdhsa_tg_split 0
		.amdhsa_exception_fp_ieee_invalid_op 0
		.amdhsa_exception_fp_denorm_src 0
		.amdhsa_exception_fp_ieee_div_zero 0
		.amdhsa_exception_fp_ieee_overflow 0
		.amdhsa_exception_fp_ieee_underflow 0
		.amdhsa_exception_fp_ieee_inexact 0
		.amdhsa_exception_int_div_zero 0
	.end_amdhsa_kernel
	.section	.text._ZL9mul_mat_fI7__half2Li32ELi13ELi8ELb0EEvPKT_PKfPKiPfiiiiiiiiiiiiiiii,"axG",@progbits,_ZL9mul_mat_fI7__half2Li32ELi13ELi8ELb0EEvPKT_PKfPKiPfiiiiiiiiiiiiiiii,comdat
.Lfunc_end50:
	.size	_ZL9mul_mat_fI7__half2Li32ELi13ELi8ELb0EEvPKT_PKfPKiPfiiiiiiiiiiiiiiii, .Lfunc_end50-_ZL9mul_mat_fI7__half2Li32ELi13ELi8ELb0EEvPKT_PKfPKiPfiiiiiiiiiiiiiiii
                                        ; -- End function
	.section	.AMDGPU.csdata,"",@progbits
; Kernel info:
; codeLenInByte = 88
; NumSgprs: 40
; NumVgprs: 41
; NumAgprs: 0
; TotalNumVgprs: 41
; ScratchSize: 16
; MemoryBound: 0
; FloatMode: 240
; IeeeMode: 1
; LDSByteSize: 0 bytes/workgroup (compile time only)
; SGPRBlocks: 4
; VGPRBlocks: 5
; NumSGPRsForWavesPerEU: 40
; NumVGPRsForWavesPerEU: 41
; AccumOffset: 44
; Occupancy: 8
; WaveLimiterHint : 1
; COMPUTE_PGM_RSRC2:SCRATCH_EN: 1
; COMPUTE_PGM_RSRC2:USER_SGPR: 8
; COMPUTE_PGM_RSRC2:TRAP_HANDLER: 0
; COMPUTE_PGM_RSRC2:TGID_X_EN: 1
; COMPUTE_PGM_RSRC2:TGID_Y_EN: 0
; COMPUTE_PGM_RSRC2:TGID_Z_EN: 0
; COMPUTE_PGM_RSRC2:TIDIG_COMP_CNT: 0
; COMPUTE_PGM_RSRC3_GFX90A:ACCUM_OFFSET: 10
; COMPUTE_PGM_RSRC3_GFX90A:TG_SPLIT: 0
	.section	.text._ZL13mul_mat_f_idsI15__hip_bfloat162Li32ELi13ELi1EEvPKT_PKfPKiS7_S7_Pfiiiiiiiiiiiiii15HIP_vector_typeIjLj3EESA_,"axG",@progbits,_ZL13mul_mat_f_idsI15__hip_bfloat162Li32ELi13ELi1EEvPKT_PKfPKiS7_S7_Pfiiiiiiiiiiiiii15HIP_vector_typeIjLj3EESA_,comdat
	.globl	_ZL13mul_mat_f_idsI15__hip_bfloat162Li32ELi13ELi1EEvPKT_PKfPKiS7_S7_Pfiiiiiiiiiiiiii15HIP_vector_typeIjLj3EESA_ ; -- Begin function _ZL13mul_mat_f_idsI15__hip_bfloat162Li32ELi13ELi1EEvPKT_PKfPKiS7_S7_Pfiiiiiiiiiiiiii15HIP_vector_typeIjLj3EESA_
	.p2align	8
	.type	_ZL13mul_mat_f_idsI15__hip_bfloat162Li32ELi13ELi1EEvPKT_PKfPKiS7_S7_Pfiiiiiiiiiiiiii15HIP_vector_typeIjLj3EESA_,@function
_ZL13mul_mat_f_idsI15__hip_bfloat162Li32ELi13ELi1EEvPKT_PKfPKiS7_S7_Pfiiiiiiiiiiiiii15HIP_vector_typeIjLj3EESA_: ; @_ZL13mul_mat_f_idsI15__hip_bfloat162Li32ELi13ELi1EEvPKT_PKfPKiS7_S7_Pfiiiiiiiiiiiiii15HIP_vector_typeIjLj3EESA_
; %bb.0:
	s_add_u32 flat_scratch_lo, s6, s9
	s_addc_u32 flat_scratch_hi, s7, 0
	s_add_u32 s0, s0, s9
	s_addc_u32 s1, s1, 0
	s_add_u32 s8, s4, 0x80
	s_addc_u32 s9, s5, 0
	s_getpc_b64 s[4:5]
	s_add_u32 s4, s4, __FUNCTION__._ZL13mul_mat_f_idsIfLi32ELi13ELi1EEvPKT_PKfPKiS6_S6_Pfiiiiiiiiiiiiii15HIP_vector_typeIjLj3EES9_@rel32@lo+4
	s_addc_u32 s5, s5, __FUNCTION__._ZL13mul_mat_f_idsIfLi32ELi13ELi1EEvPKT_PKfPKiS6_S6_Pfiiiiiiiiiiiiii15HIP_vector_typeIjLj3EES9_@rel32@hi+12
	v_mov_b32_e32 v0, 0x13b
	v_mov_b32_e32 v1, s4
	;; [unrolled: 1-line block ×3, first 2 shown]
	s_mov_b32 s32, 0
	s_getpc_b64 s[6:7]
	s_add_u32 s6, s6, _ZL14no_device_codePKciS0_iS0_@rel32@lo+4
	s_addc_u32 s7, s7, _ZL14no_device_codePKciS0_iS0_@rel32@hi+12
	s_swappc_b64 s[30:31], s[6:7]
	.section	.rodata,"a",@progbits
	.p2align	6, 0x0
	.amdhsa_kernel _ZL13mul_mat_f_idsI15__hip_bfloat162Li32ELi13ELi1EEvPKT_PKfPKiS7_S7_Pfiiiiiiiiiiiiii15HIP_vector_typeIjLj3EESA_
		.amdhsa_group_segment_fixed_size 0
		.amdhsa_private_segment_fixed_size 16
		.amdhsa_kernarg_size 384
		.amdhsa_user_sgpr_count 8
		.amdhsa_user_sgpr_private_segment_buffer 1
		.amdhsa_user_sgpr_dispatch_ptr 0
		.amdhsa_user_sgpr_queue_ptr 0
		.amdhsa_user_sgpr_kernarg_segment_ptr 1
		.amdhsa_user_sgpr_dispatch_id 0
		.amdhsa_user_sgpr_flat_scratch_init 1
		.amdhsa_user_sgpr_kernarg_preload_length 0
		.amdhsa_user_sgpr_kernarg_preload_offset 0
		.amdhsa_user_sgpr_private_segment_size 0
		.amdhsa_uses_dynamic_stack 0
		.amdhsa_system_sgpr_private_segment_wavefront_offset 1
		.amdhsa_system_sgpr_workgroup_id_x 1
		.amdhsa_system_sgpr_workgroup_id_y 0
		.amdhsa_system_sgpr_workgroup_id_z 0
		.amdhsa_system_sgpr_workgroup_info 0
		.amdhsa_system_vgpr_workitem_id 0
		.amdhsa_next_free_vgpr 41
		.amdhsa_next_free_sgpr 34
		.amdhsa_accum_offset 44
		.amdhsa_reserve_vcc 1
		.amdhsa_reserve_flat_scratch 1
		.amdhsa_float_round_mode_32 0
		.amdhsa_float_round_mode_16_64 0
		.amdhsa_float_denorm_mode_32 3
		.amdhsa_float_denorm_mode_16_64 3
		.amdhsa_dx10_clamp 1
		.amdhsa_ieee_mode 1
		.amdhsa_fp16_overflow 0
		.amdhsa_tg_split 0
		.amdhsa_exception_fp_ieee_invalid_op 0
		.amdhsa_exception_fp_denorm_src 0
		.amdhsa_exception_fp_ieee_div_zero 0
		.amdhsa_exception_fp_ieee_overflow 0
		.amdhsa_exception_fp_ieee_underflow 0
		.amdhsa_exception_fp_ieee_inexact 0
		.amdhsa_exception_int_div_zero 0
	.end_amdhsa_kernel
	.section	.text._ZL13mul_mat_f_idsI15__hip_bfloat162Li32ELi13ELi1EEvPKT_PKfPKiS7_S7_Pfiiiiiiiiiiiiii15HIP_vector_typeIjLj3EESA_,"axG",@progbits,_ZL13mul_mat_f_idsI15__hip_bfloat162Li32ELi13ELi1EEvPKT_PKfPKiS7_S7_Pfiiiiiiiiiiiiii15HIP_vector_typeIjLj3EESA_,comdat
.Lfunc_end51:
	.size	_ZL13mul_mat_f_idsI15__hip_bfloat162Li32ELi13ELi1EEvPKT_PKfPKiS7_S7_Pfiiiiiiiiiiiiii15HIP_vector_typeIjLj3EESA_, .Lfunc_end51-_ZL13mul_mat_f_idsI15__hip_bfloat162Li32ELi13ELi1EEvPKT_PKfPKiS7_S7_Pfiiiiiiiiiiiiii15HIP_vector_typeIjLj3EESA_
                                        ; -- End function
	.section	.AMDGPU.csdata,"",@progbits
; Kernel info:
; codeLenInByte = 92
; NumSgprs: 40
; NumVgprs: 41
; NumAgprs: 0
; TotalNumVgprs: 41
; ScratchSize: 16
; MemoryBound: 0
; FloatMode: 240
; IeeeMode: 1
; LDSByteSize: 0 bytes/workgroup (compile time only)
; SGPRBlocks: 4
; VGPRBlocks: 5
; NumSGPRsForWavesPerEU: 40
; NumVGPRsForWavesPerEU: 41
; AccumOffset: 44
; Occupancy: 8
; WaveLimiterHint : 1
; COMPUTE_PGM_RSRC2:SCRATCH_EN: 1
; COMPUTE_PGM_RSRC2:USER_SGPR: 8
; COMPUTE_PGM_RSRC2:TRAP_HANDLER: 0
; COMPUTE_PGM_RSRC2:TGID_X_EN: 1
; COMPUTE_PGM_RSRC2:TGID_Y_EN: 0
; COMPUTE_PGM_RSRC2:TGID_Z_EN: 0
; COMPUTE_PGM_RSRC2:TIDIG_COMP_CNT: 0
; COMPUTE_PGM_RSRC3_GFX90A:ACCUM_OFFSET: 10
; COMPUTE_PGM_RSRC3_GFX90A:TG_SPLIT: 0
	.section	.text._ZL9mul_mat_fI15__hip_bfloat162Li32ELi13ELi1ELb1EEvPKT_PKfPKiPfiiiiiiiiiiiiiiii,"axG",@progbits,_ZL9mul_mat_fI15__hip_bfloat162Li32ELi13ELi1ELb1EEvPKT_PKfPKiPfiiiiiiiiiiiiiiii,comdat
	.globl	_ZL9mul_mat_fI15__hip_bfloat162Li32ELi13ELi1ELb1EEvPKT_PKfPKiPfiiiiiiiiiiiiiiii ; -- Begin function _ZL9mul_mat_fI15__hip_bfloat162Li32ELi13ELi1ELb1EEvPKT_PKfPKiPfiiiiiiiiiiiiiiii
	.p2align	8
	.type	_ZL9mul_mat_fI15__hip_bfloat162Li32ELi13ELi1ELb1EEvPKT_PKfPKiPfiiiiiiiiiiiiiiii,@function
_ZL9mul_mat_fI15__hip_bfloat162Li32ELi13ELi1ELb1EEvPKT_PKfPKiPfiiiiiiiiiiiiiiii: ; @_ZL9mul_mat_fI15__hip_bfloat162Li32ELi13ELi1ELb1EEvPKT_PKfPKiPfiiiiiiiiiiiiiiii
; %bb.0:
	s_add_u32 flat_scratch_lo, s6, s9
	s_addc_u32 flat_scratch_hi, s7, 0
	s_add_u32 s0, s0, s9
	s_addc_u32 s1, s1, 0
	s_add_u32 s8, s4, 0x60
	s_addc_u32 s9, s5, 0
	s_getpc_b64 s[4:5]
	s_add_u32 s4, s4, __FUNCTION__._ZL9mul_mat_fIfLi32ELi13ELi1ELb1EEvPKT_PKfPKiPfiiiiiiiiiiiiiiii@rel32@lo+4
	s_addc_u32 s5, s5, __FUNCTION__._ZL9mul_mat_fIfLi32ELi13ELi1ELb1EEvPKT_PKfPKiPfiiiiiiiiiiiiiiii@rel32@hi+12
	v_mov_b32_e32 v0, 64
	v_mov_b32_e32 v1, s4
	;; [unrolled: 1-line block ×3, first 2 shown]
	s_mov_b32 s32, 0
	s_getpc_b64 s[6:7]
	s_add_u32 s6, s6, _ZL14no_device_codePKciS0_iS0_@rel32@lo+4
	s_addc_u32 s7, s7, _ZL14no_device_codePKciS0_iS0_@rel32@hi+12
	s_swappc_b64 s[30:31], s[6:7]
	.section	.rodata,"a",@progbits
	.p2align	6, 0x0
	.amdhsa_kernel _ZL9mul_mat_fI15__hip_bfloat162Li32ELi13ELi1ELb1EEvPKT_PKfPKiPfiiiiiiiiiiiiiiii
		.amdhsa_group_segment_fixed_size 0
		.amdhsa_private_segment_fixed_size 16
		.amdhsa_kernarg_size 352
		.amdhsa_user_sgpr_count 8
		.amdhsa_user_sgpr_private_segment_buffer 1
		.amdhsa_user_sgpr_dispatch_ptr 0
		.amdhsa_user_sgpr_queue_ptr 0
		.amdhsa_user_sgpr_kernarg_segment_ptr 1
		.amdhsa_user_sgpr_dispatch_id 0
		.amdhsa_user_sgpr_flat_scratch_init 1
		.amdhsa_user_sgpr_kernarg_preload_length 0
		.amdhsa_user_sgpr_kernarg_preload_offset 0
		.amdhsa_user_sgpr_private_segment_size 0
		.amdhsa_uses_dynamic_stack 0
		.amdhsa_system_sgpr_private_segment_wavefront_offset 1
		.amdhsa_system_sgpr_workgroup_id_x 1
		.amdhsa_system_sgpr_workgroup_id_y 0
		.amdhsa_system_sgpr_workgroup_id_z 0
		.amdhsa_system_sgpr_workgroup_info 0
		.amdhsa_system_vgpr_workitem_id 0
		.amdhsa_next_free_vgpr 41
		.amdhsa_next_free_sgpr 34
		.amdhsa_accum_offset 44
		.amdhsa_reserve_vcc 1
		.amdhsa_reserve_flat_scratch 1
		.amdhsa_float_round_mode_32 0
		.amdhsa_float_round_mode_16_64 0
		.amdhsa_float_denorm_mode_32 3
		.amdhsa_float_denorm_mode_16_64 3
		.amdhsa_dx10_clamp 1
		.amdhsa_ieee_mode 1
		.amdhsa_fp16_overflow 0
		.amdhsa_tg_split 0
		.amdhsa_exception_fp_ieee_invalid_op 0
		.amdhsa_exception_fp_denorm_src 0
		.amdhsa_exception_fp_ieee_div_zero 0
		.amdhsa_exception_fp_ieee_overflow 0
		.amdhsa_exception_fp_ieee_underflow 0
		.amdhsa_exception_fp_ieee_inexact 0
		.amdhsa_exception_int_div_zero 0
	.end_amdhsa_kernel
	.section	.text._ZL9mul_mat_fI15__hip_bfloat162Li32ELi13ELi1ELb1EEvPKT_PKfPKiPfiiiiiiiiiiiiiiii,"axG",@progbits,_ZL9mul_mat_fI15__hip_bfloat162Li32ELi13ELi1ELb1EEvPKT_PKfPKiPfiiiiiiiiiiiiiiii,comdat
.Lfunc_end52:
	.size	_ZL9mul_mat_fI15__hip_bfloat162Li32ELi13ELi1ELb1EEvPKT_PKfPKiPfiiiiiiiiiiiiiiii, .Lfunc_end52-_ZL9mul_mat_fI15__hip_bfloat162Li32ELi13ELi1ELb1EEvPKT_PKfPKiPfiiiiiiiiiiiiiiii
                                        ; -- End function
	.section	.AMDGPU.csdata,"",@progbits
; Kernel info:
; codeLenInByte = 88
; NumSgprs: 40
; NumVgprs: 41
; NumAgprs: 0
; TotalNumVgprs: 41
; ScratchSize: 16
; MemoryBound: 0
; FloatMode: 240
; IeeeMode: 1
; LDSByteSize: 0 bytes/workgroup (compile time only)
; SGPRBlocks: 4
; VGPRBlocks: 5
; NumSGPRsForWavesPerEU: 40
; NumVGPRsForWavesPerEU: 41
; AccumOffset: 44
; Occupancy: 8
; WaveLimiterHint : 1
; COMPUTE_PGM_RSRC2:SCRATCH_EN: 1
; COMPUTE_PGM_RSRC2:USER_SGPR: 8
; COMPUTE_PGM_RSRC2:TRAP_HANDLER: 0
; COMPUTE_PGM_RSRC2:TGID_X_EN: 1
; COMPUTE_PGM_RSRC2:TGID_Y_EN: 0
; COMPUTE_PGM_RSRC2:TGID_Z_EN: 0
; COMPUTE_PGM_RSRC2:TIDIG_COMP_CNT: 0
; COMPUTE_PGM_RSRC3_GFX90A:ACCUM_OFFSET: 10
; COMPUTE_PGM_RSRC3_GFX90A:TG_SPLIT: 0
	.section	.text._ZL9mul_mat_fI15__hip_bfloat162Li32ELi13ELi1ELb0EEvPKT_PKfPKiPfiiiiiiiiiiiiiiii,"axG",@progbits,_ZL9mul_mat_fI15__hip_bfloat162Li32ELi13ELi1ELb0EEvPKT_PKfPKiPfiiiiiiiiiiiiiiii,comdat
	.globl	_ZL9mul_mat_fI15__hip_bfloat162Li32ELi13ELi1ELb0EEvPKT_PKfPKiPfiiiiiiiiiiiiiiii ; -- Begin function _ZL9mul_mat_fI15__hip_bfloat162Li32ELi13ELi1ELb0EEvPKT_PKfPKiPfiiiiiiiiiiiiiiii
	.p2align	8
	.type	_ZL9mul_mat_fI15__hip_bfloat162Li32ELi13ELi1ELb0EEvPKT_PKfPKiPfiiiiiiiiiiiiiiii,@function
_ZL9mul_mat_fI15__hip_bfloat162Li32ELi13ELi1ELb0EEvPKT_PKfPKiPfiiiiiiiiiiiiiiii: ; @_ZL9mul_mat_fI15__hip_bfloat162Li32ELi13ELi1ELb0EEvPKT_PKfPKiPfiiiiiiiiiiiiiiii
; %bb.0:
	s_add_u32 flat_scratch_lo, s6, s9
	s_addc_u32 flat_scratch_hi, s7, 0
	s_add_u32 s0, s0, s9
	s_addc_u32 s1, s1, 0
	s_add_u32 s8, s4, 0x60
	s_addc_u32 s9, s5, 0
	s_getpc_b64 s[4:5]
	s_add_u32 s4, s4, __FUNCTION__._ZL9mul_mat_fIfLi32ELi13ELi1ELb1EEvPKT_PKfPKiPfiiiiiiiiiiiiiiii@rel32@lo+4
	s_addc_u32 s5, s5, __FUNCTION__._ZL9mul_mat_fIfLi32ELi13ELi1ELb1EEvPKT_PKfPKiPfiiiiiiiiiiiiiiii@rel32@hi+12
	v_mov_b32_e32 v0, 64
	v_mov_b32_e32 v1, s4
	;; [unrolled: 1-line block ×3, first 2 shown]
	s_mov_b32 s32, 0
	s_getpc_b64 s[6:7]
	s_add_u32 s6, s6, _ZL14no_device_codePKciS0_iS0_@rel32@lo+4
	s_addc_u32 s7, s7, _ZL14no_device_codePKciS0_iS0_@rel32@hi+12
	s_swappc_b64 s[30:31], s[6:7]
	.section	.rodata,"a",@progbits
	.p2align	6, 0x0
	.amdhsa_kernel _ZL9mul_mat_fI15__hip_bfloat162Li32ELi13ELi1ELb0EEvPKT_PKfPKiPfiiiiiiiiiiiiiiii
		.amdhsa_group_segment_fixed_size 0
		.amdhsa_private_segment_fixed_size 16
		.amdhsa_kernarg_size 352
		.amdhsa_user_sgpr_count 8
		.amdhsa_user_sgpr_private_segment_buffer 1
		.amdhsa_user_sgpr_dispatch_ptr 0
		.amdhsa_user_sgpr_queue_ptr 0
		.amdhsa_user_sgpr_kernarg_segment_ptr 1
		.amdhsa_user_sgpr_dispatch_id 0
		.amdhsa_user_sgpr_flat_scratch_init 1
		.amdhsa_user_sgpr_kernarg_preload_length 0
		.amdhsa_user_sgpr_kernarg_preload_offset 0
		.amdhsa_user_sgpr_private_segment_size 0
		.amdhsa_uses_dynamic_stack 0
		.amdhsa_system_sgpr_private_segment_wavefront_offset 1
		.amdhsa_system_sgpr_workgroup_id_x 1
		.amdhsa_system_sgpr_workgroup_id_y 0
		.amdhsa_system_sgpr_workgroup_id_z 0
		.amdhsa_system_sgpr_workgroup_info 0
		.amdhsa_system_vgpr_workitem_id 0
		.amdhsa_next_free_vgpr 41
		.amdhsa_next_free_sgpr 34
		.amdhsa_accum_offset 44
		.amdhsa_reserve_vcc 1
		.amdhsa_reserve_flat_scratch 1
		.amdhsa_float_round_mode_32 0
		.amdhsa_float_round_mode_16_64 0
		.amdhsa_float_denorm_mode_32 3
		.amdhsa_float_denorm_mode_16_64 3
		.amdhsa_dx10_clamp 1
		.amdhsa_ieee_mode 1
		.amdhsa_fp16_overflow 0
		.amdhsa_tg_split 0
		.amdhsa_exception_fp_ieee_invalid_op 0
		.amdhsa_exception_fp_denorm_src 0
		.amdhsa_exception_fp_ieee_div_zero 0
		.amdhsa_exception_fp_ieee_overflow 0
		.amdhsa_exception_fp_ieee_underflow 0
		.amdhsa_exception_fp_ieee_inexact 0
		.amdhsa_exception_int_div_zero 0
	.end_amdhsa_kernel
	.section	.text._ZL9mul_mat_fI15__hip_bfloat162Li32ELi13ELi1ELb0EEvPKT_PKfPKiPfiiiiiiiiiiiiiiii,"axG",@progbits,_ZL9mul_mat_fI15__hip_bfloat162Li32ELi13ELi1ELb0EEvPKT_PKfPKiPfiiiiiiiiiiiiiiii,comdat
.Lfunc_end53:
	.size	_ZL9mul_mat_fI15__hip_bfloat162Li32ELi13ELi1ELb0EEvPKT_PKfPKiPfiiiiiiiiiiiiiiii, .Lfunc_end53-_ZL9mul_mat_fI15__hip_bfloat162Li32ELi13ELi1ELb0EEvPKT_PKfPKiPfiiiiiiiiiiiiiiii
                                        ; -- End function
	.section	.AMDGPU.csdata,"",@progbits
; Kernel info:
; codeLenInByte = 88
; NumSgprs: 40
; NumVgprs: 41
; NumAgprs: 0
; TotalNumVgprs: 41
; ScratchSize: 16
; MemoryBound: 0
; FloatMode: 240
; IeeeMode: 1
; LDSByteSize: 0 bytes/workgroup (compile time only)
; SGPRBlocks: 4
; VGPRBlocks: 5
; NumSGPRsForWavesPerEU: 40
; NumVGPRsForWavesPerEU: 41
; AccumOffset: 44
; Occupancy: 8
; WaveLimiterHint : 1
; COMPUTE_PGM_RSRC2:SCRATCH_EN: 1
; COMPUTE_PGM_RSRC2:USER_SGPR: 8
; COMPUTE_PGM_RSRC2:TRAP_HANDLER: 0
; COMPUTE_PGM_RSRC2:TGID_X_EN: 1
; COMPUTE_PGM_RSRC2:TGID_Y_EN: 0
; COMPUTE_PGM_RSRC2:TGID_Z_EN: 0
; COMPUTE_PGM_RSRC2:TIDIG_COMP_CNT: 0
; COMPUTE_PGM_RSRC3_GFX90A:ACCUM_OFFSET: 10
; COMPUTE_PGM_RSRC3_GFX90A:TG_SPLIT: 0
	.section	.text._ZL13mul_mat_f_idsI15__hip_bfloat162Li32ELi13ELi2EEvPKT_PKfPKiS7_S7_Pfiiiiiiiiiiiiii15HIP_vector_typeIjLj3EESA_,"axG",@progbits,_ZL13mul_mat_f_idsI15__hip_bfloat162Li32ELi13ELi2EEvPKT_PKfPKiS7_S7_Pfiiiiiiiiiiiiii15HIP_vector_typeIjLj3EESA_,comdat
	.globl	_ZL13mul_mat_f_idsI15__hip_bfloat162Li32ELi13ELi2EEvPKT_PKfPKiS7_S7_Pfiiiiiiiiiiiiii15HIP_vector_typeIjLj3EESA_ ; -- Begin function _ZL13mul_mat_f_idsI15__hip_bfloat162Li32ELi13ELi2EEvPKT_PKfPKiS7_S7_Pfiiiiiiiiiiiiii15HIP_vector_typeIjLj3EESA_
	.p2align	8
	.type	_ZL13mul_mat_f_idsI15__hip_bfloat162Li32ELi13ELi2EEvPKT_PKfPKiS7_S7_Pfiiiiiiiiiiiiii15HIP_vector_typeIjLj3EESA_,@function
_ZL13mul_mat_f_idsI15__hip_bfloat162Li32ELi13ELi2EEvPKT_PKfPKiS7_S7_Pfiiiiiiiiiiiiii15HIP_vector_typeIjLj3EESA_: ; @_ZL13mul_mat_f_idsI15__hip_bfloat162Li32ELi13ELi2EEvPKT_PKfPKiS7_S7_Pfiiiiiiiiiiiiii15HIP_vector_typeIjLj3EESA_
; %bb.0:
	s_add_u32 flat_scratch_lo, s6, s9
	s_addc_u32 flat_scratch_hi, s7, 0
	s_add_u32 s0, s0, s9
	s_addc_u32 s1, s1, 0
	s_add_u32 s8, s4, 0x80
	s_addc_u32 s9, s5, 0
	s_getpc_b64 s[4:5]
	s_add_u32 s4, s4, __FUNCTION__._ZL13mul_mat_f_idsIfLi32ELi13ELi1EEvPKT_PKfPKiS6_S6_Pfiiiiiiiiiiiiii15HIP_vector_typeIjLj3EES9_@rel32@lo+4
	s_addc_u32 s5, s5, __FUNCTION__._ZL13mul_mat_f_idsIfLi32ELi13ELi1EEvPKT_PKfPKiS6_S6_Pfiiiiiiiiiiiiii15HIP_vector_typeIjLj3EES9_@rel32@hi+12
	v_mov_b32_e32 v0, 0x13b
	v_mov_b32_e32 v1, s4
	;; [unrolled: 1-line block ×3, first 2 shown]
	s_mov_b32 s32, 0
	s_getpc_b64 s[6:7]
	s_add_u32 s6, s6, _ZL14no_device_codePKciS0_iS0_@rel32@lo+4
	s_addc_u32 s7, s7, _ZL14no_device_codePKciS0_iS0_@rel32@hi+12
	s_swappc_b64 s[30:31], s[6:7]
	.section	.rodata,"a",@progbits
	.p2align	6, 0x0
	.amdhsa_kernel _ZL13mul_mat_f_idsI15__hip_bfloat162Li32ELi13ELi2EEvPKT_PKfPKiS7_S7_Pfiiiiiiiiiiiiii15HIP_vector_typeIjLj3EESA_
		.amdhsa_group_segment_fixed_size 0
		.amdhsa_private_segment_fixed_size 16
		.amdhsa_kernarg_size 384
		.amdhsa_user_sgpr_count 8
		.amdhsa_user_sgpr_private_segment_buffer 1
		.amdhsa_user_sgpr_dispatch_ptr 0
		.amdhsa_user_sgpr_queue_ptr 0
		.amdhsa_user_sgpr_kernarg_segment_ptr 1
		.amdhsa_user_sgpr_dispatch_id 0
		.amdhsa_user_sgpr_flat_scratch_init 1
		.amdhsa_user_sgpr_kernarg_preload_length 0
		.amdhsa_user_sgpr_kernarg_preload_offset 0
		.amdhsa_user_sgpr_private_segment_size 0
		.amdhsa_uses_dynamic_stack 0
		.amdhsa_system_sgpr_private_segment_wavefront_offset 1
		.amdhsa_system_sgpr_workgroup_id_x 1
		.amdhsa_system_sgpr_workgroup_id_y 0
		.amdhsa_system_sgpr_workgroup_id_z 0
		.amdhsa_system_sgpr_workgroup_info 0
		.amdhsa_system_vgpr_workitem_id 0
		.amdhsa_next_free_vgpr 41
		.amdhsa_next_free_sgpr 34
		.amdhsa_accum_offset 44
		.amdhsa_reserve_vcc 1
		.amdhsa_reserve_flat_scratch 1
		.amdhsa_float_round_mode_32 0
		.amdhsa_float_round_mode_16_64 0
		.amdhsa_float_denorm_mode_32 3
		.amdhsa_float_denorm_mode_16_64 3
		.amdhsa_dx10_clamp 1
		.amdhsa_ieee_mode 1
		.amdhsa_fp16_overflow 0
		.amdhsa_tg_split 0
		.amdhsa_exception_fp_ieee_invalid_op 0
		.amdhsa_exception_fp_denorm_src 0
		.amdhsa_exception_fp_ieee_div_zero 0
		.amdhsa_exception_fp_ieee_overflow 0
		.amdhsa_exception_fp_ieee_underflow 0
		.amdhsa_exception_fp_ieee_inexact 0
		.amdhsa_exception_int_div_zero 0
	.end_amdhsa_kernel
	.section	.text._ZL13mul_mat_f_idsI15__hip_bfloat162Li32ELi13ELi2EEvPKT_PKfPKiS7_S7_Pfiiiiiiiiiiiiii15HIP_vector_typeIjLj3EESA_,"axG",@progbits,_ZL13mul_mat_f_idsI15__hip_bfloat162Li32ELi13ELi2EEvPKT_PKfPKiS7_S7_Pfiiiiiiiiiiiiii15HIP_vector_typeIjLj3EESA_,comdat
.Lfunc_end54:
	.size	_ZL13mul_mat_f_idsI15__hip_bfloat162Li32ELi13ELi2EEvPKT_PKfPKiS7_S7_Pfiiiiiiiiiiiiii15HIP_vector_typeIjLj3EESA_, .Lfunc_end54-_ZL13mul_mat_f_idsI15__hip_bfloat162Li32ELi13ELi2EEvPKT_PKfPKiS7_S7_Pfiiiiiiiiiiiiii15HIP_vector_typeIjLj3EESA_
                                        ; -- End function
	.section	.AMDGPU.csdata,"",@progbits
; Kernel info:
; codeLenInByte = 92
; NumSgprs: 40
; NumVgprs: 41
; NumAgprs: 0
; TotalNumVgprs: 41
; ScratchSize: 16
; MemoryBound: 0
; FloatMode: 240
; IeeeMode: 1
; LDSByteSize: 0 bytes/workgroup (compile time only)
; SGPRBlocks: 4
; VGPRBlocks: 5
; NumSGPRsForWavesPerEU: 40
; NumVGPRsForWavesPerEU: 41
; AccumOffset: 44
; Occupancy: 8
; WaveLimiterHint : 1
; COMPUTE_PGM_RSRC2:SCRATCH_EN: 1
; COMPUTE_PGM_RSRC2:USER_SGPR: 8
; COMPUTE_PGM_RSRC2:TRAP_HANDLER: 0
; COMPUTE_PGM_RSRC2:TGID_X_EN: 1
; COMPUTE_PGM_RSRC2:TGID_Y_EN: 0
; COMPUTE_PGM_RSRC2:TGID_Z_EN: 0
; COMPUTE_PGM_RSRC2:TIDIG_COMP_CNT: 0
; COMPUTE_PGM_RSRC3_GFX90A:ACCUM_OFFSET: 10
; COMPUTE_PGM_RSRC3_GFX90A:TG_SPLIT: 0
	.section	.text._ZL9mul_mat_fI15__hip_bfloat162Li32ELi13ELi2ELb1EEvPKT_PKfPKiPfiiiiiiiiiiiiiiii,"axG",@progbits,_ZL9mul_mat_fI15__hip_bfloat162Li32ELi13ELi2ELb1EEvPKT_PKfPKiPfiiiiiiiiiiiiiiii,comdat
	.globl	_ZL9mul_mat_fI15__hip_bfloat162Li32ELi13ELi2ELb1EEvPKT_PKfPKiPfiiiiiiiiiiiiiiii ; -- Begin function _ZL9mul_mat_fI15__hip_bfloat162Li32ELi13ELi2ELb1EEvPKT_PKfPKiPfiiiiiiiiiiiiiiii
	.p2align	8
	.type	_ZL9mul_mat_fI15__hip_bfloat162Li32ELi13ELi2ELb1EEvPKT_PKfPKiPfiiiiiiiiiiiiiiii,@function
_ZL9mul_mat_fI15__hip_bfloat162Li32ELi13ELi2ELb1EEvPKT_PKfPKiPfiiiiiiiiiiiiiiii: ; @_ZL9mul_mat_fI15__hip_bfloat162Li32ELi13ELi2ELb1EEvPKT_PKfPKiPfiiiiiiiiiiiiiiii
; %bb.0:
	s_add_u32 flat_scratch_lo, s6, s9
	s_addc_u32 flat_scratch_hi, s7, 0
	s_add_u32 s0, s0, s9
	s_addc_u32 s1, s1, 0
	s_add_u32 s8, s4, 0x60
	s_addc_u32 s9, s5, 0
	s_getpc_b64 s[4:5]
	s_add_u32 s4, s4, __FUNCTION__._ZL9mul_mat_fIfLi32ELi13ELi1ELb1EEvPKT_PKfPKiPfiiiiiiiiiiiiiiii@rel32@lo+4
	s_addc_u32 s5, s5, __FUNCTION__._ZL9mul_mat_fIfLi32ELi13ELi1ELb1EEvPKT_PKfPKiPfiiiiiiiiiiiiiiii@rel32@hi+12
	v_mov_b32_e32 v0, 64
	v_mov_b32_e32 v1, s4
	;; [unrolled: 1-line block ×3, first 2 shown]
	s_mov_b32 s32, 0
	s_getpc_b64 s[6:7]
	s_add_u32 s6, s6, _ZL14no_device_codePKciS0_iS0_@rel32@lo+4
	s_addc_u32 s7, s7, _ZL14no_device_codePKciS0_iS0_@rel32@hi+12
	s_swappc_b64 s[30:31], s[6:7]
	.section	.rodata,"a",@progbits
	.p2align	6, 0x0
	.amdhsa_kernel _ZL9mul_mat_fI15__hip_bfloat162Li32ELi13ELi2ELb1EEvPKT_PKfPKiPfiiiiiiiiiiiiiiii
		.amdhsa_group_segment_fixed_size 0
		.amdhsa_private_segment_fixed_size 16
		.amdhsa_kernarg_size 352
		.amdhsa_user_sgpr_count 8
		.amdhsa_user_sgpr_private_segment_buffer 1
		.amdhsa_user_sgpr_dispatch_ptr 0
		.amdhsa_user_sgpr_queue_ptr 0
		.amdhsa_user_sgpr_kernarg_segment_ptr 1
		.amdhsa_user_sgpr_dispatch_id 0
		.amdhsa_user_sgpr_flat_scratch_init 1
		.amdhsa_user_sgpr_kernarg_preload_length 0
		.amdhsa_user_sgpr_kernarg_preload_offset 0
		.amdhsa_user_sgpr_private_segment_size 0
		.amdhsa_uses_dynamic_stack 0
		.amdhsa_system_sgpr_private_segment_wavefront_offset 1
		.amdhsa_system_sgpr_workgroup_id_x 1
		.amdhsa_system_sgpr_workgroup_id_y 0
		.amdhsa_system_sgpr_workgroup_id_z 0
		.amdhsa_system_sgpr_workgroup_info 0
		.amdhsa_system_vgpr_workitem_id 0
		.amdhsa_next_free_vgpr 41
		.amdhsa_next_free_sgpr 34
		.amdhsa_accum_offset 44
		.amdhsa_reserve_vcc 1
		.amdhsa_reserve_flat_scratch 1
		.amdhsa_float_round_mode_32 0
		.amdhsa_float_round_mode_16_64 0
		.amdhsa_float_denorm_mode_32 3
		.amdhsa_float_denorm_mode_16_64 3
		.amdhsa_dx10_clamp 1
		.amdhsa_ieee_mode 1
		.amdhsa_fp16_overflow 0
		.amdhsa_tg_split 0
		.amdhsa_exception_fp_ieee_invalid_op 0
		.amdhsa_exception_fp_denorm_src 0
		.amdhsa_exception_fp_ieee_div_zero 0
		.amdhsa_exception_fp_ieee_overflow 0
		.amdhsa_exception_fp_ieee_underflow 0
		.amdhsa_exception_fp_ieee_inexact 0
		.amdhsa_exception_int_div_zero 0
	.end_amdhsa_kernel
	.section	.text._ZL9mul_mat_fI15__hip_bfloat162Li32ELi13ELi2ELb1EEvPKT_PKfPKiPfiiiiiiiiiiiiiiii,"axG",@progbits,_ZL9mul_mat_fI15__hip_bfloat162Li32ELi13ELi2ELb1EEvPKT_PKfPKiPfiiiiiiiiiiiiiiii,comdat
.Lfunc_end55:
	.size	_ZL9mul_mat_fI15__hip_bfloat162Li32ELi13ELi2ELb1EEvPKT_PKfPKiPfiiiiiiiiiiiiiiii, .Lfunc_end55-_ZL9mul_mat_fI15__hip_bfloat162Li32ELi13ELi2ELb1EEvPKT_PKfPKiPfiiiiiiiiiiiiiiii
                                        ; -- End function
	.section	.AMDGPU.csdata,"",@progbits
; Kernel info:
; codeLenInByte = 88
; NumSgprs: 40
; NumVgprs: 41
; NumAgprs: 0
; TotalNumVgprs: 41
; ScratchSize: 16
; MemoryBound: 0
; FloatMode: 240
; IeeeMode: 1
; LDSByteSize: 0 bytes/workgroup (compile time only)
; SGPRBlocks: 4
; VGPRBlocks: 5
; NumSGPRsForWavesPerEU: 40
; NumVGPRsForWavesPerEU: 41
; AccumOffset: 44
; Occupancy: 8
; WaveLimiterHint : 1
; COMPUTE_PGM_RSRC2:SCRATCH_EN: 1
; COMPUTE_PGM_RSRC2:USER_SGPR: 8
; COMPUTE_PGM_RSRC2:TRAP_HANDLER: 0
; COMPUTE_PGM_RSRC2:TGID_X_EN: 1
; COMPUTE_PGM_RSRC2:TGID_Y_EN: 0
; COMPUTE_PGM_RSRC2:TGID_Z_EN: 0
; COMPUTE_PGM_RSRC2:TIDIG_COMP_CNT: 0
; COMPUTE_PGM_RSRC3_GFX90A:ACCUM_OFFSET: 10
; COMPUTE_PGM_RSRC3_GFX90A:TG_SPLIT: 0
	.section	.text._ZL9mul_mat_fI15__hip_bfloat162Li32ELi13ELi2ELb0EEvPKT_PKfPKiPfiiiiiiiiiiiiiiii,"axG",@progbits,_ZL9mul_mat_fI15__hip_bfloat162Li32ELi13ELi2ELb0EEvPKT_PKfPKiPfiiiiiiiiiiiiiiii,comdat
	.globl	_ZL9mul_mat_fI15__hip_bfloat162Li32ELi13ELi2ELb0EEvPKT_PKfPKiPfiiiiiiiiiiiiiiii ; -- Begin function _ZL9mul_mat_fI15__hip_bfloat162Li32ELi13ELi2ELb0EEvPKT_PKfPKiPfiiiiiiiiiiiiiiii
	.p2align	8
	.type	_ZL9mul_mat_fI15__hip_bfloat162Li32ELi13ELi2ELb0EEvPKT_PKfPKiPfiiiiiiiiiiiiiiii,@function
_ZL9mul_mat_fI15__hip_bfloat162Li32ELi13ELi2ELb0EEvPKT_PKfPKiPfiiiiiiiiiiiiiiii: ; @_ZL9mul_mat_fI15__hip_bfloat162Li32ELi13ELi2ELb0EEvPKT_PKfPKiPfiiiiiiiiiiiiiiii
; %bb.0:
	s_add_u32 flat_scratch_lo, s6, s9
	s_addc_u32 flat_scratch_hi, s7, 0
	s_add_u32 s0, s0, s9
	s_addc_u32 s1, s1, 0
	s_add_u32 s8, s4, 0x60
	s_addc_u32 s9, s5, 0
	s_getpc_b64 s[4:5]
	s_add_u32 s4, s4, __FUNCTION__._ZL9mul_mat_fIfLi32ELi13ELi1ELb1EEvPKT_PKfPKiPfiiiiiiiiiiiiiiii@rel32@lo+4
	s_addc_u32 s5, s5, __FUNCTION__._ZL9mul_mat_fIfLi32ELi13ELi1ELb1EEvPKT_PKfPKiPfiiiiiiiiiiiiiiii@rel32@hi+12
	v_mov_b32_e32 v0, 64
	v_mov_b32_e32 v1, s4
	;; [unrolled: 1-line block ×3, first 2 shown]
	s_mov_b32 s32, 0
	s_getpc_b64 s[6:7]
	s_add_u32 s6, s6, _ZL14no_device_codePKciS0_iS0_@rel32@lo+4
	s_addc_u32 s7, s7, _ZL14no_device_codePKciS0_iS0_@rel32@hi+12
	s_swappc_b64 s[30:31], s[6:7]
	.section	.rodata,"a",@progbits
	.p2align	6, 0x0
	.amdhsa_kernel _ZL9mul_mat_fI15__hip_bfloat162Li32ELi13ELi2ELb0EEvPKT_PKfPKiPfiiiiiiiiiiiiiiii
		.amdhsa_group_segment_fixed_size 0
		.amdhsa_private_segment_fixed_size 16
		.amdhsa_kernarg_size 352
		.amdhsa_user_sgpr_count 8
		.amdhsa_user_sgpr_private_segment_buffer 1
		.amdhsa_user_sgpr_dispatch_ptr 0
		.amdhsa_user_sgpr_queue_ptr 0
		.amdhsa_user_sgpr_kernarg_segment_ptr 1
		.amdhsa_user_sgpr_dispatch_id 0
		.amdhsa_user_sgpr_flat_scratch_init 1
		.amdhsa_user_sgpr_kernarg_preload_length 0
		.amdhsa_user_sgpr_kernarg_preload_offset 0
		.amdhsa_user_sgpr_private_segment_size 0
		.amdhsa_uses_dynamic_stack 0
		.amdhsa_system_sgpr_private_segment_wavefront_offset 1
		.amdhsa_system_sgpr_workgroup_id_x 1
		.amdhsa_system_sgpr_workgroup_id_y 0
		.amdhsa_system_sgpr_workgroup_id_z 0
		.amdhsa_system_sgpr_workgroup_info 0
		.amdhsa_system_vgpr_workitem_id 0
		.amdhsa_next_free_vgpr 41
		.amdhsa_next_free_sgpr 34
		.amdhsa_accum_offset 44
		.amdhsa_reserve_vcc 1
		.amdhsa_reserve_flat_scratch 1
		.amdhsa_float_round_mode_32 0
		.amdhsa_float_round_mode_16_64 0
		.amdhsa_float_denorm_mode_32 3
		.amdhsa_float_denorm_mode_16_64 3
		.amdhsa_dx10_clamp 1
		.amdhsa_ieee_mode 1
		.amdhsa_fp16_overflow 0
		.amdhsa_tg_split 0
		.amdhsa_exception_fp_ieee_invalid_op 0
		.amdhsa_exception_fp_denorm_src 0
		.amdhsa_exception_fp_ieee_div_zero 0
		.amdhsa_exception_fp_ieee_overflow 0
		.amdhsa_exception_fp_ieee_underflow 0
		.amdhsa_exception_fp_ieee_inexact 0
		.amdhsa_exception_int_div_zero 0
	.end_amdhsa_kernel
	.section	.text._ZL9mul_mat_fI15__hip_bfloat162Li32ELi13ELi2ELb0EEvPKT_PKfPKiPfiiiiiiiiiiiiiiii,"axG",@progbits,_ZL9mul_mat_fI15__hip_bfloat162Li32ELi13ELi2ELb0EEvPKT_PKfPKiPfiiiiiiiiiiiiiiii,comdat
.Lfunc_end56:
	.size	_ZL9mul_mat_fI15__hip_bfloat162Li32ELi13ELi2ELb0EEvPKT_PKfPKiPfiiiiiiiiiiiiiiii, .Lfunc_end56-_ZL9mul_mat_fI15__hip_bfloat162Li32ELi13ELi2ELb0EEvPKT_PKfPKiPfiiiiiiiiiiiiiiii
                                        ; -- End function
	.section	.AMDGPU.csdata,"",@progbits
; Kernel info:
; codeLenInByte = 88
; NumSgprs: 40
; NumVgprs: 41
; NumAgprs: 0
; TotalNumVgprs: 41
; ScratchSize: 16
; MemoryBound: 0
; FloatMode: 240
; IeeeMode: 1
; LDSByteSize: 0 bytes/workgroup (compile time only)
; SGPRBlocks: 4
; VGPRBlocks: 5
; NumSGPRsForWavesPerEU: 40
; NumVGPRsForWavesPerEU: 41
; AccumOffset: 44
; Occupancy: 8
; WaveLimiterHint : 1
; COMPUTE_PGM_RSRC2:SCRATCH_EN: 1
; COMPUTE_PGM_RSRC2:USER_SGPR: 8
; COMPUTE_PGM_RSRC2:TRAP_HANDLER: 0
; COMPUTE_PGM_RSRC2:TGID_X_EN: 1
; COMPUTE_PGM_RSRC2:TGID_Y_EN: 0
; COMPUTE_PGM_RSRC2:TGID_Z_EN: 0
; COMPUTE_PGM_RSRC2:TIDIG_COMP_CNT: 0
; COMPUTE_PGM_RSRC3_GFX90A:ACCUM_OFFSET: 10
; COMPUTE_PGM_RSRC3_GFX90A:TG_SPLIT: 0
	.section	.text._ZL13mul_mat_f_idsI15__hip_bfloat162Li32ELi13ELi3EEvPKT_PKfPKiS7_S7_Pfiiiiiiiiiiiiii15HIP_vector_typeIjLj3EESA_,"axG",@progbits,_ZL13mul_mat_f_idsI15__hip_bfloat162Li32ELi13ELi3EEvPKT_PKfPKiS7_S7_Pfiiiiiiiiiiiiii15HIP_vector_typeIjLj3EESA_,comdat
	.globl	_ZL13mul_mat_f_idsI15__hip_bfloat162Li32ELi13ELi3EEvPKT_PKfPKiS7_S7_Pfiiiiiiiiiiiiii15HIP_vector_typeIjLj3EESA_ ; -- Begin function _ZL13mul_mat_f_idsI15__hip_bfloat162Li32ELi13ELi3EEvPKT_PKfPKiS7_S7_Pfiiiiiiiiiiiiii15HIP_vector_typeIjLj3EESA_
	.p2align	8
	.type	_ZL13mul_mat_f_idsI15__hip_bfloat162Li32ELi13ELi3EEvPKT_PKfPKiS7_S7_Pfiiiiiiiiiiiiii15HIP_vector_typeIjLj3EESA_,@function
_ZL13mul_mat_f_idsI15__hip_bfloat162Li32ELi13ELi3EEvPKT_PKfPKiS7_S7_Pfiiiiiiiiiiiiii15HIP_vector_typeIjLj3EESA_: ; @_ZL13mul_mat_f_idsI15__hip_bfloat162Li32ELi13ELi3EEvPKT_PKfPKiS7_S7_Pfiiiiiiiiiiiiii15HIP_vector_typeIjLj3EESA_
; %bb.0:
	s_add_u32 flat_scratch_lo, s6, s9
	s_addc_u32 flat_scratch_hi, s7, 0
	s_add_u32 s0, s0, s9
	s_addc_u32 s1, s1, 0
	s_add_u32 s8, s4, 0x80
	s_addc_u32 s9, s5, 0
	s_getpc_b64 s[4:5]
	s_add_u32 s4, s4, __FUNCTION__._ZL13mul_mat_f_idsIfLi32ELi13ELi1EEvPKT_PKfPKiS6_S6_Pfiiiiiiiiiiiiii15HIP_vector_typeIjLj3EES9_@rel32@lo+4
	s_addc_u32 s5, s5, __FUNCTION__._ZL13mul_mat_f_idsIfLi32ELi13ELi1EEvPKT_PKfPKiS6_S6_Pfiiiiiiiiiiiiii15HIP_vector_typeIjLj3EES9_@rel32@hi+12
	v_mov_b32_e32 v0, 0x13b
	v_mov_b32_e32 v1, s4
	;; [unrolled: 1-line block ×3, first 2 shown]
	s_mov_b32 s32, 0
	s_getpc_b64 s[6:7]
	s_add_u32 s6, s6, _ZL14no_device_codePKciS0_iS0_@rel32@lo+4
	s_addc_u32 s7, s7, _ZL14no_device_codePKciS0_iS0_@rel32@hi+12
	s_swappc_b64 s[30:31], s[6:7]
	.section	.rodata,"a",@progbits
	.p2align	6, 0x0
	.amdhsa_kernel _ZL13mul_mat_f_idsI15__hip_bfloat162Li32ELi13ELi3EEvPKT_PKfPKiS7_S7_Pfiiiiiiiiiiiiii15HIP_vector_typeIjLj3EESA_
		.amdhsa_group_segment_fixed_size 0
		.amdhsa_private_segment_fixed_size 16
		.amdhsa_kernarg_size 384
		.amdhsa_user_sgpr_count 8
		.amdhsa_user_sgpr_private_segment_buffer 1
		.amdhsa_user_sgpr_dispatch_ptr 0
		.amdhsa_user_sgpr_queue_ptr 0
		.amdhsa_user_sgpr_kernarg_segment_ptr 1
		.amdhsa_user_sgpr_dispatch_id 0
		.amdhsa_user_sgpr_flat_scratch_init 1
		.amdhsa_user_sgpr_kernarg_preload_length 0
		.amdhsa_user_sgpr_kernarg_preload_offset 0
		.amdhsa_user_sgpr_private_segment_size 0
		.amdhsa_uses_dynamic_stack 0
		.amdhsa_system_sgpr_private_segment_wavefront_offset 1
		.amdhsa_system_sgpr_workgroup_id_x 1
		.amdhsa_system_sgpr_workgroup_id_y 0
		.amdhsa_system_sgpr_workgroup_id_z 0
		.amdhsa_system_sgpr_workgroup_info 0
		.amdhsa_system_vgpr_workitem_id 0
		.amdhsa_next_free_vgpr 41
		.amdhsa_next_free_sgpr 34
		.amdhsa_accum_offset 44
		.amdhsa_reserve_vcc 1
		.amdhsa_reserve_flat_scratch 1
		.amdhsa_float_round_mode_32 0
		.amdhsa_float_round_mode_16_64 0
		.amdhsa_float_denorm_mode_32 3
		.amdhsa_float_denorm_mode_16_64 3
		.amdhsa_dx10_clamp 1
		.amdhsa_ieee_mode 1
		.amdhsa_fp16_overflow 0
		.amdhsa_tg_split 0
		.amdhsa_exception_fp_ieee_invalid_op 0
		.amdhsa_exception_fp_denorm_src 0
		.amdhsa_exception_fp_ieee_div_zero 0
		.amdhsa_exception_fp_ieee_overflow 0
		.amdhsa_exception_fp_ieee_underflow 0
		.amdhsa_exception_fp_ieee_inexact 0
		.amdhsa_exception_int_div_zero 0
	.end_amdhsa_kernel
	.section	.text._ZL13mul_mat_f_idsI15__hip_bfloat162Li32ELi13ELi3EEvPKT_PKfPKiS7_S7_Pfiiiiiiiiiiiiii15HIP_vector_typeIjLj3EESA_,"axG",@progbits,_ZL13mul_mat_f_idsI15__hip_bfloat162Li32ELi13ELi3EEvPKT_PKfPKiS7_S7_Pfiiiiiiiiiiiiii15HIP_vector_typeIjLj3EESA_,comdat
.Lfunc_end57:
	.size	_ZL13mul_mat_f_idsI15__hip_bfloat162Li32ELi13ELi3EEvPKT_PKfPKiS7_S7_Pfiiiiiiiiiiiiii15HIP_vector_typeIjLj3EESA_, .Lfunc_end57-_ZL13mul_mat_f_idsI15__hip_bfloat162Li32ELi13ELi3EEvPKT_PKfPKiS7_S7_Pfiiiiiiiiiiiiii15HIP_vector_typeIjLj3EESA_
                                        ; -- End function
	.section	.AMDGPU.csdata,"",@progbits
; Kernel info:
; codeLenInByte = 92
; NumSgprs: 40
; NumVgprs: 41
; NumAgprs: 0
; TotalNumVgprs: 41
; ScratchSize: 16
; MemoryBound: 0
; FloatMode: 240
; IeeeMode: 1
; LDSByteSize: 0 bytes/workgroup (compile time only)
; SGPRBlocks: 4
; VGPRBlocks: 5
; NumSGPRsForWavesPerEU: 40
; NumVGPRsForWavesPerEU: 41
; AccumOffset: 44
; Occupancy: 8
; WaveLimiterHint : 1
; COMPUTE_PGM_RSRC2:SCRATCH_EN: 1
; COMPUTE_PGM_RSRC2:USER_SGPR: 8
; COMPUTE_PGM_RSRC2:TRAP_HANDLER: 0
; COMPUTE_PGM_RSRC2:TGID_X_EN: 1
; COMPUTE_PGM_RSRC2:TGID_Y_EN: 0
; COMPUTE_PGM_RSRC2:TGID_Z_EN: 0
; COMPUTE_PGM_RSRC2:TIDIG_COMP_CNT: 0
; COMPUTE_PGM_RSRC3_GFX90A:ACCUM_OFFSET: 10
; COMPUTE_PGM_RSRC3_GFX90A:TG_SPLIT: 0
	.section	.text._ZL9mul_mat_fI15__hip_bfloat162Li32ELi13ELi3ELb1EEvPKT_PKfPKiPfiiiiiiiiiiiiiiii,"axG",@progbits,_ZL9mul_mat_fI15__hip_bfloat162Li32ELi13ELi3ELb1EEvPKT_PKfPKiPfiiiiiiiiiiiiiiii,comdat
	.globl	_ZL9mul_mat_fI15__hip_bfloat162Li32ELi13ELi3ELb1EEvPKT_PKfPKiPfiiiiiiiiiiiiiiii ; -- Begin function _ZL9mul_mat_fI15__hip_bfloat162Li32ELi13ELi3ELb1EEvPKT_PKfPKiPfiiiiiiiiiiiiiiii
	.p2align	8
	.type	_ZL9mul_mat_fI15__hip_bfloat162Li32ELi13ELi3ELb1EEvPKT_PKfPKiPfiiiiiiiiiiiiiiii,@function
_ZL9mul_mat_fI15__hip_bfloat162Li32ELi13ELi3ELb1EEvPKT_PKfPKiPfiiiiiiiiiiiiiiii: ; @_ZL9mul_mat_fI15__hip_bfloat162Li32ELi13ELi3ELb1EEvPKT_PKfPKiPfiiiiiiiiiiiiiiii
; %bb.0:
	s_add_u32 flat_scratch_lo, s6, s9
	s_addc_u32 flat_scratch_hi, s7, 0
	s_add_u32 s0, s0, s9
	s_addc_u32 s1, s1, 0
	s_add_u32 s8, s4, 0x60
	s_addc_u32 s9, s5, 0
	s_getpc_b64 s[4:5]
	s_add_u32 s4, s4, __FUNCTION__._ZL9mul_mat_fIfLi32ELi13ELi1ELb1EEvPKT_PKfPKiPfiiiiiiiiiiiiiiii@rel32@lo+4
	s_addc_u32 s5, s5, __FUNCTION__._ZL9mul_mat_fIfLi32ELi13ELi1ELb1EEvPKT_PKfPKiPfiiiiiiiiiiiiiiii@rel32@hi+12
	v_mov_b32_e32 v0, 64
	v_mov_b32_e32 v1, s4
	;; [unrolled: 1-line block ×3, first 2 shown]
	s_mov_b32 s32, 0
	s_getpc_b64 s[6:7]
	s_add_u32 s6, s6, _ZL14no_device_codePKciS0_iS0_@rel32@lo+4
	s_addc_u32 s7, s7, _ZL14no_device_codePKciS0_iS0_@rel32@hi+12
	s_swappc_b64 s[30:31], s[6:7]
	.section	.rodata,"a",@progbits
	.p2align	6, 0x0
	.amdhsa_kernel _ZL9mul_mat_fI15__hip_bfloat162Li32ELi13ELi3ELb1EEvPKT_PKfPKiPfiiiiiiiiiiiiiiii
		.amdhsa_group_segment_fixed_size 0
		.amdhsa_private_segment_fixed_size 16
		.amdhsa_kernarg_size 352
		.amdhsa_user_sgpr_count 8
		.amdhsa_user_sgpr_private_segment_buffer 1
		.amdhsa_user_sgpr_dispatch_ptr 0
		.amdhsa_user_sgpr_queue_ptr 0
		.amdhsa_user_sgpr_kernarg_segment_ptr 1
		.amdhsa_user_sgpr_dispatch_id 0
		.amdhsa_user_sgpr_flat_scratch_init 1
		.amdhsa_user_sgpr_kernarg_preload_length 0
		.amdhsa_user_sgpr_kernarg_preload_offset 0
		.amdhsa_user_sgpr_private_segment_size 0
		.amdhsa_uses_dynamic_stack 0
		.amdhsa_system_sgpr_private_segment_wavefront_offset 1
		.amdhsa_system_sgpr_workgroup_id_x 1
		.amdhsa_system_sgpr_workgroup_id_y 0
		.amdhsa_system_sgpr_workgroup_id_z 0
		.amdhsa_system_sgpr_workgroup_info 0
		.amdhsa_system_vgpr_workitem_id 0
		.amdhsa_next_free_vgpr 41
		.amdhsa_next_free_sgpr 34
		.amdhsa_accum_offset 44
		.amdhsa_reserve_vcc 1
		.amdhsa_reserve_flat_scratch 1
		.amdhsa_float_round_mode_32 0
		.amdhsa_float_round_mode_16_64 0
		.amdhsa_float_denorm_mode_32 3
		.amdhsa_float_denorm_mode_16_64 3
		.amdhsa_dx10_clamp 1
		.amdhsa_ieee_mode 1
		.amdhsa_fp16_overflow 0
		.amdhsa_tg_split 0
		.amdhsa_exception_fp_ieee_invalid_op 0
		.amdhsa_exception_fp_denorm_src 0
		.amdhsa_exception_fp_ieee_div_zero 0
		.amdhsa_exception_fp_ieee_overflow 0
		.amdhsa_exception_fp_ieee_underflow 0
		.amdhsa_exception_fp_ieee_inexact 0
		.amdhsa_exception_int_div_zero 0
	.end_amdhsa_kernel
	.section	.text._ZL9mul_mat_fI15__hip_bfloat162Li32ELi13ELi3ELb1EEvPKT_PKfPKiPfiiiiiiiiiiiiiiii,"axG",@progbits,_ZL9mul_mat_fI15__hip_bfloat162Li32ELi13ELi3ELb1EEvPKT_PKfPKiPfiiiiiiiiiiiiiiii,comdat
.Lfunc_end58:
	.size	_ZL9mul_mat_fI15__hip_bfloat162Li32ELi13ELi3ELb1EEvPKT_PKfPKiPfiiiiiiiiiiiiiiii, .Lfunc_end58-_ZL9mul_mat_fI15__hip_bfloat162Li32ELi13ELi3ELb1EEvPKT_PKfPKiPfiiiiiiiiiiiiiiii
                                        ; -- End function
	.section	.AMDGPU.csdata,"",@progbits
; Kernel info:
; codeLenInByte = 88
; NumSgprs: 40
; NumVgprs: 41
; NumAgprs: 0
; TotalNumVgprs: 41
; ScratchSize: 16
; MemoryBound: 0
; FloatMode: 240
; IeeeMode: 1
; LDSByteSize: 0 bytes/workgroup (compile time only)
; SGPRBlocks: 4
; VGPRBlocks: 5
; NumSGPRsForWavesPerEU: 40
; NumVGPRsForWavesPerEU: 41
; AccumOffset: 44
; Occupancy: 8
; WaveLimiterHint : 1
; COMPUTE_PGM_RSRC2:SCRATCH_EN: 1
; COMPUTE_PGM_RSRC2:USER_SGPR: 8
; COMPUTE_PGM_RSRC2:TRAP_HANDLER: 0
; COMPUTE_PGM_RSRC2:TGID_X_EN: 1
; COMPUTE_PGM_RSRC2:TGID_Y_EN: 0
; COMPUTE_PGM_RSRC2:TGID_Z_EN: 0
; COMPUTE_PGM_RSRC2:TIDIG_COMP_CNT: 0
; COMPUTE_PGM_RSRC3_GFX90A:ACCUM_OFFSET: 10
; COMPUTE_PGM_RSRC3_GFX90A:TG_SPLIT: 0
	.section	.text._ZL9mul_mat_fI15__hip_bfloat162Li32ELi13ELi3ELb0EEvPKT_PKfPKiPfiiiiiiiiiiiiiiii,"axG",@progbits,_ZL9mul_mat_fI15__hip_bfloat162Li32ELi13ELi3ELb0EEvPKT_PKfPKiPfiiiiiiiiiiiiiiii,comdat
	.globl	_ZL9mul_mat_fI15__hip_bfloat162Li32ELi13ELi3ELb0EEvPKT_PKfPKiPfiiiiiiiiiiiiiiii ; -- Begin function _ZL9mul_mat_fI15__hip_bfloat162Li32ELi13ELi3ELb0EEvPKT_PKfPKiPfiiiiiiiiiiiiiiii
	.p2align	8
	.type	_ZL9mul_mat_fI15__hip_bfloat162Li32ELi13ELi3ELb0EEvPKT_PKfPKiPfiiiiiiiiiiiiiiii,@function
_ZL9mul_mat_fI15__hip_bfloat162Li32ELi13ELi3ELb0EEvPKT_PKfPKiPfiiiiiiiiiiiiiiii: ; @_ZL9mul_mat_fI15__hip_bfloat162Li32ELi13ELi3ELb0EEvPKT_PKfPKiPfiiiiiiiiiiiiiiii
; %bb.0:
	s_add_u32 flat_scratch_lo, s6, s9
	s_addc_u32 flat_scratch_hi, s7, 0
	s_add_u32 s0, s0, s9
	s_addc_u32 s1, s1, 0
	s_add_u32 s8, s4, 0x60
	s_addc_u32 s9, s5, 0
	s_getpc_b64 s[4:5]
	s_add_u32 s4, s4, __FUNCTION__._ZL9mul_mat_fIfLi32ELi13ELi1ELb1EEvPKT_PKfPKiPfiiiiiiiiiiiiiiii@rel32@lo+4
	s_addc_u32 s5, s5, __FUNCTION__._ZL9mul_mat_fIfLi32ELi13ELi1ELb1EEvPKT_PKfPKiPfiiiiiiiiiiiiiiii@rel32@hi+12
	v_mov_b32_e32 v0, 64
	v_mov_b32_e32 v1, s4
	;; [unrolled: 1-line block ×3, first 2 shown]
	s_mov_b32 s32, 0
	s_getpc_b64 s[6:7]
	s_add_u32 s6, s6, _ZL14no_device_codePKciS0_iS0_@rel32@lo+4
	s_addc_u32 s7, s7, _ZL14no_device_codePKciS0_iS0_@rel32@hi+12
	s_swappc_b64 s[30:31], s[6:7]
	.section	.rodata,"a",@progbits
	.p2align	6, 0x0
	.amdhsa_kernel _ZL9mul_mat_fI15__hip_bfloat162Li32ELi13ELi3ELb0EEvPKT_PKfPKiPfiiiiiiiiiiiiiiii
		.amdhsa_group_segment_fixed_size 0
		.amdhsa_private_segment_fixed_size 16
		.amdhsa_kernarg_size 352
		.amdhsa_user_sgpr_count 8
		.amdhsa_user_sgpr_private_segment_buffer 1
		.amdhsa_user_sgpr_dispatch_ptr 0
		.amdhsa_user_sgpr_queue_ptr 0
		.amdhsa_user_sgpr_kernarg_segment_ptr 1
		.amdhsa_user_sgpr_dispatch_id 0
		.amdhsa_user_sgpr_flat_scratch_init 1
		.amdhsa_user_sgpr_kernarg_preload_length 0
		.amdhsa_user_sgpr_kernarg_preload_offset 0
		.amdhsa_user_sgpr_private_segment_size 0
		.amdhsa_uses_dynamic_stack 0
		.amdhsa_system_sgpr_private_segment_wavefront_offset 1
		.amdhsa_system_sgpr_workgroup_id_x 1
		.amdhsa_system_sgpr_workgroup_id_y 0
		.amdhsa_system_sgpr_workgroup_id_z 0
		.amdhsa_system_sgpr_workgroup_info 0
		.amdhsa_system_vgpr_workitem_id 0
		.amdhsa_next_free_vgpr 41
		.amdhsa_next_free_sgpr 34
		.amdhsa_accum_offset 44
		.amdhsa_reserve_vcc 1
		.amdhsa_reserve_flat_scratch 1
		.amdhsa_float_round_mode_32 0
		.amdhsa_float_round_mode_16_64 0
		.amdhsa_float_denorm_mode_32 3
		.amdhsa_float_denorm_mode_16_64 3
		.amdhsa_dx10_clamp 1
		.amdhsa_ieee_mode 1
		.amdhsa_fp16_overflow 0
		.amdhsa_tg_split 0
		.amdhsa_exception_fp_ieee_invalid_op 0
		.amdhsa_exception_fp_denorm_src 0
		.amdhsa_exception_fp_ieee_div_zero 0
		.amdhsa_exception_fp_ieee_overflow 0
		.amdhsa_exception_fp_ieee_underflow 0
		.amdhsa_exception_fp_ieee_inexact 0
		.amdhsa_exception_int_div_zero 0
	.end_amdhsa_kernel
	.section	.text._ZL9mul_mat_fI15__hip_bfloat162Li32ELi13ELi3ELb0EEvPKT_PKfPKiPfiiiiiiiiiiiiiiii,"axG",@progbits,_ZL9mul_mat_fI15__hip_bfloat162Li32ELi13ELi3ELb0EEvPKT_PKfPKiPfiiiiiiiiiiiiiiii,comdat
.Lfunc_end59:
	.size	_ZL9mul_mat_fI15__hip_bfloat162Li32ELi13ELi3ELb0EEvPKT_PKfPKiPfiiiiiiiiiiiiiiii, .Lfunc_end59-_ZL9mul_mat_fI15__hip_bfloat162Li32ELi13ELi3ELb0EEvPKT_PKfPKiPfiiiiiiiiiiiiiiii
                                        ; -- End function
	.section	.AMDGPU.csdata,"",@progbits
; Kernel info:
; codeLenInByte = 88
; NumSgprs: 40
; NumVgprs: 41
; NumAgprs: 0
; TotalNumVgprs: 41
; ScratchSize: 16
; MemoryBound: 0
; FloatMode: 240
; IeeeMode: 1
; LDSByteSize: 0 bytes/workgroup (compile time only)
; SGPRBlocks: 4
; VGPRBlocks: 5
; NumSGPRsForWavesPerEU: 40
; NumVGPRsForWavesPerEU: 41
; AccumOffset: 44
; Occupancy: 8
; WaveLimiterHint : 1
; COMPUTE_PGM_RSRC2:SCRATCH_EN: 1
; COMPUTE_PGM_RSRC2:USER_SGPR: 8
; COMPUTE_PGM_RSRC2:TRAP_HANDLER: 0
; COMPUTE_PGM_RSRC2:TGID_X_EN: 1
; COMPUTE_PGM_RSRC2:TGID_Y_EN: 0
; COMPUTE_PGM_RSRC2:TGID_Z_EN: 0
; COMPUTE_PGM_RSRC2:TIDIG_COMP_CNT: 0
; COMPUTE_PGM_RSRC3_GFX90A:ACCUM_OFFSET: 10
; COMPUTE_PGM_RSRC3_GFX90A:TG_SPLIT: 0
	.section	.text._ZL13mul_mat_f_idsI15__hip_bfloat162Li32ELi13ELi4EEvPKT_PKfPKiS7_S7_Pfiiiiiiiiiiiiii15HIP_vector_typeIjLj3EESA_,"axG",@progbits,_ZL13mul_mat_f_idsI15__hip_bfloat162Li32ELi13ELi4EEvPKT_PKfPKiS7_S7_Pfiiiiiiiiiiiiii15HIP_vector_typeIjLj3EESA_,comdat
	.globl	_ZL13mul_mat_f_idsI15__hip_bfloat162Li32ELi13ELi4EEvPKT_PKfPKiS7_S7_Pfiiiiiiiiiiiiii15HIP_vector_typeIjLj3EESA_ ; -- Begin function _ZL13mul_mat_f_idsI15__hip_bfloat162Li32ELi13ELi4EEvPKT_PKfPKiS7_S7_Pfiiiiiiiiiiiiii15HIP_vector_typeIjLj3EESA_
	.p2align	8
	.type	_ZL13mul_mat_f_idsI15__hip_bfloat162Li32ELi13ELi4EEvPKT_PKfPKiS7_S7_Pfiiiiiiiiiiiiii15HIP_vector_typeIjLj3EESA_,@function
_ZL13mul_mat_f_idsI15__hip_bfloat162Li32ELi13ELi4EEvPKT_PKfPKiS7_S7_Pfiiiiiiiiiiiiii15HIP_vector_typeIjLj3EESA_: ; @_ZL13mul_mat_f_idsI15__hip_bfloat162Li32ELi13ELi4EEvPKT_PKfPKiS7_S7_Pfiiiiiiiiiiiiii15HIP_vector_typeIjLj3EESA_
; %bb.0:
	s_add_u32 flat_scratch_lo, s6, s9
	s_addc_u32 flat_scratch_hi, s7, 0
	s_add_u32 s0, s0, s9
	s_addc_u32 s1, s1, 0
	s_add_u32 s8, s4, 0x80
	s_addc_u32 s9, s5, 0
	s_getpc_b64 s[4:5]
	s_add_u32 s4, s4, __FUNCTION__._ZL13mul_mat_f_idsIfLi32ELi13ELi1EEvPKT_PKfPKiS6_S6_Pfiiiiiiiiiiiiii15HIP_vector_typeIjLj3EES9_@rel32@lo+4
	s_addc_u32 s5, s5, __FUNCTION__._ZL13mul_mat_f_idsIfLi32ELi13ELi1EEvPKT_PKfPKiS6_S6_Pfiiiiiiiiiiiiii15HIP_vector_typeIjLj3EES9_@rel32@hi+12
	v_mov_b32_e32 v0, 0x13b
	v_mov_b32_e32 v1, s4
	;; [unrolled: 1-line block ×3, first 2 shown]
	s_mov_b32 s32, 0
	s_getpc_b64 s[6:7]
	s_add_u32 s6, s6, _ZL14no_device_codePKciS0_iS0_@rel32@lo+4
	s_addc_u32 s7, s7, _ZL14no_device_codePKciS0_iS0_@rel32@hi+12
	s_swappc_b64 s[30:31], s[6:7]
	.section	.rodata,"a",@progbits
	.p2align	6, 0x0
	.amdhsa_kernel _ZL13mul_mat_f_idsI15__hip_bfloat162Li32ELi13ELi4EEvPKT_PKfPKiS7_S7_Pfiiiiiiiiiiiiii15HIP_vector_typeIjLj3EESA_
		.amdhsa_group_segment_fixed_size 0
		.amdhsa_private_segment_fixed_size 16
		.amdhsa_kernarg_size 384
		.amdhsa_user_sgpr_count 8
		.amdhsa_user_sgpr_private_segment_buffer 1
		.amdhsa_user_sgpr_dispatch_ptr 0
		.amdhsa_user_sgpr_queue_ptr 0
		.amdhsa_user_sgpr_kernarg_segment_ptr 1
		.amdhsa_user_sgpr_dispatch_id 0
		.amdhsa_user_sgpr_flat_scratch_init 1
		.amdhsa_user_sgpr_kernarg_preload_length 0
		.amdhsa_user_sgpr_kernarg_preload_offset 0
		.amdhsa_user_sgpr_private_segment_size 0
		.amdhsa_uses_dynamic_stack 0
		.amdhsa_system_sgpr_private_segment_wavefront_offset 1
		.amdhsa_system_sgpr_workgroup_id_x 1
		.amdhsa_system_sgpr_workgroup_id_y 0
		.amdhsa_system_sgpr_workgroup_id_z 0
		.amdhsa_system_sgpr_workgroup_info 0
		.amdhsa_system_vgpr_workitem_id 0
		.amdhsa_next_free_vgpr 41
		.amdhsa_next_free_sgpr 34
		.amdhsa_accum_offset 44
		.amdhsa_reserve_vcc 1
		.amdhsa_reserve_flat_scratch 1
		.amdhsa_float_round_mode_32 0
		.amdhsa_float_round_mode_16_64 0
		.amdhsa_float_denorm_mode_32 3
		.amdhsa_float_denorm_mode_16_64 3
		.amdhsa_dx10_clamp 1
		.amdhsa_ieee_mode 1
		.amdhsa_fp16_overflow 0
		.amdhsa_tg_split 0
		.amdhsa_exception_fp_ieee_invalid_op 0
		.amdhsa_exception_fp_denorm_src 0
		.amdhsa_exception_fp_ieee_div_zero 0
		.amdhsa_exception_fp_ieee_overflow 0
		.amdhsa_exception_fp_ieee_underflow 0
		.amdhsa_exception_fp_ieee_inexact 0
		.amdhsa_exception_int_div_zero 0
	.end_amdhsa_kernel
	.section	.text._ZL13mul_mat_f_idsI15__hip_bfloat162Li32ELi13ELi4EEvPKT_PKfPKiS7_S7_Pfiiiiiiiiiiiiii15HIP_vector_typeIjLj3EESA_,"axG",@progbits,_ZL13mul_mat_f_idsI15__hip_bfloat162Li32ELi13ELi4EEvPKT_PKfPKiS7_S7_Pfiiiiiiiiiiiiii15HIP_vector_typeIjLj3EESA_,comdat
.Lfunc_end60:
	.size	_ZL13mul_mat_f_idsI15__hip_bfloat162Li32ELi13ELi4EEvPKT_PKfPKiS7_S7_Pfiiiiiiiiiiiiii15HIP_vector_typeIjLj3EESA_, .Lfunc_end60-_ZL13mul_mat_f_idsI15__hip_bfloat162Li32ELi13ELi4EEvPKT_PKfPKiS7_S7_Pfiiiiiiiiiiiiii15HIP_vector_typeIjLj3EESA_
                                        ; -- End function
	.section	.AMDGPU.csdata,"",@progbits
; Kernel info:
; codeLenInByte = 92
; NumSgprs: 40
; NumVgprs: 41
; NumAgprs: 0
; TotalNumVgprs: 41
; ScratchSize: 16
; MemoryBound: 0
; FloatMode: 240
; IeeeMode: 1
; LDSByteSize: 0 bytes/workgroup (compile time only)
; SGPRBlocks: 4
; VGPRBlocks: 5
; NumSGPRsForWavesPerEU: 40
; NumVGPRsForWavesPerEU: 41
; AccumOffset: 44
; Occupancy: 8
; WaveLimiterHint : 1
; COMPUTE_PGM_RSRC2:SCRATCH_EN: 1
; COMPUTE_PGM_RSRC2:USER_SGPR: 8
; COMPUTE_PGM_RSRC2:TRAP_HANDLER: 0
; COMPUTE_PGM_RSRC2:TGID_X_EN: 1
; COMPUTE_PGM_RSRC2:TGID_Y_EN: 0
; COMPUTE_PGM_RSRC2:TGID_Z_EN: 0
; COMPUTE_PGM_RSRC2:TIDIG_COMP_CNT: 0
; COMPUTE_PGM_RSRC3_GFX90A:ACCUM_OFFSET: 10
; COMPUTE_PGM_RSRC3_GFX90A:TG_SPLIT: 0
	.section	.text._ZL9mul_mat_fI15__hip_bfloat162Li32ELi13ELi4ELb1EEvPKT_PKfPKiPfiiiiiiiiiiiiiiii,"axG",@progbits,_ZL9mul_mat_fI15__hip_bfloat162Li32ELi13ELi4ELb1EEvPKT_PKfPKiPfiiiiiiiiiiiiiiii,comdat
	.globl	_ZL9mul_mat_fI15__hip_bfloat162Li32ELi13ELi4ELb1EEvPKT_PKfPKiPfiiiiiiiiiiiiiiii ; -- Begin function _ZL9mul_mat_fI15__hip_bfloat162Li32ELi13ELi4ELb1EEvPKT_PKfPKiPfiiiiiiiiiiiiiiii
	.p2align	8
	.type	_ZL9mul_mat_fI15__hip_bfloat162Li32ELi13ELi4ELb1EEvPKT_PKfPKiPfiiiiiiiiiiiiiiii,@function
_ZL9mul_mat_fI15__hip_bfloat162Li32ELi13ELi4ELb1EEvPKT_PKfPKiPfiiiiiiiiiiiiiiii: ; @_ZL9mul_mat_fI15__hip_bfloat162Li32ELi13ELi4ELb1EEvPKT_PKfPKiPfiiiiiiiiiiiiiiii
; %bb.0:
	s_add_u32 flat_scratch_lo, s6, s9
	s_addc_u32 flat_scratch_hi, s7, 0
	s_add_u32 s0, s0, s9
	s_addc_u32 s1, s1, 0
	s_add_u32 s8, s4, 0x60
	s_addc_u32 s9, s5, 0
	s_getpc_b64 s[4:5]
	s_add_u32 s4, s4, __FUNCTION__._ZL9mul_mat_fIfLi32ELi13ELi1ELb1EEvPKT_PKfPKiPfiiiiiiiiiiiiiiii@rel32@lo+4
	s_addc_u32 s5, s5, __FUNCTION__._ZL9mul_mat_fIfLi32ELi13ELi1ELb1EEvPKT_PKfPKiPfiiiiiiiiiiiiiiii@rel32@hi+12
	v_mov_b32_e32 v0, 64
	v_mov_b32_e32 v1, s4
	;; [unrolled: 1-line block ×3, first 2 shown]
	s_mov_b32 s32, 0
	s_getpc_b64 s[6:7]
	s_add_u32 s6, s6, _ZL14no_device_codePKciS0_iS0_@rel32@lo+4
	s_addc_u32 s7, s7, _ZL14no_device_codePKciS0_iS0_@rel32@hi+12
	s_swappc_b64 s[30:31], s[6:7]
	.section	.rodata,"a",@progbits
	.p2align	6, 0x0
	.amdhsa_kernel _ZL9mul_mat_fI15__hip_bfloat162Li32ELi13ELi4ELb1EEvPKT_PKfPKiPfiiiiiiiiiiiiiiii
		.amdhsa_group_segment_fixed_size 0
		.amdhsa_private_segment_fixed_size 16
		.amdhsa_kernarg_size 352
		.amdhsa_user_sgpr_count 8
		.amdhsa_user_sgpr_private_segment_buffer 1
		.amdhsa_user_sgpr_dispatch_ptr 0
		.amdhsa_user_sgpr_queue_ptr 0
		.amdhsa_user_sgpr_kernarg_segment_ptr 1
		.amdhsa_user_sgpr_dispatch_id 0
		.amdhsa_user_sgpr_flat_scratch_init 1
		.amdhsa_user_sgpr_kernarg_preload_length 0
		.amdhsa_user_sgpr_kernarg_preload_offset 0
		.amdhsa_user_sgpr_private_segment_size 0
		.amdhsa_uses_dynamic_stack 0
		.amdhsa_system_sgpr_private_segment_wavefront_offset 1
		.amdhsa_system_sgpr_workgroup_id_x 1
		.amdhsa_system_sgpr_workgroup_id_y 0
		.amdhsa_system_sgpr_workgroup_id_z 0
		.amdhsa_system_sgpr_workgroup_info 0
		.amdhsa_system_vgpr_workitem_id 0
		.amdhsa_next_free_vgpr 41
		.amdhsa_next_free_sgpr 34
		.amdhsa_accum_offset 44
		.amdhsa_reserve_vcc 1
		.amdhsa_reserve_flat_scratch 1
		.amdhsa_float_round_mode_32 0
		.amdhsa_float_round_mode_16_64 0
		.amdhsa_float_denorm_mode_32 3
		.amdhsa_float_denorm_mode_16_64 3
		.amdhsa_dx10_clamp 1
		.amdhsa_ieee_mode 1
		.amdhsa_fp16_overflow 0
		.amdhsa_tg_split 0
		.amdhsa_exception_fp_ieee_invalid_op 0
		.amdhsa_exception_fp_denorm_src 0
		.amdhsa_exception_fp_ieee_div_zero 0
		.amdhsa_exception_fp_ieee_overflow 0
		.amdhsa_exception_fp_ieee_underflow 0
		.amdhsa_exception_fp_ieee_inexact 0
		.amdhsa_exception_int_div_zero 0
	.end_amdhsa_kernel
	.section	.text._ZL9mul_mat_fI15__hip_bfloat162Li32ELi13ELi4ELb1EEvPKT_PKfPKiPfiiiiiiiiiiiiiiii,"axG",@progbits,_ZL9mul_mat_fI15__hip_bfloat162Li32ELi13ELi4ELb1EEvPKT_PKfPKiPfiiiiiiiiiiiiiiii,comdat
.Lfunc_end61:
	.size	_ZL9mul_mat_fI15__hip_bfloat162Li32ELi13ELi4ELb1EEvPKT_PKfPKiPfiiiiiiiiiiiiiiii, .Lfunc_end61-_ZL9mul_mat_fI15__hip_bfloat162Li32ELi13ELi4ELb1EEvPKT_PKfPKiPfiiiiiiiiiiiiiiii
                                        ; -- End function
	.section	.AMDGPU.csdata,"",@progbits
; Kernel info:
; codeLenInByte = 88
; NumSgprs: 40
; NumVgprs: 41
; NumAgprs: 0
; TotalNumVgprs: 41
; ScratchSize: 16
; MemoryBound: 0
; FloatMode: 240
; IeeeMode: 1
; LDSByteSize: 0 bytes/workgroup (compile time only)
; SGPRBlocks: 4
; VGPRBlocks: 5
; NumSGPRsForWavesPerEU: 40
; NumVGPRsForWavesPerEU: 41
; AccumOffset: 44
; Occupancy: 8
; WaveLimiterHint : 1
; COMPUTE_PGM_RSRC2:SCRATCH_EN: 1
; COMPUTE_PGM_RSRC2:USER_SGPR: 8
; COMPUTE_PGM_RSRC2:TRAP_HANDLER: 0
; COMPUTE_PGM_RSRC2:TGID_X_EN: 1
; COMPUTE_PGM_RSRC2:TGID_Y_EN: 0
; COMPUTE_PGM_RSRC2:TGID_Z_EN: 0
; COMPUTE_PGM_RSRC2:TIDIG_COMP_CNT: 0
; COMPUTE_PGM_RSRC3_GFX90A:ACCUM_OFFSET: 10
; COMPUTE_PGM_RSRC3_GFX90A:TG_SPLIT: 0
	.section	.text._ZL9mul_mat_fI15__hip_bfloat162Li32ELi13ELi4ELb0EEvPKT_PKfPKiPfiiiiiiiiiiiiiiii,"axG",@progbits,_ZL9mul_mat_fI15__hip_bfloat162Li32ELi13ELi4ELb0EEvPKT_PKfPKiPfiiiiiiiiiiiiiiii,comdat
	.globl	_ZL9mul_mat_fI15__hip_bfloat162Li32ELi13ELi4ELb0EEvPKT_PKfPKiPfiiiiiiiiiiiiiiii ; -- Begin function _ZL9mul_mat_fI15__hip_bfloat162Li32ELi13ELi4ELb0EEvPKT_PKfPKiPfiiiiiiiiiiiiiiii
	.p2align	8
	.type	_ZL9mul_mat_fI15__hip_bfloat162Li32ELi13ELi4ELb0EEvPKT_PKfPKiPfiiiiiiiiiiiiiiii,@function
_ZL9mul_mat_fI15__hip_bfloat162Li32ELi13ELi4ELb0EEvPKT_PKfPKiPfiiiiiiiiiiiiiiii: ; @_ZL9mul_mat_fI15__hip_bfloat162Li32ELi13ELi4ELb0EEvPKT_PKfPKiPfiiiiiiiiiiiiiiii
; %bb.0:
	s_add_u32 flat_scratch_lo, s6, s9
	s_addc_u32 flat_scratch_hi, s7, 0
	s_add_u32 s0, s0, s9
	s_addc_u32 s1, s1, 0
	s_add_u32 s8, s4, 0x60
	s_addc_u32 s9, s5, 0
	s_getpc_b64 s[4:5]
	s_add_u32 s4, s4, __FUNCTION__._ZL9mul_mat_fIfLi32ELi13ELi1ELb1EEvPKT_PKfPKiPfiiiiiiiiiiiiiiii@rel32@lo+4
	s_addc_u32 s5, s5, __FUNCTION__._ZL9mul_mat_fIfLi32ELi13ELi1ELb1EEvPKT_PKfPKiPfiiiiiiiiiiiiiiii@rel32@hi+12
	v_mov_b32_e32 v0, 64
	v_mov_b32_e32 v1, s4
	;; [unrolled: 1-line block ×3, first 2 shown]
	s_mov_b32 s32, 0
	s_getpc_b64 s[6:7]
	s_add_u32 s6, s6, _ZL14no_device_codePKciS0_iS0_@rel32@lo+4
	s_addc_u32 s7, s7, _ZL14no_device_codePKciS0_iS0_@rel32@hi+12
	s_swappc_b64 s[30:31], s[6:7]
	.section	.rodata,"a",@progbits
	.p2align	6, 0x0
	.amdhsa_kernel _ZL9mul_mat_fI15__hip_bfloat162Li32ELi13ELi4ELb0EEvPKT_PKfPKiPfiiiiiiiiiiiiiiii
		.amdhsa_group_segment_fixed_size 0
		.amdhsa_private_segment_fixed_size 16
		.amdhsa_kernarg_size 352
		.amdhsa_user_sgpr_count 8
		.amdhsa_user_sgpr_private_segment_buffer 1
		.amdhsa_user_sgpr_dispatch_ptr 0
		.amdhsa_user_sgpr_queue_ptr 0
		.amdhsa_user_sgpr_kernarg_segment_ptr 1
		.amdhsa_user_sgpr_dispatch_id 0
		.amdhsa_user_sgpr_flat_scratch_init 1
		.amdhsa_user_sgpr_kernarg_preload_length 0
		.amdhsa_user_sgpr_kernarg_preload_offset 0
		.amdhsa_user_sgpr_private_segment_size 0
		.amdhsa_uses_dynamic_stack 0
		.amdhsa_system_sgpr_private_segment_wavefront_offset 1
		.amdhsa_system_sgpr_workgroup_id_x 1
		.amdhsa_system_sgpr_workgroup_id_y 0
		.amdhsa_system_sgpr_workgroup_id_z 0
		.amdhsa_system_sgpr_workgroup_info 0
		.amdhsa_system_vgpr_workitem_id 0
		.amdhsa_next_free_vgpr 41
		.amdhsa_next_free_sgpr 34
		.amdhsa_accum_offset 44
		.amdhsa_reserve_vcc 1
		.amdhsa_reserve_flat_scratch 1
		.amdhsa_float_round_mode_32 0
		.amdhsa_float_round_mode_16_64 0
		.amdhsa_float_denorm_mode_32 3
		.amdhsa_float_denorm_mode_16_64 3
		.amdhsa_dx10_clamp 1
		.amdhsa_ieee_mode 1
		.amdhsa_fp16_overflow 0
		.amdhsa_tg_split 0
		.amdhsa_exception_fp_ieee_invalid_op 0
		.amdhsa_exception_fp_denorm_src 0
		.amdhsa_exception_fp_ieee_div_zero 0
		.amdhsa_exception_fp_ieee_overflow 0
		.amdhsa_exception_fp_ieee_underflow 0
		.amdhsa_exception_fp_ieee_inexact 0
		.amdhsa_exception_int_div_zero 0
	.end_amdhsa_kernel
	.section	.text._ZL9mul_mat_fI15__hip_bfloat162Li32ELi13ELi4ELb0EEvPKT_PKfPKiPfiiiiiiiiiiiiiiii,"axG",@progbits,_ZL9mul_mat_fI15__hip_bfloat162Li32ELi13ELi4ELb0EEvPKT_PKfPKiPfiiiiiiiiiiiiiiii,comdat
.Lfunc_end62:
	.size	_ZL9mul_mat_fI15__hip_bfloat162Li32ELi13ELi4ELb0EEvPKT_PKfPKiPfiiiiiiiiiiiiiiii, .Lfunc_end62-_ZL9mul_mat_fI15__hip_bfloat162Li32ELi13ELi4ELb0EEvPKT_PKfPKiPfiiiiiiiiiiiiiiii
                                        ; -- End function
	.section	.AMDGPU.csdata,"",@progbits
; Kernel info:
; codeLenInByte = 88
; NumSgprs: 40
; NumVgprs: 41
; NumAgprs: 0
; TotalNumVgprs: 41
; ScratchSize: 16
; MemoryBound: 0
; FloatMode: 240
; IeeeMode: 1
; LDSByteSize: 0 bytes/workgroup (compile time only)
; SGPRBlocks: 4
; VGPRBlocks: 5
; NumSGPRsForWavesPerEU: 40
; NumVGPRsForWavesPerEU: 41
; AccumOffset: 44
; Occupancy: 8
; WaveLimiterHint : 1
; COMPUTE_PGM_RSRC2:SCRATCH_EN: 1
; COMPUTE_PGM_RSRC2:USER_SGPR: 8
; COMPUTE_PGM_RSRC2:TRAP_HANDLER: 0
; COMPUTE_PGM_RSRC2:TGID_X_EN: 1
; COMPUTE_PGM_RSRC2:TGID_Y_EN: 0
; COMPUTE_PGM_RSRC2:TGID_Z_EN: 0
; COMPUTE_PGM_RSRC2:TIDIG_COMP_CNT: 0
; COMPUTE_PGM_RSRC3_GFX90A:ACCUM_OFFSET: 10
; COMPUTE_PGM_RSRC3_GFX90A:TG_SPLIT: 0
	.section	.text._ZL13mul_mat_f_idsI15__hip_bfloat162Li32ELi13ELi5EEvPKT_PKfPKiS7_S7_Pfiiiiiiiiiiiiii15HIP_vector_typeIjLj3EESA_,"axG",@progbits,_ZL13mul_mat_f_idsI15__hip_bfloat162Li32ELi13ELi5EEvPKT_PKfPKiS7_S7_Pfiiiiiiiiiiiiii15HIP_vector_typeIjLj3EESA_,comdat
	.globl	_ZL13mul_mat_f_idsI15__hip_bfloat162Li32ELi13ELi5EEvPKT_PKfPKiS7_S7_Pfiiiiiiiiiiiiii15HIP_vector_typeIjLj3EESA_ ; -- Begin function _ZL13mul_mat_f_idsI15__hip_bfloat162Li32ELi13ELi5EEvPKT_PKfPKiS7_S7_Pfiiiiiiiiiiiiii15HIP_vector_typeIjLj3EESA_
	.p2align	8
	.type	_ZL13mul_mat_f_idsI15__hip_bfloat162Li32ELi13ELi5EEvPKT_PKfPKiS7_S7_Pfiiiiiiiiiiiiii15HIP_vector_typeIjLj3EESA_,@function
_ZL13mul_mat_f_idsI15__hip_bfloat162Li32ELi13ELi5EEvPKT_PKfPKiS7_S7_Pfiiiiiiiiiiiiii15HIP_vector_typeIjLj3EESA_: ; @_ZL13mul_mat_f_idsI15__hip_bfloat162Li32ELi13ELi5EEvPKT_PKfPKiS7_S7_Pfiiiiiiiiiiiiii15HIP_vector_typeIjLj3EESA_
; %bb.0:
	s_add_u32 flat_scratch_lo, s6, s9
	s_addc_u32 flat_scratch_hi, s7, 0
	s_add_u32 s0, s0, s9
	s_addc_u32 s1, s1, 0
	s_add_u32 s8, s4, 0x80
	s_addc_u32 s9, s5, 0
	s_getpc_b64 s[4:5]
	s_add_u32 s4, s4, __FUNCTION__._ZL13mul_mat_f_idsIfLi32ELi13ELi1EEvPKT_PKfPKiS6_S6_Pfiiiiiiiiiiiiii15HIP_vector_typeIjLj3EES9_@rel32@lo+4
	s_addc_u32 s5, s5, __FUNCTION__._ZL13mul_mat_f_idsIfLi32ELi13ELi1EEvPKT_PKfPKiS6_S6_Pfiiiiiiiiiiiiii15HIP_vector_typeIjLj3EES9_@rel32@hi+12
	v_mov_b32_e32 v0, 0x13b
	v_mov_b32_e32 v1, s4
	;; [unrolled: 1-line block ×3, first 2 shown]
	s_mov_b32 s32, 0
	s_getpc_b64 s[6:7]
	s_add_u32 s6, s6, _ZL14no_device_codePKciS0_iS0_@rel32@lo+4
	s_addc_u32 s7, s7, _ZL14no_device_codePKciS0_iS0_@rel32@hi+12
	s_swappc_b64 s[30:31], s[6:7]
	.section	.rodata,"a",@progbits
	.p2align	6, 0x0
	.amdhsa_kernel _ZL13mul_mat_f_idsI15__hip_bfloat162Li32ELi13ELi5EEvPKT_PKfPKiS7_S7_Pfiiiiiiiiiiiiii15HIP_vector_typeIjLj3EESA_
		.amdhsa_group_segment_fixed_size 0
		.amdhsa_private_segment_fixed_size 16
		.amdhsa_kernarg_size 384
		.amdhsa_user_sgpr_count 8
		.amdhsa_user_sgpr_private_segment_buffer 1
		.amdhsa_user_sgpr_dispatch_ptr 0
		.amdhsa_user_sgpr_queue_ptr 0
		.amdhsa_user_sgpr_kernarg_segment_ptr 1
		.amdhsa_user_sgpr_dispatch_id 0
		.amdhsa_user_sgpr_flat_scratch_init 1
		.amdhsa_user_sgpr_kernarg_preload_length 0
		.amdhsa_user_sgpr_kernarg_preload_offset 0
		.amdhsa_user_sgpr_private_segment_size 0
		.amdhsa_uses_dynamic_stack 0
		.amdhsa_system_sgpr_private_segment_wavefront_offset 1
		.amdhsa_system_sgpr_workgroup_id_x 1
		.amdhsa_system_sgpr_workgroup_id_y 0
		.amdhsa_system_sgpr_workgroup_id_z 0
		.amdhsa_system_sgpr_workgroup_info 0
		.amdhsa_system_vgpr_workitem_id 0
		.amdhsa_next_free_vgpr 41
		.amdhsa_next_free_sgpr 34
		.amdhsa_accum_offset 44
		.amdhsa_reserve_vcc 1
		.amdhsa_reserve_flat_scratch 1
		.amdhsa_float_round_mode_32 0
		.amdhsa_float_round_mode_16_64 0
		.amdhsa_float_denorm_mode_32 3
		.amdhsa_float_denorm_mode_16_64 3
		.amdhsa_dx10_clamp 1
		.amdhsa_ieee_mode 1
		.amdhsa_fp16_overflow 0
		.amdhsa_tg_split 0
		.amdhsa_exception_fp_ieee_invalid_op 0
		.amdhsa_exception_fp_denorm_src 0
		.amdhsa_exception_fp_ieee_div_zero 0
		.amdhsa_exception_fp_ieee_overflow 0
		.amdhsa_exception_fp_ieee_underflow 0
		.amdhsa_exception_fp_ieee_inexact 0
		.amdhsa_exception_int_div_zero 0
	.end_amdhsa_kernel
	.section	.text._ZL13mul_mat_f_idsI15__hip_bfloat162Li32ELi13ELi5EEvPKT_PKfPKiS7_S7_Pfiiiiiiiiiiiiii15HIP_vector_typeIjLj3EESA_,"axG",@progbits,_ZL13mul_mat_f_idsI15__hip_bfloat162Li32ELi13ELi5EEvPKT_PKfPKiS7_S7_Pfiiiiiiiiiiiiii15HIP_vector_typeIjLj3EESA_,comdat
.Lfunc_end63:
	.size	_ZL13mul_mat_f_idsI15__hip_bfloat162Li32ELi13ELi5EEvPKT_PKfPKiS7_S7_Pfiiiiiiiiiiiiii15HIP_vector_typeIjLj3EESA_, .Lfunc_end63-_ZL13mul_mat_f_idsI15__hip_bfloat162Li32ELi13ELi5EEvPKT_PKfPKiS7_S7_Pfiiiiiiiiiiiiii15HIP_vector_typeIjLj3EESA_
                                        ; -- End function
	.section	.AMDGPU.csdata,"",@progbits
; Kernel info:
; codeLenInByte = 92
; NumSgprs: 40
; NumVgprs: 41
; NumAgprs: 0
; TotalNumVgprs: 41
; ScratchSize: 16
; MemoryBound: 0
; FloatMode: 240
; IeeeMode: 1
; LDSByteSize: 0 bytes/workgroup (compile time only)
; SGPRBlocks: 4
; VGPRBlocks: 5
; NumSGPRsForWavesPerEU: 40
; NumVGPRsForWavesPerEU: 41
; AccumOffset: 44
; Occupancy: 8
; WaveLimiterHint : 1
; COMPUTE_PGM_RSRC2:SCRATCH_EN: 1
; COMPUTE_PGM_RSRC2:USER_SGPR: 8
; COMPUTE_PGM_RSRC2:TRAP_HANDLER: 0
; COMPUTE_PGM_RSRC2:TGID_X_EN: 1
; COMPUTE_PGM_RSRC2:TGID_Y_EN: 0
; COMPUTE_PGM_RSRC2:TGID_Z_EN: 0
; COMPUTE_PGM_RSRC2:TIDIG_COMP_CNT: 0
; COMPUTE_PGM_RSRC3_GFX90A:ACCUM_OFFSET: 10
; COMPUTE_PGM_RSRC3_GFX90A:TG_SPLIT: 0
	.section	.text._ZL9mul_mat_fI15__hip_bfloat162Li32ELi13ELi5ELb1EEvPKT_PKfPKiPfiiiiiiiiiiiiiiii,"axG",@progbits,_ZL9mul_mat_fI15__hip_bfloat162Li32ELi13ELi5ELb1EEvPKT_PKfPKiPfiiiiiiiiiiiiiiii,comdat
	.globl	_ZL9mul_mat_fI15__hip_bfloat162Li32ELi13ELi5ELb1EEvPKT_PKfPKiPfiiiiiiiiiiiiiiii ; -- Begin function _ZL9mul_mat_fI15__hip_bfloat162Li32ELi13ELi5ELb1EEvPKT_PKfPKiPfiiiiiiiiiiiiiiii
	.p2align	8
	.type	_ZL9mul_mat_fI15__hip_bfloat162Li32ELi13ELi5ELb1EEvPKT_PKfPKiPfiiiiiiiiiiiiiiii,@function
_ZL9mul_mat_fI15__hip_bfloat162Li32ELi13ELi5ELb1EEvPKT_PKfPKiPfiiiiiiiiiiiiiiii: ; @_ZL9mul_mat_fI15__hip_bfloat162Li32ELi13ELi5ELb1EEvPKT_PKfPKiPfiiiiiiiiiiiiiiii
; %bb.0:
	s_add_u32 flat_scratch_lo, s6, s9
	s_addc_u32 flat_scratch_hi, s7, 0
	s_add_u32 s0, s0, s9
	s_addc_u32 s1, s1, 0
	s_add_u32 s8, s4, 0x60
	s_addc_u32 s9, s5, 0
	s_getpc_b64 s[4:5]
	s_add_u32 s4, s4, __FUNCTION__._ZL9mul_mat_fIfLi32ELi13ELi1ELb1EEvPKT_PKfPKiPfiiiiiiiiiiiiiiii@rel32@lo+4
	s_addc_u32 s5, s5, __FUNCTION__._ZL9mul_mat_fIfLi32ELi13ELi1ELb1EEvPKT_PKfPKiPfiiiiiiiiiiiiiiii@rel32@hi+12
	v_mov_b32_e32 v0, 64
	v_mov_b32_e32 v1, s4
	;; [unrolled: 1-line block ×3, first 2 shown]
	s_mov_b32 s32, 0
	s_getpc_b64 s[6:7]
	s_add_u32 s6, s6, _ZL14no_device_codePKciS0_iS0_@rel32@lo+4
	s_addc_u32 s7, s7, _ZL14no_device_codePKciS0_iS0_@rel32@hi+12
	s_swappc_b64 s[30:31], s[6:7]
	.section	.rodata,"a",@progbits
	.p2align	6, 0x0
	.amdhsa_kernel _ZL9mul_mat_fI15__hip_bfloat162Li32ELi13ELi5ELb1EEvPKT_PKfPKiPfiiiiiiiiiiiiiiii
		.amdhsa_group_segment_fixed_size 0
		.amdhsa_private_segment_fixed_size 16
		.amdhsa_kernarg_size 352
		.amdhsa_user_sgpr_count 8
		.amdhsa_user_sgpr_private_segment_buffer 1
		.amdhsa_user_sgpr_dispatch_ptr 0
		.amdhsa_user_sgpr_queue_ptr 0
		.amdhsa_user_sgpr_kernarg_segment_ptr 1
		.amdhsa_user_sgpr_dispatch_id 0
		.amdhsa_user_sgpr_flat_scratch_init 1
		.amdhsa_user_sgpr_kernarg_preload_length 0
		.amdhsa_user_sgpr_kernarg_preload_offset 0
		.amdhsa_user_sgpr_private_segment_size 0
		.amdhsa_uses_dynamic_stack 0
		.amdhsa_system_sgpr_private_segment_wavefront_offset 1
		.amdhsa_system_sgpr_workgroup_id_x 1
		.amdhsa_system_sgpr_workgroup_id_y 0
		.amdhsa_system_sgpr_workgroup_id_z 0
		.amdhsa_system_sgpr_workgroup_info 0
		.amdhsa_system_vgpr_workitem_id 0
		.amdhsa_next_free_vgpr 41
		.amdhsa_next_free_sgpr 34
		.amdhsa_accum_offset 44
		.amdhsa_reserve_vcc 1
		.amdhsa_reserve_flat_scratch 1
		.amdhsa_float_round_mode_32 0
		.amdhsa_float_round_mode_16_64 0
		.amdhsa_float_denorm_mode_32 3
		.amdhsa_float_denorm_mode_16_64 3
		.amdhsa_dx10_clamp 1
		.amdhsa_ieee_mode 1
		.amdhsa_fp16_overflow 0
		.amdhsa_tg_split 0
		.amdhsa_exception_fp_ieee_invalid_op 0
		.amdhsa_exception_fp_denorm_src 0
		.amdhsa_exception_fp_ieee_div_zero 0
		.amdhsa_exception_fp_ieee_overflow 0
		.amdhsa_exception_fp_ieee_underflow 0
		.amdhsa_exception_fp_ieee_inexact 0
		.amdhsa_exception_int_div_zero 0
	.end_amdhsa_kernel
	.section	.text._ZL9mul_mat_fI15__hip_bfloat162Li32ELi13ELi5ELb1EEvPKT_PKfPKiPfiiiiiiiiiiiiiiii,"axG",@progbits,_ZL9mul_mat_fI15__hip_bfloat162Li32ELi13ELi5ELb1EEvPKT_PKfPKiPfiiiiiiiiiiiiiiii,comdat
.Lfunc_end64:
	.size	_ZL9mul_mat_fI15__hip_bfloat162Li32ELi13ELi5ELb1EEvPKT_PKfPKiPfiiiiiiiiiiiiiiii, .Lfunc_end64-_ZL9mul_mat_fI15__hip_bfloat162Li32ELi13ELi5ELb1EEvPKT_PKfPKiPfiiiiiiiiiiiiiiii
                                        ; -- End function
	.section	.AMDGPU.csdata,"",@progbits
; Kernel info:
; codeLenInByte = 88
; NumSgprs: 40
; NumVgprs: 41
; NumAgprs: 0
; TotalNumVgprs: 41
; ScratchSize: 16
; MemoryBound: 0
; FloatMode: 240
; IeeeMode: 1
; LDSByteSize: 0 bytes/workgroup (compile time only)
; SGPRBlocks: 4
; VGPRBlocks: 5
; NumSGPRsForWavesPerEU: 40
; NumVGPRsForWavesPerEU: 41
; AccumOffset: 44
; Occupancy: 8
; WaveLimiterHint : 1
; COMPUTE_PGM_RSRC2:SCRATCH_EN: 1
; COMPUTE_PGM_RSRC2:USER_SGPR: 8
; COMPUTE_PGM_RSRC2:TRAP_HANDLER: 0
; COMPUTE_PGM_RSRC2:TGID_X_EN: 1
; COMPUTE_PGM_RSRC2:TGID_Y_EN: 0
; COMPUTE_PGM_RSRC2:TGID_Z_EN: 0
; COMPUTE_PGM_RSRC2:TIDIG_COMP_CNT: 0
; COMPUTE_PGM_RSRC3_GFX90A:ACCUM_OFFSET: 10
; COMPUTE_PGM_RSRC3_GFX90A:TG_SPLIT: 0
	.section	.text._ZL9mul_mat_fI15__hip_bfloat162Li32ELi13ELi5ELb0EEvPKT_PKfPKiPfiiiiiiiiiiiiiiii,"axG",@progbits,_ZL9mul_mat_fI15__hip_bfloat162Li32ELi13ELi5ELb0EEvPKT_PKfPKiPfiiiiiiiiiiiiiiii,comdat
	.globl	_ZL9mul_mat_fI15__hip_bfloat162Li32ELi13ELi5ELb0EEvPKT_PKfPKiPfiiiiiiiiiiiiiiii ; -- Begin function _ZL9mul_mat_fI15__hip_bfloat162Li32ELi13ELi5ELb0EEvPKT_PKfPKiPfiiiiiiiiiiiiiiii
	.p2align	8
	.type	_ZL9mul_mat_fI15__hip_bfloat162Li32ELi13ELi5ELb0EEvPKT_PKfPKiPfiiiiiiiiiiiiiiii,@function
_ZL9mul_mat_fI15__hip_bfloat162Li32ELi13ELi5ELb0EEvPKT_PKfPKiPfiiiiiiiiiiiiiiii: ; @_ZL9mul_mat_fI15__hip_bfloat162Li32ELi13ELi5ELb0EEvPKT_PKfPKiPfiiiiiiiiiiiiiiii
; %bb.0:
	s_add_u32 flat_scratch_lo, s6, s9
	s_addc_u32 flat_scratch_hi, s7, 0
	s_add_u32 s0, s0, s9
	s_addc_u32 s1, s1, 0
	s_add_u32 s8, s4, 0x60
	s_addc_u32 s9, s5, 0
	s_getpc_b64 s[4:5]
	s_add_u32 s4, s4, __FUNCTION__._ZL9mul_mat_fIfLi32ELi13ELi1ELb1EEvPKT_PKfPKiPfiiiiiiiiiiiiiiii@rel32@lo+4
	s_addc_u32 s5, s5, __FUNCTION__._ZL9mul_mat_fIfLi32ELi13ELi1ELb1EEvPKT_PKfPKiPfiiiiiiiiiiiiiiii@rel32@hi+12
	v_mov_b32_e32 v0, 64
	v_mov_b32_e32 v1, s4
	;; [unrolled: 1-line block ×3, first 2 shown]
	s_mov_b32 s32, 0
	s_getpc_b64 s[6:7]
	s_add_u32 s6, s6, _ZL14no_device_codePKciS0_iS0_@rel32@lo+4
	s_addc_u32 s7, s7, _ZL14no_device_codePKciS0_iS0_@rel32@hi+12
	s_swappc_b64 s[30:31], s[6:7]
	.section	.rodata,"a",@progbits
	.p2align	6, 0x0
	.amdhsa_kernel _ZL9mul_mat_fI15__hip_bfloat162Li32ELi13ELi5ELb0EEvPKT_PKfPKiPfiiiiiiiiiiiiiiii
		.amdhsa_group_segment_fixed_size 0
		.amdhsa_private_segment_fixed_size 16
		.amdhsa_kernarg_size 352
		.amdhsa_user_sgpr_count 8
		.amdhsa_user_sgpr_private_segment_buffer 1
		.amdhsa_user_sgpr_dispatch_ptr 0
		.amdhsa_user_sgpr_queue_ptr 0
		.amdhsa_user_sgpr_kernarg_segment_ptr 1
		.amdhsa_user_sgpr_dispatch_id 0
		.amdhsa_user_sgpr_flat_scratch_init 1
		.amdhsa_user_sgpr_kernarg_preload_length 0
		.amdhsa_user_sgpr_kernarg_preload_offset 0
		.amdhsa_user_sgpr_private_segment_size 0
		.amdhsa_uses_dynamic_stack 0
		.amdhsa_system_sgpr_private_segment_wavefront_offset 1
		.amdhsa_system_sgpr_workgroup_id_x 1
		.amdhsa_system_sgpr_workgroup_id_y 0
		.amdhsa_system_sgpr_workgroup_id_z 0
		.amdhsa_system_sgpr_workgroup_info 0
		.amdhsa_system_vgpr_workitem_id 0
		.amdhsa_next_free_vgpr 41
		.amdhsa_next_free_sgpr 34
		.amdhsa_accum_offset 44
		.amdhsa_reserve_vcc 1
		.amdhsa_reserve_flat_scratch 1
		.amdhsa_float_round_mode_32 0
		.amdhsa_float_round_mode_16_64 0
		.amdhsa_float_denorm_mode_32 3
		.amdhsa_float_denorm_mode_16_64 3
		.amdhsa_dx10_clamp 1
		.amdhsa_ieee_mode 1
		.amdhsa_fp16_overflow 0
		.amdhsa_tg_split 0
		.amdhsa_exception_fp_ieee_invalid_op 0
		.amdhsa_exception_fp_denorm_src 0
		.amdhsa_exception_fp_ieee_div_zero 0
		.amdhsa_exception_fp_ieee_overflow 0
		.amdhsa_exception_fp_ieee_underflow 0
		.amdhsa_exception_fp_ieee_inexact 0
		.amdhsa_exception_int_div_zero 0
	.end_amdhsa_kernel
	.section	.text._ZL9mul_mat_fI15__hip_bfloat162Li32ELi13ELi5ELb0EEvPKT_PKfPKiPfiiiiiiiiiiiiiiii,"axG",@progbits,_ZL9mul_mat_fI15__hip_bfloat162Li32ELi13ELi5ELb0EEvPKT_PKfPKiPfiiiiiiiiiiiiiiii,comdat
.Lfunc_end65:
	.size	_ZL9mul_mat_fI15__hip_bfloat162Li32ELi13ELi5ELb0EEvPKT_PKfPKiPfiiiiiiiiiiiiiiii, .Lfunc_end65-_ZL9mul_mat_fI15__hip_bfloat162Li32ELi13ELi5ELb0EEvPKT_PKfPKiPfiiiiiiiiiiiiiiii
                                        ; -- End function
	.section	.AMDGPU.csdata,"",@progbits
; Kernel info:
; codeLenInByte = 88
; NumSgprs: 40
; NumVgprs: 41
; NumAgprs: 0
; TotalNumVgprs: 41
; ScratchSize: 16
; MemoryBound: 0
; FloatMode: 240
; IeeeMode: 1
; LDSByteSize: 0 bytes/workgroup (compile time only)
; SGPRBlocks: 4
; VGPRBlocks: 5
; NumSGPRsForWavesPerEU: 40
; NumVGPRsForWavesPerEU: 41
; AccumOffset: 44
; Occupancy: 8
; WaveLimiterHint : 1
; COMPUTE_PGM_RSRC2:SCRATCH_EN: 1
; COMPUTE_PGM_RSRC2:USER_SGPR: 8
; COMPUTE_PGM_RSRC2:TRAP_HANDLER: 0
; COMPUTE_PGM_RSRC2:TGID_X_EN: 1
; COMPUTE_PGM_RSRC2:TGID_Y_EN: 0
; COMPUTE_PGM_RSRC2:TGID_Z_EN: 0
; COMPUTE_PGM_RSRC2:TIDIG_COMP_CNT: 0
; COMPUTE_PGM_RSRC3_GFX90A:ACCUM_OFFSET: 10
; COMPUTE_PGM_RSRC3_GFX90A:TG_SPLIT: 0
	.section	.text._ZL13mul_mat_f_idsI15__hip_bfloat162Li32ELi13ELi6EEvPKT_PKfPKiS7_S7_Pfiiiiiiiiiiiiii15HIP_vector_typeIjLj3EESA_,"axG",@progbits,_ZL13mul_mat_f_idsI15__hip_bfloat162Li32ELi13ELi6EEvPKT_PKfPKiS7_S7_Pfiiiiiiiiiiiiii15HIP_vector_typeIjLj3EESA_,comdat
	.globl	_ZL13mul_mat_f_idsI15__hip_bfloat162Li32ELi13ELi6EEvPKT_PKfPKiS7_S7_Pfiiiiiiiiiiiiii15HIP_vector_typeIjLj3EESA_ ; -- Begin function _ZL13mul_mat_f_idsI15__hip_bfloat162Li32ELi13ELi6EEvPKT_PKfPKiS7_S7_Pfiiiiiiiiiiiiii15HIP_vector_typeIjLj3EESA_
	.p2align	8
	.type	_ZL13mul_mat_f_idsI15__hip_bfloat162Li32ELi13ELi6EEvPKT_PKfPKiS7_S7_Pfiiiiiiiiiiiiii15HIP_vector_typeIjLj3EESA_,@function
_ZL13mul_mat_f_idsI15__hip_bfloat162Li32ELi13ELi6EEvPKT_PKfPKiS7_S7_Pfiiiiiiiiiiiiii15HIP_vector_typeIjLj3EESA_: ; @_ZL13mul_mat_f_idsI15__hip_bfloat162Li32ELi13ELi6EEvPKT_PKfPKiS7_S7_Pfiiiiiiiiiiiiii15HIP_vector_typeIjLj3EESA_
; %bb.0:
	s_add_u32 flat_scratch_lo, s6, s9
	s_addc_u32 flat_scratch_hi, s7, 0
	s_add_u32 s0, s0, s9
	s_addc_u32 s1, s1, 0
	s_add_u32 s8, s4, 0x80
	s_addc_u32 s9, s5, 0
	s_getpc_b64 s[4:5]
	s_add_u32 s4, s4, __FUNCTION__._ZL13mul_mat_f_idsIfLi32ELi13ELi1EEvPKT_PKfPKiS6_S6_Pfiiiiiiiiiiiiii15HIP_vector_typeIjLj3EES9_@rel32@lo+4
	s_addc_u32 s5, s5, __FUNCTION__._ZL13mul_mat_f_idsIfLi32ELi13ELi1EEvPKT_PKfPKiS6_S6_Pfiiiiiiiiiiiiii15HIP_vector_typeIjLj3EES9_@rel32@hi+12
	v_mov_b32_e32 v0, 0x13b
	v_mov_b32_e32 v1, s4
	;; [unrolled: 1-line block ×3, first 2 shown]
	s_mov_b32 s32, 0
	s_getpc_b64 s[6:7]
	s_add_u32 s6, s6, _ZL14no_device_codePKciS0_iS0_@rel32@lo+4
	s_addc_u32 s7, s7, _ZL14no_device_codePKciS0_iS0_@rel32@hi+12
	s_swappc_b64 s[30:31], s[6:7]
	.section	.rodata,"a",@progbits
	.p2align	6, 0x0
	.amdhsa_kernel _ZL13mul_mat_f_idsI15__hip_bfloat162Li32ELi13ELi6EEvPKT_PKfPKiS7_S7_Pfiiiiiiiiiiiiii15HIP_vector_typeIjLj3EESA_
		.amdhsa_group_segment_fixed_size 0
		.amdhsa_private_segment_fixed_size 16
		.amdhsa_kernarg_size 384
		.amdhsa_user_sgpr_count 8
		.amdhsa_user_sgpr_private_segment_buffer 1
		.amdhsa_user_sgpr_dispatch_ptr 0
		.amdhsa_user_sgpr_queue_ptr 0
		.amdhsa_user_sgpr_kernarg_segment_ptr 1
		.amdhsa_user_sgpr_dispatch_id 0
		.amdhsa_user_sgpr_flat_scratch_init 1
		.amdhsa_user_sgpr_kernarg_preload_length 0
		.amdhsa_user_sgpr_kernarg_preload_offset 0
		.amdhsa_user_sgpr_private_segment_size 0
		.amdhsa_uses_dynamic_stack 0
		.amdhsa_system_sgpr_private_segment_wavefront_offset 1
		.amdhsa_system_sgpr_workgroup_id_x 1
		.amdhsa_system_sgpr_workgroup_id_y 0
		.amdhsa_system_sgpr_workgroup_id_z 0
		.amdhsa_system_sgpr_workgroup_info 0
		.amdhsa_system_vgpr_workitem_id 0
		.amdhsa_next_free_vgpr 41
		.amdhsa_next_free_sgpr 34
		.amdhsa_accum_offset 44
		.amdhsa_reserve_vcc 1
		.amdhsa_reserve_flat_scratch 1
		.amdhsa_float_round_mode_32 0
		.amdhsa_float_round_mode_16_64 0
		.amdhsa_float_denorm_mode_32 3
		.amdhsa_float_denorm_mode_16_64 3
		.amdhsa_dx10_clamp 1
		.amdhsa_ieee_mode 1
		.amdhsa_fp16_overflow 0
		.amdhsa_tg_split 0
		.amdhsa_exception_fp_ieee_invalid_op 0
		.amdhsa_exception_fp_denorm_src 0
		.amdhsa_exception_fp_ieee_div_zero 0
		.amdhsa_exception_fp_ieee_overflow 0
		.amdhsa_exception_fp_ieee_underflow 0
		.amdhsa_exception_fp_ieee_inexact 0
		.amdhsa_exception_int_div_zero 0
	.end_amdhsa_kernel
	.section	.text._ZL13mul_mat_f_idsI15__hip_bfloat162Li32ELi13ELi6EEvPKT_PKfPKiS7_S7_Pfiiiiiiiiiiiiii15HIP_vector_typeIjLj3EESA_,"axG",@progbits,_ZL13mul_mat_f_idsI15__hip_bfloat162Li32ELi13ELi6EEvPKT_PKfPKiS7_S7_Pfiiiiiiiiiiiiii15HIP_vector_typeIjLj3EESA_,comdat
.Lfunc_end66:
	.size	_ZL13mul_mat_f_idsI15__hip_bfloat162Li32ELi13ELi6EEvPKT_PKfPKiS7_S7_Pfiiiiiiiiiiiiii15HIP_vector_typeIjLj3EESA_, .Lfunc_end66-_ZL13mul_mat_f_idsI15__hip_bfloat162Li32ELi13ELi6EEvPKT_PKfPKiS7_S7_Pfiiiiiiiiiiiiii15HIP_vector_typeIjLj3EESA_
                                        ; -- End function
	.section	.AMDGPU.csdata,"",@progbits
; Kernel info:
; codeLenInByte = 92
; NumSgprs: 40
; NumVgprs: 41
; NumAgprs: 0
; TotalNumVgprs: 41
; ScratchSize: 16
; MemoryBound: 0
; FloatMode: 240
; IeeeMode: 1
; LDSByteSize: 0 bytes/workgroup (compile time only)
; SGPRBlocks: 4
; VGPRBlocks: 5
; NumSGPRsForWavesPerEU: 40
; NumVGPRsForWavesPerEU: 41
; AccumOffset: 44
; Occupancy: 8
; WaveLimiterHint : 1
; COMPUTE_PGM_RSRC2:SCRATCH_EN: 1
; COMPUTE_PGM_RSRC2:USER_SGPR: 8
; COMPUTE_PGM_RSRC2:TRAP_HANDLER: 0
; COMPUTE_PGM_RSRC2:TGID_X_EN: 1
; COMPUTE_PGM_RSRC2:TGID_Y_EN: 0
; COMPUTE_PGM_RSRC2:TGID_Z_EN: 0
; COMPUTE_PGM_RSRC2:TIDIG_COMP_CNT: 0
; COMPUTE_PGM_RSRC3_GFX90A:ACCUM_OFFSET: 10
; COMPUTE_PGM_RSRC3_GFX90A:TG_SPLIT: 0
	.section	.text._ZL9mul_mat_fI15__hip_bfloat162Li32ELi13ELi6ELb1EEvPKT_PKfPKiPfiiiiiiiiiiiiiiii,"axG",@progbits,_ZL9mul_mat_fI15__hip_bfloat162Li32ELi13ELi6ELb1EEvPKT_PKfPKiPfiiiiiiiiiiiiiiii,comdat
	.globl	_ZL9mul_mat_fI15__hip_bfloat162Li32ELi13ELi6ELb1EEvPKT_PKfPKiPfiiiiiiiiiiiiiiii ; -- Begin function _ZL9mul_mat_fI15__hip_bfloat162Li32ELi13ELi6ELb1EEvPKT_PKfPKiPfiiiiiiiiiiiiiiii
	.p2align	8
	.type	_ZL9mul_mat_fI15__hip_bfloat162Li32ELi13ELi6ELb1EEvPKT_PKfPKiPfiiiiiiiiiiiiiiii,@function
_ZL9mul_mat_fI15__hip_bfloat162Li32ELi13ELi6ELb1EEvPKT_PKfPKiPfiiiiiiiiiiiiiiii: ; @_ZL9mul_mat_fI15__hip_bfloat162Li32ELi13ELi6ELb1EEvPKT_PKfPKiPfiiiiiiiiiiiiiiii
; %bb.0:
	s_add_u32 flat_scratch_lo, s6, s9
	s_addc_u32 flat_scratch_hi, s7, 0
	s_add_u32 s0, s0, s9
	s_addc_u32 s1, s1, 0
	s_add_u32 s8, s4, 0x60
	s_addc_u32 s9, s5, 0
	s_getpc_b64 s[4:5]
	s_add_u32 s4, s4, __FUNCTION__._ZL9mul_mat_fIfLi32ELi13ELi1ELb1EEvPKT_PKfPKiPfiiiiiiiiiiiiiiii@rel32@lo+4
	s_addc_u32 s5, s5, __FUNCTION__._ZL9mul_mat_fIfLi32ELi13ELi1ELb1EEvPKT_PKfPKiPfiiiiiiiiiiiiiiii@rel32@hi+12
	v_mov_b32_e32 v0, 64
	v_mov_b32_e32 v1, s4
	;; [unrolled: 1-line block ×3, first 2 shown]
	s_mov_b32 s32, 0
	s_getpc_b64 s[6:7]
	s_add_u32 s6, s6, _ZL14no_device_codePKciS0_iS0_@rel32@lo+4
	s_addc_u32 s7, s7, _ZL14no_device_codePKciS0_iS0_@rel32@hi+12
	s_swappc_b64 s[30:31], s[6:7]
	.section	.rodata,"a",@progbits
	.p2align	6, 0x0
	.amdhsa_kernel _ZL9mul_mat_fI15__hip_bfloat162Li32ELi13ELi6ELb1EEvPKT_PKfPKiPfiiiiiiiiiiiiiiii
		.amdhsa_group_segment_fixed_size 0
		.amdhsa_private_segment_fixed_size 16
		.amdhsa_kernarg_size 352
		.amdhsa_user_sgpr_count 8
		.amdhsa_user_sgpr_private_segment_buffer 1
		.amdhsa_user_sgpr_dispatch_ptr 0
		.amdhsa_user_sgpr_queue_ptr 0
		.amdhsa_user_sgpr_kernarg_segment_ptr 1
		.amdhsa_user_sgpr_dispatch_id 0
		.amdhsa_user_sgpr_flat_scratch_init 1
		.amdhsa_user_sgpr_kernarg_preload_length 0
		.amdhsa_user_sgpr_kernarg_preload_offset 0
		.amdhsa_user_sgpr_private_segment_size 0
		.amdhsa_uses_dynamic_stack 0
		.amdhsa_system_sgpr_private_segment_wavefront_offset 1
		.amdhsa_system_sgpr_workgroup_id_x 1
		.amdhsa_system_sgpr_workgroup_id_y 0
		.amdhsa_system_sgpr_workgroup_id_z 0
		.amdhsa_system_sgpr_workgroup_info 0
		.amdhsa_system_vgpr_workitem_id 0
		.amdhsa_next_free_vgpr 41
		.amdhsa_next_free_sgpr 34
		.amdhsa_accum_offset 44
		.amdhsa_reserve_vcc 1
		.amdhsa_reserve_flat_scratch 1
		.amdhsa_float_round_mode_32 0
		.amdhsa_float_round_mode_16_64 0
		.amdhsa_float_denorm_mode_32 3
		.amdhsa_float_denorm_mode_16_64 3
		.amdhsa_dx10_clamp 1
		.amdhsa_ieee_mode 1
		.amdhsa_fp16_overflow 0
		.amdhsa_tg_split 0
		.amdhsa_exception_fp_ieee_invalid_op 0
		.amdhsa_exception_fp_denorm_src 0
		.amdhsa_exception_fp_ieee_div_zero 0
		.amdhsa_exception_fp_ieee_overflow 0
		.amdhsa_exception_fp_ieee_underflow 0
		.amdhsa_exception_fp_ieee_inexact 0
		.amdhsa_exception_int_div_zero 0
	.end_amdhsa_kernel
	.section	.text._ZL9mul_mat_fI15__hip_bfloat162Li32ELi13ELi6ELb1EEvPKT_PKfPKiPfiiiiiiiiiiiiiiii,"axG",@progbits,_ZL9mul_mat_fI15__hip_bfloat162Li32ELi13ELi6ELb1EEvPKT_PKfPKiPfiiiiiiiiiiiiiiii,comdat
.Lfunc_end67:
	.size	_ZL9mul_mat_fI15__hip_bfloat162Li32ELi13ELi6ELb1EEvPKT_PKfPKiPfiiiiiiiiiiiiiiii, .Lfunc_end67-_ZL9mul_mat_fI15__hip_bfloat162Li32ELi13ELi6ELb1EEvPKT_PKfPKiPfiiiiiiiiiiiiiiii
                                        ; -- End function
	.section	.AMDGPU.csdata,"",@progbits
; Kernel info:
; codeLenInByte = 88
; NumSgprs: 40
; NumVgprs: 41
; NumAgprs: 0
; TotalNumVgprs: 41
; ScratchSize: 16
; MemoryBound: 0
; FloatMode: 240
; IeeeMode: 1
; LDSByteSize: 0 bytes/workgroup (compile time only)
; SGPRBlocks: 4
; VGPRBlocks: 5
; NumSGPRsForWavesPerEU: 40
; NumVGPRsForWavesPerEU: 41
; AccumOffset: 44
; Occupancy: 8
; WaveLimiterHint : 1
; COMPUTE_PGM_RSRC2:SCRATCH_EN: 1
; COMPUTE_PGM_RSRC2:USER_SGPR: 8
; COMPUTE_PGM_RSRC2:TRAP_HANDLER: 0
; COMPUTE_PGM_RSRC2:TGID_X_EN: 1
; COMPUTE_PGM_RSRC2:TGID_Y_EN: 0
; COMPUTE_PGM_RSRC2:TGID_Z_EN: 0
; COMPUTE_PGM_RSRC2:TIDIG_COMP_CNT: 0
; COMPUTE_PGM_RSRC3_GFX90A:ACCUM_OFFSET: 10
; COMPUTE_PGM_RSRC3_GFX90A:TG_SPLIT: 0
	.section	.text._ZL9mul_mat_fI15__hip_bfloat162Li32ELi13ELi6ELb0EEvPKT_PKfPKiPfiiiiiiiiiiiiiiii,"axG",@progbits,_ZL9mul_mat_fI15__hip_bfloat162Li32ELi13ELi6ELb0EEvPKT_PKfPKiPfiiiiiiiiiiiiiiii,comdat
	.globl	_ZL9mul_mat_fI15__hip_bfloat162Li32ELi13ELi6ELb0EEvPKT_PKfPKiPfiiiiiiiiiiiiiiii ; -- Begin function _ZL9mul_mat_fI15__hip_bfloat162Li32ELi13ELi6ELb0EEvPKT_PKfPKiPfiiiiiiiiiiiiiiii
	.p2align	8
	.type	_ZL9mul_mat_fI15__hip_bfloat162Li32ELi13ELi6ELb0EEvPKT_PKfPKiPfiiiiiiiiiiiiiiii,@function
_ZL9mul_mat_fI15__hip_bfloat162Li32ELi13ELi6ELb0EEvPKT_PKfPKiPfiiiiiiiiiiiiiiii: ; @_ZL9mul_mat_fI15__hip_bfloat162Li32ELi13ELi6ELb0EEvPKT_PKfPKiPfiiiiiiiiiiiiiiii
; %bb.0:
	s_add_u32 flat_scratch_lo, s6, s9
	s_addc_u32 flat_scratch_hi, s7, 0
	s_add_u32 s0, s0, s9
	s_addc_u32 s1, s1, 0
	s_add_u32 s8, s4, 0x60
	s_addc_u32 s9, s5, 0
	s_getpc_b64 s[4:5]
	s_add_u32 s4, s4, __FUNCTION__._ZL9mul_mat_fIfLi32ELi13ELi1ELb1EEvPKT_PKfPKiPfiiiiiiiiiiiiiiii@rel32@lo+4
	s_addc_u32 s5, s5, __FUNCTION__._ZL9mul_mat_fIfLi32ELi13ELi1ELb1EEvPKT_PKfPKiPfiiiiiiiiiiiiiiii@rel32@hi+12
	v_mov_b32_e32 v0, 64
	v_mov_b32_e32 v1, s4
	;; [unrolled: 1-line block ×3, first 2 shown]
	s_mov_b32 s32, 0
	s_getpc_b64 s[6:7]
	s_add_u32 s6, s6, _ZL14no_device_codePKciS0_iS0_@rel32@lo+4
	s_addc_u32 s7, s7, _ZL14no_device_codePKciS0_iS0_@rel32@hi+12
	s_swappc_b64 s[30:31], s[6:7]
	.section	.rodata,"a",@progbits
	.p2align	6, 0x0
	.amdhsa_kernel _ZL9mul_mat_fI15__hip_bfloat162Li32ELi13ELi6ELb0EEvPKT_PKfPKiPfiiiiiiiiiiiiiiii
		.amdhsa_group_segment_fixed_size 0
		.amdhsa_private_segment_fixed_size 16
		.amdhsa_kernarg_size 352
		.amdhsa_user_sgpr_count 8
		.amdhsa_user_sgpr_private_segment_buffer 1
		.amdhsa_user_sgpr_dispatch_ptr 0
		.amdhsa_user_sgpr_queue_ptr 0
		.amdhsa_user_sgpr_kernarg_segment_ptr 1
		.amdhsa_user_sgpr_dispatch_id 0
		.amdhsa_user_sgpr_flat_scratch_init 1
		.amdhsa_user_sgpr_kernarg_preload_length 0
		.amdhsa_user_sgpr_kernarg_preload_offset 0
		.amdhsa_user_sgpr_private_segment_size 0
		.amdhsa_uses_dynamic_stack 0
		.amdhsa_system_sgpr_private_segment_wavefront_offset 1
		.amdhsa_system_sgpr_workgroup_id_x 1
		.amdhsa_system_sgpr_workgroup_id_y 0
		.amdhsa_system_sgpr_workgroup_id_z 0
		.amdhsa_system_sgpr_workgroup_info 0
		.amdhsa_system_vgpr_workitem_id 0
		.amdhsa_next_free_vgpr 41
		.amdhsa_next_free_sgpr 34
		.amdhsa_accum_offset 44
		.amdhsa_reserve_vcc 1
		.amdhsa_reserve_flat_scratch 1
		.amdhsa_float_round_mode_32 0
		.amdhsa_float_round_mode_16_64 0
		.amdhsa_float_denorm_mode_32 3
		.amdhsa_float_denorm_mode_16_64 3
		.amdhsa_dx10_clamp 1
		.amdhsa_ieee_mode 1
		.amdhsa_fp16_overflow 0
		.amdhsa_tg_split 0
		.amdhsa_exception_fp_ieee_invalid_op 0
		.amdhsa_exception_fp_denorm_src 0
		.amdhsa_exception_fp_ieee_div_zero 0
		.amdhsa_exception_fp_ieee_overflow 0
		.amdhsa_exception_fp_ieee_underflow 0
		.amdhsa_exception_fp_ieee_inexact 0
		.amdhsa_exception_int_div_zero 0
	.end_amdhsa_kernel
	.section	.text._ZL9mul_mat_fI15__hip_bfloat162Li32ELi13ELi6ELb0EEvPKT_PKfPKiPfiiiiiiiiiiiiiiii,"axG",@progbits,_ZL9mul_mat_fI15__hip_bfloat162Li32ELi13ELi6ELb0EEvPKT_PKfPKiPfiiiiiiiiiiiiiiii,comdat
.Lfunc_end68:
	.size	_ZL9mul_mat_fI15__hip_bfloat162Li32ELi13ELi6ELb0EEvPKT_PKfPKiPfiiiiiiiiiiiiiiii, .Lfunc_end68-_ZL9mul_mat_fI15__hip_bfloat162Li32ELi13ELi6ELb0EEvPKT_PKfPKiPfiiiiiiiiiiiiiiii
                                        ; -- End function
	.section	.AMDGPU.csdata,"",@progbits
; Kernel info:
; codeLenInByte = 88
; NumSgprs: 40
; NumVgprs: 41
; NumAgprs: 0
; TotalNumVgprs: 41
; ScratchSize: 16
; MemoryBound: 0
; FloatMode: 240
; IeeeMode: 1
; LDSByteSize: 0 bytes/workgroup (compile time only)
; SGPRBlocks: 4
; VGPRBlocks: 5
; NumSGPRsForWavesPerEU: 40
; NumVGPRsForWavesPerEU: 41
; AccumOffset: 44
; Occupancy: 8
; WaveLimiterHint : 1
; COMPUTE_PGM_RSRC2:SCRATCH_EN: 1
; COMPUTE_PGM_RSRC2:USER_SGPR: 8
; COMPUTE_PGM_RSRC2:TRAP_HANDLER: 0
; COMPUTE_PGM_RSRC2:TGID_X_EN: 1
; COMPUTE_PGM_RSRC2:TGID_Y_EN: 0
; COMPUTE_PGM_RSRC2:TGID_Z_EN: 0
; COMPUTE_PGM_RSRC2:TIDIG_COMP_CNT: 0
; COMPUTE_PGM_RSRC3_GFX90A:ACCUM_OFFSET: 10
; COMPUTE_PGM_RSRC3_GFX90A:TG_SPLIT: 0
	.section	.text._ZL13mul_mat_f_idsI15__hip_bfloat162Li32ELi13ELi7EEvPKT_PKfPKiS7_S7_Pfiiiiiiiiiiiiii15HIP_vector_typeIjLj3EESA_,"axG",@progbits,_ZL13mul_mat_f_idsI15__hip_bfloat162Li32ELi13ELi7EEvPKT_PKfPKiS7_S7_Pfiiiiiiiiiiiiii15HIP_vector_typeIjLj3EESA_,comdat
	.globl	_ZL13mul_mat_f_idsI15__hip_bfloat162Li32ELi13ELi7EEvPKT_PKfPKiS7_S7_Pfiiiiiiiiiiiiii15HIP_vector_typeIjLj3EESA_ ; -- Begin function _ZL13mul_mat_f_idsI15__hip_bfloat162Li32ELi13ELi7EEvPKT_PKfPKiS7_S7_Pfiiiiiiiiiiiiii15HIP_vector_typeIjLj3EESA_
	.p2align	8
	.type	_ZL13mul_mat_f_idsI15__hip_bfloat162Li32ELi13ELi7EEvPKT_PKfPKiS7_S7_Pfiiiiiiiiiiiiii15HIP_vector_typeIjLj3EESA_,@function
_ZL13mul_mat_f_idsI15__hip_bfloat162Li32ELi13ELi7EEvPKT_PKfPKiS7_S7_Pfiiiiiiiiiiiiii15HIP_vector_typeIjLj3EESA_: ; @_ZL13mul_mat_f_idsI15__hip_bfloat162Li32ELi13ELi7EEvPKT_PKfPKiS7_S7_Pfiiiiiiiiiiiiii15HIP_vector_typeIjLj3EESA_
; %bb.0:
	s_add_u32 flat_scratch_lo, s6, s9
	s_addc_u32 flat_scratch_hi, s7, 0
	s_add_u32 s0, s0, s9
	s_addc_u32 s1, s1, 0
	s_add_u32 s8, s4, 0x80
	s_addc_u32 s9, s5, 0
	s_getpc_b64 s[4:5]
	s_add_u32 s4, s4, __FUNCTION__._ZL13mul_mat_f_idsIfLi32ELi13ELi1EEvPKT_PKfPKiS6_S6_Pfiiiiiiiiiiiiii15HIP_vector_typeIjLj3EES9_@rel32@lo+4
	s_addc_u32 s5, s5, __FUNCTION__._ZL13mul_mat_f_idsIfLi32ELi13ELi1EEvPKT_PKfPKiS6_S6_Pfiiiiiiiiiiiiii15HIP_vector_typeIjLj3EES9_@rel32@hi+12
	v_mov_b32_e32 v0, 0x13b
	v_mov_b32_e32 v1, s4
	;; [unrolled: 1-line block ×3, first 2 shown]
	s_mov_b32 s32, 0
	s_getpc_b64 s[6:7]
	s_add_u32 s6, s6, _ZL14no_device_codePKciS0_iS0_@rel32@lo+4
	s_addc_u32 s7, s7, _ZL14no_device_codePKciS0_iS0_@rel32@hi+12
	s_swappc_b64 s[30:31], s[6:7]
	.section	.rodata,"a",@progbits
	.p2align	6, 0x0
	.amdhsa_kernel _ZL13mul_mat_f_idsI15__hip_bfloat162Li32ELi13ELi7EEvPKT_PKfPKiS7_S7_Pfiiiiiiiiiiiiii15HIP_vector_typeIjLj3EESA_
		.amdhsa_group_segment_fixed_size 0
		.amdhsa_private_segment_fixed_size 16
		.amdhsa_kernarg_size 384
		.amdhsa_user_sgpr_count 8
		.amdhsa_user_sgpr_private_segment_buffer 1
		.amdhsa_user_sgpr_dispatch_ptr 0
		.amdhsa_user_sgpr_queue_ptr 0
		.amdhsa_user_sgpr_kernarg_segment_ptr 1
		.amdhsa_user_sgpr_dispatch_id 0
		.amdhsa_user_sgpr_flat_scratch_init 1
		.amdhsa_user_sgpr_kernarg_preload_length 0
		.amdhsa_user_sgpr_kernarg_preload_offset 0
		.amdhsa_user_sgpr_private_segment_size 0
		.amdhsa_uses_dynamic_stack 0
		.amdhsa_system_sgpr_private_segment_wavefront_offset 1
		.amdhsa_system_sgpr_workgroup_id_x 1
		.amdhsa_system_sgpr_workgroup_id_y 0
		.amdhsa_system_sgpr_workgroup_id_z 0
		.amdhsa_system_sgpr_workgroup_info 0
		.amdhsa_system_vgpr_workitem_id 0
		.amdhsa_next_free_vgpr 41
		.amdhsa_next_free_sgpr 34
		.amdhsa_accum_offset 44
		.amdhsa_reserve_vcc 1
		.amdhsa_reserve_flat_scratch 1
		.amdhsa_float_round_mode_32 0
		.amdhsa_float_round_mode_16_64 0
		.amdhsa_float_denorm_mode_32 3
		.amdhsa_float_denorm_mode_16_64 3
		.amdhsa_dx10_clamp 1
		.amdhsa_ieee_mode 1
		.amdhsa_fp16_overflow 0
		.amdhsa_tg_split 0
		.amdhsa_exception_fp_ieee_invalid_op 0
		.amdhsa_exception_fp_denorm_src 0
		.amdhsa_exception_fp_ieee_div_zero 0
		.amdhsa_exception_fp_ieee_overflow 0
		.amdhsa_exception_fp_ieee_underflow 0
		.amdhsa_exception_fp_ieee_inexact 0
		.amdhsa_exception_int_div_zero 0
	.end_amdhsa_kernel
	.section	.text._ZL13mul_mat_f_idsI15__hip_bfloat162Li32ELi13ELi7EEvPKT_PKfPKiS7_S7_Pfiiiiiiiiiiiiii15HIP_vector_typeIjLj3EESA_,"axG",@progbits,_ZL13mul_mat_f_idsI15__hip_bfloat162Li32ELi13ELi7EEvPKT_PKfPKiS7_S7_Pfiiiiiiiiiiiiii15HIP_vector_typeIjLj3EESA_,comdat
.Lfunc_end69:
	.size	_ZL13mul_mat_f_idsI15__hip_bfloat162Li32ELi13ELi7EEvPKT_PKfPKiS7_S7_Pfiiiiiiiiiiiiii15HIP_vector_typeIjLj3EESA_, .Lfunc_end69-_ZL13mul_mat_f_idsI15__hip_bfloat162Li32ELi13ELi7EEvPKT_PKfPKiS7_S7_Pfiiiiiiiiiiiiii15HIP_vector_typeIjLj3EESA_
                                        ; -- End function
	.section	.AMDGPU.csdata,"",@progbits
; Kernel info:
; codeLenInByte = 92
; NumSgprs: 40
; NumVgprs: 41
; NumAgprs: 0
; TotalNumVgprs: 41
; ScratchSize: 16
; MemoryBound: 0
; FloatMode: 240
; IeeeMode: 1
; LDSByteSize: 0 bytes/workgroup (compile time only)
; SGPRBlocks: 4
; VGPRBlocks: 5
; NumSGPRsForWavesPerEU: 40
; NumVGPRsForWavesPerEU: 41
; AccumOffset: 44
; Occupancy: 7
; WaveLimiterHint : 1
; COMPUTE_PGM_RSRC2:SCRATCH_EN: 1
; COMPUTE_PGM_RSRC2:USER_SGPR: 8
; COMPUTE_PGM_RSRC2:TRAP_HANDLER: 0
; COMPUTE_PGM_RSRC2:TGID_X_EN: 1
; COMPUTE_PGM_RSRC2:TGID_Y_EN: 0
; COMPUTE_PGM_RSRC2:TGID_Z_EN: 0
; COMPUTE_PGM_RSRC2:TIDIG_COMP_CNT: 0
; COMPUTE_PGM_RSRC3_GFX90A:ACCUM_OFFSET: 10
; COMPUTE_PGM_RSRC3_GFX90A:TG_SPLIT: 0
	.section	.text._ZL9mul_mat_fI15__hip_bfloat162Li32ELi13ELi7ELb1EEvPKT_PKfPKiPfiiiiiiiiiiiiiiii,"axG",@progbits,_ZL9mul_mat_fI15__hip_bfloat162Li32ELi13ELi7ELb1EEvPKT_PKfPKiPfiiiiiiiiiiiiiiii,comdat
	.globl	_ZL9mul_mat_fI15__hip_bfloat162Li32ELi13ELi7ELb1EEvPKT_PKfPKiPfiiiiiiiiiiiiiiii ; -- Begin function _ZL9mul_mat_fI15__hip_bfloat162Li32ELi13ELi7ELb1EEvPKT_PKfPKiPfiiiiiiiiiiiiiiii
	.p2align	8
	.type	_ZL9mul_mat_fI15__hip_bfloat162Li32ELi13ELi7ELb1EEvPKT_PKfPKiPfiiiiiiiiiiiiiiii,@function
_ZL9mul_mat_fI15__hip_bfloat162Li32ELi13ELi7ELb1EEvPKT_PKfPKiPfiiiiiiiiiiiiiiii: ; @_ZL9mul_mat_fI15__hip_bfloat162Li32ELi13ELi7ELb1EEvPKT_PKfPKiPfiiiiiiiiiiiiiiii
; %bb.0:
	s_add_u32 flat_scratch_lo, s6, s9
	s_addc_u32 flat_scratch_hi, s7, 0
	s_add_u32 s0, s0, s9
	s_addc_u32 s1, s1, 0
	s_add_u32 s8, s4, 0x60
	s_addc_u32 s9, s5, 0
	s_getpc_b64 s[4:5]
	s_add_u32 s4, s4, __FUNCTION__._ZL9mul_mat_fIfLi32ELi13ELi1ELb1EEvPKT_PKfPKiPfiiiiiiiiiiiiiiii@rel32@lo+4
	s_addc_u32 s5, s5, __FUNCTION__._ZL9mul_mat_fIfLi32ELi13ELi1ELb1EEvPKT_PKfPKiPfiiiiiiiiiiiiiiii@rel32@hi+12
	v_mov_b32_e32 v0, 64
	v_mov_b32_e32 v1, s4
	;; [unrolled: 1-line block ×3, first 2 shown]
	s_mov_b32 s32, 0
	s_getpc_b64 s[6:7]
	s_add_u32 s6, s6, _ZL14no_device_codePKciS0_iS0_@rel32@lo+4
	s_addc_u32 s7, s7, _ZL14no_device_codePKciS0_iS0_@rel32@hi+12
	s_swappc_b64 s[30:31], s[6:7]
	.section	.rodata,"a",@progbits
	.p2align	6, 0x0
	.amdhsa_kernel _ZL9mul_mat_fI15__hip_bfloat162Li32ELi13ELi7ELb1EEvPKT_PKfPKiPfiiiiiiiiiiiiiiii
		.amdhsa_group_segment_fixed_size 0
		.amdhsa_private_segment_fixed_size 16
		.amdhsa_kernarg_size 352
		.amdhsa_user_sgpr_count 8
		.amdhsa_user_sgpr_private_segment_buffer 1
		.amdhsa_user_sgpr_dispatch_ptr 0
		.amdhsa_user_sgpr_queue_ptr 0
		.amdhsa_user_sgpr_kernarg_segment_ptr 1
		.amdhsa_user_sgpr_dispatch_id 0
		.amdhsa_user_sgpr_flat_scratch_init 1
		.amdhsa_user_sgpr_kernarg_preload_length 0
		.amdhsa_user_sgpr_kernarg_preload_offset 0
		.amdhsa_user_sgpr_private_segment_size 0
		.amdhsa_uses_dynamic_stack 0
		.amdhsa_system_sgpr_private_segment_wavefront_offset 1
		.amdhsa_system_sgpr_workgroup_id_x 1
		.amdhsa_system_sgpr_workgroup_id_y 0
		.amdhsa_system_sgpr_workgroup_id_z 0
		.amdhsa_system_sgpr_workgroup_info 0
		.amdhsa_system_vgpr_workitem_id 0
		.amdhsa_next_free_vgpr 41
		.amdhsa_next_free_sgpr 34
		.amdhsa_accum_offset 44
		.amdhsa_reserve_vcc 1
		.amdhsa_reserve_flat_scratch 1
		.amdhsa_float_round_mode_32 0
		.amdhsa_float_round_mode_16_64 0
		.amdhsa_float_denorm_mode_32 3
		.amdhsa_float_denorm_mode_16_64 3
		.amdhsa_dx10_clamp 1
		.amdhsa_ieee_mode 1
		.amdhsa_fp16_overflow 0
		.amdhsa_tg_split 0
		.amdhsa_exception_fp_ieee_invalid_op 0
		.amdhsa_exception_fp_denorm_src 0
		.amdhsa_exception_fp_ieee_div_zero 0
		.amdhsa_exception_fp_ieee_overflow 0
		.amdhsa_exception_fp_ieee_underflow 0
		.amdhsa_exception_fp_ieee_inexact 0
		.amdhsa_exception_int_div_zero 0
	.end_amdhsa_kernel
	.section	.text._ZL9mul_mat_fI15__hip_bfloat162Li32ELi13ELi7ELb1EEvPKT_PKfPKiPfiiiiiiiiiiiiiiii,"axG",@progbits,_ZL9mul_mat_fI15__hip_bfloat162Li32ELi13ELi7ELb1EEvPKT_PKfPKiPfiiiiiiiiiiiiiiii,comdat
.Lfunc_end70:
	.size	_ZL9mul_mat_fI15__hip_bfloat162Li32ELi13ELi7ELb1EEvPKT_PKfPKiPfiiiiiiiiiiiiiiii, .Lfunc_end70-_ZL9mul_mat_fI15__hip_bfloat162Li32ELi13ELi7ELb1EEvPKT_PKfPKiPfiiiiiiiiiiiiiiii
                                        ; -- End function
	.section	.AMDGPU.csdata,"",@progbits
; Kernel info:
; codeLenInByte = 88
; NumSgprs: 40
; NumVgprs: 41
; NumAgprs: 0
; TotalNumVgprs: 41
; ScratchSize: 16
; MemoryBound: 0
; FloatMode: 240
; IeeeMode: 1
; LDSByteSize: 0 bytes/workgroup (compile time only)
; SGPRBlocks: 4
; VGPRBlocks: 5
; NumSGPRsForWavesPerEU: 40
; NumVGPRsForWavesPerEU: 41
; AccumOffset: 44
; Occupancy: 7
; WaveLimiterHint : 1
; COMPUTE_PGM_RSRC2:SCRATCH_EN: 1
; COMPUTE_PGM_RSRC2:USER_SGPR: 8
; COMPUTE_PGM_RSRC2:TRAP_HANDLER: 0
; COMPUTE_PGM_RSRC2:TGID_X_EN: 1
; COMPUTE_PGM_RSRC2:TGID_Y_EN: 0
; COMPUTE_PGM_RSRC2:TGID_Z_EN: 0
; COMPUTE_PGM_RSRC2:TIDIG_COMP_CNT: 0
; COMPUTE_PGM_RSRC3_GFX90A:ACCUM_OFFSET: 10
; COMPUTE_PGM_RSRC3_GFX90A:TG_SPLIT: 0
	.section	.text._ZL9mul_mat_fI15__hip_bfloat162Li32ELi13ELi7ELb0EEvPKT_PKfPKiPfiiiiiiiiiiiiiiii,"axG",@progbits,_ZL9mul_mat_fI15__hip_bfloat162Li32ELi13ELi7ELb0EEvPKT_PKfPKiPfiiiiiiiiiiiiiiii,comdat
	.globl	_ZL9mul_mat_fI15__hip_bfloat162Li32ELi13ELi7ELb0EEvPKT_PKfPKiPfiiiiiiiiiiiiiiii ; -- Begin function _ZL9mul_mat_fI15__hip_bfloat162Li32ELi13ELi7ELb0EEvPKT_PKfPKiPfiiiiiiiiiiiiiiii
	.p2align	8
	.type	_ZL9mul_mat_fI15__hip_bfloat162Li32ELi13ELi7ELb0EEvPKT_PKfPKiPfiiiiiiiiiiiiiiii,@function
_ZL9mul_mat_fI15__hip_bfloat162Li32ELi13ELi7ELb0EEvPKT_PKfPKiPfiiiiiiiiiiiiiiii: ; @_ZL9mul_mat_fI15__hip_bfloat162Li32ELi13ELi7ELb0EEvPKT_PKfPKiPfiiiiiiiiiiiiiiii
; %bb.0:
	s_add_u32 flat_scratch_lo, s6, s9
	s_addc_u32 flat_scratch_hi, s7, 0
	s_add_u32 s0, s0, s9
	s_addc_u32 s1, s1, 0
	s_add_u32 s8, s4, 0x60
	s_addc_u32 s9, s5, 0
	s_getpc_b64 s[4:5]
	s_add_u32 s4, s4, __FUNCTION__._ZL9mul_mat_fIfLi32ELi13ELi1ELb1EEvPKT_PKfPKiPfiiiiiiiiiiiiiiii@rel32@lo+4
	s_addc_u32 s5, s5, __FUNCTION__._ZL9mul_mat_fIfLi32ELi13ELi1ELb1EEvPKT_PKfPKiPfiiiiiiiiiiiiiiii@rel32@hi+12
	v_mov_b32_e32 v0, 64
	v_mov_b32_e32 v1, s4
	;; [unrolled: 1-line block ×3, first 2 shown]
	s_mov_b32 s32, 0
	s_getpc_b64 s[6:7]
	s_add_u32 s6, s6, _ZL14no_device_codePKciS0_iS0_@rel32@lo+4
	s_addc_u32 s7, s7, _ZL14no_device_codePKciS0_iS0_@rel32@hi+12
	s_swappc_b64 s[30:31], s[6:7]
	.section	.rodata,"a",@progbits
	.p2align	6, 0x0
	.amdhsa_kernel _ZL9mul_mat_fI15__hip_bfloat162Li32ELi13ELi7ELb0EEvPKT_PKfPKiPfiiiiiiiiiiiiiiii
		.amdhsa_group_segment_fixed_size 0
		.amdhsa_private_segment_fixed_size 16
		.amdhsa_kernarg_size 352
		.amdhsa_user_sgpr_count 8
		.amdhsa_user_sgpr_private_segment_buffer 1
		.amdhsa_user_sgpr_dispatch_ptr 0
		.amdhsa_user_sgpr_queue_ptr 0
		.amdhsa_user_sgpr_kernarg_segment_ptr 1
		.amdhsa_user_sgpr_dispatch_id 0
		.amdhsa_user_sgpr_flat_scratch_init 1
		.amdhsa_user_sgpr_kernarg_preload_length 0
		.amdhsa_user_sgpr_kernarg_preload_offset 0
		.amdhsa_user_sgpr_private_segment_size 0
		.amdhsa_uses_dynamic_stack 0
		.amdhsa_system_sgpr_private_segment_wavefront_offset 1
		.amdhsa_system_sgpr_workgroup_id_x 1
		.amdhsa_system_sgpr_workgroup_id_y 0
		.amdhsa_system_sgpr_workgroup_id_z 0
		.amdhsa_system_sgpr_workgroup_info 0
		.amdhsa_system_vgpr_workitem_id 0
		.amdhsa_next_free_vgpr 41
		.amdhsa_next_free_sgpr 34
		.amdhsa_accum_offset 44
		.amdhsa_reserve_vcc 1
		.amdhsa_reserve_flat_scratch 1
		.amdhsa_float_round_mode_32 0
		.amdhsa_float_round_mode_16_64 0
		.amdhsa_float_denorm_mode_32 3
		.amdhsa_float_denorm_mode_16_64 3
		.amdhsa_dx10_clamp 1
		.amdhsa_ieee_mode 1
		.amdhsa_fp16_overflow 0
		.amdhsa_tg_split 0
		.amdhsa_exception_fp_ieee_invalid_op 0
		.amdhsa_exception_fp_denorm_src 0
		.amdhsa_exception_fp_ieee_div_zero 0
		.amdhsa_exception_fp_ieee_overflow 0
		.amdhsa_exception_fp_ieee_underflow 0
		.amdhsa_exception_fp_ieee_inexact 0
		.amdhsa_exception_int_div_zero 0
	.end_amdhsa_kernel
	.section	.text._ZL9mul_mat_fI15__hip_bfloat162Li32ELi13ELi7ELb0EEvPKT_PKfPKiPfiiiiiiiiiiiiiiii,"axG",@progbits,_ZL9mul_mat_fI15__hip_bfloat162Li32ELi13ELi7ELb0EEvPKT_PKfPKiPfiiiiiiiiiiiiiiii,comdat
.Lfunc_end71:
	.size	_ZL9mul_mat_fI15__hip_bfloat162Li32ELi13ELi7ELb0EEvPKT_PKfPKiPfiiiiiiiiiiiiiiii, .Lfunc_end71-_ZL9mul_mat_fI15__hip_bfloat162Li32ELi13ELi7ELb0EEvPKT_PKfPKiPfiiiiiiiiiiiiiiii
                                        ; -- End function
	.section	.AMDGPU.csdata,"",@progbits
; Kernel info:
; codeLenInByte = 88
; NumSgprs: 40
; NumVgprs: 41
; NumAgprs: 0
; TotalNumVgprs: 41
; ScratchSize: 16
; MemoryBound: 0
; FloatMode: 240
; IeeeMode: 1
; LDSByteSize: 0 bytes/workgroup (compile time only)
; SGPRBlocks: 4
; VGPRBlocks: 5
; NumSGPRsForWavesPerEU: 40
; NumVGPRsForWavesPerEU: 41
; AccumOffset: 44
; Occupancy: 7
; WaveLimiterHint : 1
; COMPUTE_PGM_RSRC2:SCRATCH_EN: 1
; COMPUTE_PGM_RSRC2:USER_SGPR: 8
; COMPUTE_PGM_RSRC2:TRAP_HANDLER: 0
; COMPUTE_PGM_RSRC2:TGID_X_EN: 1
; COMPUTE_PGM_RSRC2:TGID_Y_EN: 0
; COMPUTE_PGM_RSRC2:TGID_Z_EN: 0
; COMPUTE_PGM_RSRC2:TIDIG_COMP_CNT: 0
; COMPUTE_PGM_RSRC3_GFX90A:ACCUM_OFFSET: 10
; COMPUTE_PGM_RSRC3_GFX90A:TG_SPLIT: 0
	.section	.text._ZL13mul_mat_f_idsI15__hip_bfloat162Li32ELi13ELi8EEvPKT_PKfPKiS7_S7_Pfiiiiiiiiiiiiii15HIP_vector_typeIjLj3EESA_,"axG",@progbits,_ZL13mul_mat_f_idsI15__hip_bfloat162Li32ELi13ELi8EEvPKT_PKfPKiS7_S7_Pfiiiiiiiiiiiiii15HIP_vector_typeIjLj3EESA_,comdat
	.globl	_ZL13mul_mat_f_idsI15__hip_bfloat162Li32ELi13ELi8EEvPKT_PKfPKiS7_S7_Pfiiiiiiiiiiiiii15HIP_vector_typeIjLj3EESA_ ; -- Begin function _ZL13mul_mat_f_idsI15__hip_bfloat162Li32ELi13ELi8EEvPKT_PKfPKiS7_S7_Pfiiiiiiiiiiiiii15HIP_vector_typeIjLj3EESA_
	.p2align	8
	.type	_ZL13mul_mat_f_idsI15__hip_bfloat162Li32ELi13ELi8EEvPKT_PKfPKiS7_S7_Pfiiiiiiiiiiiiii15HIP_vector_typeIjLj3EESA_,@function
_ZL13mul_mat_f_idsI15__hip_bfloat162Li32ELi13ELi8EEvPKT_PKfPKiS7_S7_Pfiiiiiiiiiiiiii15HIP_vector_typeIjLj3EESA_: ; @_ZL13mul_mat_f_idsI15__hip_bfloat162Li32ELi13ELi8EEvPKT_PKfPKiS7_S7_Pfiiiiiiiiiiiiii15HIP_vector_typeIjLj3EESA_
; %bb.0:
	s_add_u32 flat_scratch_lo, s6, s9
	s_addc_u32 flat_scratch_hi, s7, 0
	s_add_u32 s0, s0, s9
	s_addc_u32 s1, s1, 0
	s_add_u32 s8, s4, 0x80
	s_addc_u32 s9, s5, 0
	s_getpc_b64 s[4:5]
	s_add_u32 s4, s4, __FUNCTION__._ZL13mul_mat_f_idsIfLi32ELi13ELi1EEvPKT_PKfPKiS6_S6_Pfiiiiiiiiiiiiii15HIP_vector_typeIjLj3EES9_@rel32@lo+4
	s_addc_u32 s5, s5, __FUNCTION__._ZL13mul_mat_f_idsIfLi32ELi13ELi1EEvPKT_PKfPKiS6_S6_Pfiiiiiiiiiiiiii15HIP_vector_typeIjLj3EES9_@rel32@hi+12
	v_mov_b32_e32 v0, 0x13b
	v_mov_b32_e32 v1, s4
	v_mov_b32_e32 v2, s5
	s_mov_b32 s32, 0
	s_getpc_b64 s[6:7]
	s_add_u32 s6, s6, _ZL14no_device_codePKciS0_iS0_@rel32@lo+4
	s_addc_u32 s7, s7, _ZL14no_device_codePKciS0_iS0_@rel32@hi+12
	s_swappc_b64 s[30:31], s[6:7]
	.section	.rodata,"a",@progbits
	.p2align	6, 0x0
	.amdhsa_kernel _ZL13mul_mat_f_idsI15__hip_bfloat162Li32ELi13ELi8EEvPKT_PKfPKiS7_S7_Pfiiiiiiiiiiiiii15HIP_vector_typeIjLj3EESA_
		.amdhsa_group_segment_fixed_size 0
		.amdhsa_private_segment_fixed_size 16
		.amdhsa_kernarg_size 384
		.amdhsa_user_sgpr_count 8
		.amdhsa_user_sgpr_private_segment_buffer 1
		.amdhsa_user_sgpr_dispatch_ptr 0
		.amdhsa_user_sgpr_queue_ptr 0
		.amdhsa_user_sgpr_kernarg_segment_ptr 1
		.amdhsa_user_sgpr_dispatch_id 0
		.amdhsa_user_sgpr_flat_scratch_init 1
		.amdhsa_user_sgpr_kernarg_preload_length 0
		.amdhsa_user_sgpr_kernarg_preload_offset 0
		.amdhsa_user_sgpr_private_segment_size 0
		.amdhsa_uses_dynamic_stack 0
		.amdhsa_system_sgpr_private_segment_wavefront_offset 1
		.amdhsa_system_sgpr_workgroup_id_x 1
		.amdhsa_system_sgpr_workgroup_id_y 0
		.amdhsa_system_sgpr_workgroup_id_z 0
		.amdhsa_system_sgpr_workgroup_info 0
		.amdhsa_system_vgpr_workitem_id 0
		.amdhsa_next_free_vgpr 41
		.amdhsa_next_free_sgpr 34
		.amdhsa_accum_offset 44
		.amdhsa_reserve_vcc 1
		.amdhsa_reserve_flat_scratch 1
		.amdhsa_float_round_mode_32 0
		.amdhsa_float_round_mode_16_64 0
		.amdhsa_float_denorm_mode_32 3
		.amdhsa_float_denorm_mode_16_64 3
		.amdhsa_dx10_clamp 1
		.amdhsa_ieee_mode 1
		.amdhsa_fp16_overflow 0
		.amdhsa_tg_split 0
		.amdhsa_exception_fp_ieee_invalid_op 0
		.amdhsa_exception_fp_denorm_src 0
		.amdhsa_exception_fp_ieee_div_zero 0
		.amdhsa_exception_fp_ieee_overflow 0
		.amdhsa_exception_fp_ieee_underflow 0
		.amdhsa_exception_fp_ieee_inexact 0
		.amdhsa_exception_int_div_zero 0
	.end_amdhsa_kernel
	.section	.text._ZL13mul_mat_f_idsI15__hip_bfloat162Li32ELi13ELi8EEvPKT_PKfPKiS7_S7_Pfiiiiiiiiiiiiii15HIP_vector_typeIjLj3EESA_,"axG",@progbits,_ZL13mul_mat_f_idsI15__hip_bfloat162Li32ELi13ELi8EEvPKT_PKfPKiS7_S7_Pfiiiiiiiiiiiiii15HIP_vector_typeIjLj3EESA_,comdat
.Lfunc_end72:
	.size	_ZL13mul_mat_f_idsI15__hip_bfloat162Li32ELi13ELi8EEvPKT_PKfPKiS7_S7_Pfiiiiiiiiiiiiii15HIP_vector_typeIjLj3EESA_, .Lfunc_end72-_ZL13mul_mat_f_idsI15__hip_bfloat162Li32ELi13ELi8EEvPKT_PKfPKiS7_S7_Pfiiiiiiiiiiiiii15HIP_vector_typeIjLj3EESA_
                                        ; -- End function
	.section	.AMDGPU.csdata,"",@progbits
; Kernel info:
; codeLenInByte = 92
; NumSgprs: 40
; NumVgprs: 41
; NumAgprs: 0
; TotalNumVgprs: 41
; ScratchSize: 16
; MemoryBound: 0
; FloatMode: 240
; IeeeMode: 1
; LDSByteSize: 0 bytes/workgroup (compile time only)
; SGPRBlocks: 4
; VGPRBlocks: 5
; NumSGPRsForWavesPerEU: 40
; NumVGPRsForWavesPerEU: 41
; AccumOffset: 44
; Occupancy: 8
; WaveLimiterHint : 1
; COMPUTE_PGM_RSRC2:SCRATCH_EN: 1
; COMPUTE_PGM_RSRC2:USER_SGPR: 8
; COMPUTE_PGM_RSRC2:TRAP_HANDLER: 0
; COMPUTE_PGM_RSRC2:TGID_X_EN: 1
; COMPUTE_PGM_RSRC2:TGID_Y_EN: 0
; COMPUTE_PGM_RSRC2:TGID_Z_EN: 0
; COMPUTE_PGM_RSRC2:TIDIG_COMP_CNT: 0
; COMPUTE_PGM_RSRC3_GFX90A:ACCUM_OFFSET: 10
; COMPUTE_PGM_RSRC3_GFX90A:TG_SPLIT: 0
	.section	.text._ZL9mul_mat_fI15__hip_bfloat162Li32ELi13ELi8ELb1EEvPKT_PKfPKiPfiiiiiiiiiiiiiiii,"axG",@progbits,_ZL9mul_mat_fI15__hip_bfloat162Li32ELi13ELi8ELb1EEvPKT_PKfPKiPfiiiiiiiiiiiiiiii,comdat
	.globl	_ZL9mul_mat_fI15__hip_bfloat162Li32ELi13ELi8ELb1EEvPKT_PKfPKiPfiiiiiiiiiiiiiiii ; -- Begin function _ZL9mul_mat_fI15__hip_bfloat162Li32ELi13ELi8ELb1EEvPKT_PKfPKiPfiiiiiiiiiiiiiiii
	.p2align	8
	.type	_ZL9mul_mat_fI15__hip_bfloat162Li32ELi13ELi8ELb1EEvPKT_PKfPKiPfiiiiiiiiiiiiiiii,@function
_ZL9mul_mat_fI15__hip_bfloat162Li32ELi13ELi8ELb1EEvPKT_PKfPKiPfiiiiiiiiiiiiiiii: ; @_ZL9mul_mat_fI15__hip_bfloat162Li32ELi13ELi8ELb1EEvPKT_PKfPKiPfiiiiiiiiiiiiiiii
; %bb.0:
	s_add_u32 flat_scratch_lo, s6, s9
	s_addc_u32 flat_scratch_hi, s7, 0
	s_add_u32 s0, s0, s9
	s_addc_u32 s1, s1, 0
	s_add_u32 s8, s4, 0x60
	s_addc_u32 s9, s5, 0
	s_getpc_b64 s[4:5]
	s_add_u32 s4, s4, __FUNCTION__._ZL9mul_mat_fIfLi32ELi13ELi1ELb1EEvPKT_PKfPKiPfiiiiiiiiiiiiiiii@rel32@lo+4
	s_addc_u32 s5, s5, __FUNCTION__._ZL9mul_mat_fIfLi32ELi13ELi1ELb1EEvPKT_PKfPKiPfiiiiiiiiiiiiiiii@rel32@hi+12
	v_mov_b32_e32 v0, 64
	v_mov_b32_e32 v1, s4
	;; [unrolled: 1-line block ×3, first 2 shown]
	s_mov_b32 s32, 0
	s_getpc_b64 s[6:7]
	s_add_u32 s6, s6, _ZL14no_device_codePKciS0_iS0_@rel32@lo+4
	s_addc_u32 s7, s7, _ZL14no_device_codePKciS0_iS0_@rel32@hi+12
	s_swappc_b64 s[30:31], s[6:7]
	.section	.rodata,"a",@progbits
	.p2align	6, 0x0
	.amdhsa_kernel _ZL9mul_mat_fI15__hip_bfloat162Li32ELi13ELi8ELb1EEvPKT_PKfPKiPfiiiiiiiiiiiiiiii
		.amdhsa_group_segment_fixed_size 0
		.amdhsa_private_segment_fixed_size 16
		.amdhsa_kernarg_size 352
		.amdhsa_user_sgpr_count 8
		.amdhsa_user_sgpr_private_segment_buffer 1
		.amdhsa_user_sgpr_dispatch_ptr 0
		.amdhsa_user_sgpr_queue_ptr 0
		.amdhsa_user_sgpr_kernarg_segment_ptr 1
		.amdhsa_user_sgpr_dispatch_id 0
		.amdhsa_user_sgpr_flat_scratch_init 1
		.amdhsa_user_sgpr_kernarg_preload_length 0
		.amdhsa_user_sgpr_kernarg_preload_offset 0
		.amdhsa_user_sgpr_private_segment_size 0
		.amdhsa_uses_dynamic_stack 0
		.amdhsa_system_sgpr_private_segment_wavefront_offset 1
		.amdhsa_system_sgpr_workgroup_id_x 1
		.amdhsa_system_sgpr_workgroup_id_y 0
		.amdhsa_system_sgpr_workgroup_id_z 0
		.amdhsa_system_sgpr_workgroup_info 0
		.amdhsa_system_vgpr_workitem_id 0
		.amdhsa_next_free_vgpr 41
		.amdhsa_next_free_sgpr 34
		.amdhsa_accum_offset 44
		.amdhsa_reserve_vcc 1
		.amdhsa_reserve_flat_scratch 1
		.amdhsa_float_round_mode_32 0
		.amdhsa_float_round_mode_16_64 0
		.amdhsa_float_denorm_mode_32 3
		.amdhsa_float_denorm_mode_16_64 3
		.amdhsa_dx10_clamp 1
		.amdhsa_ieee_mode 1
		.amdhsa_fp16_overflow 0
		.amdhsa_tg_split 0
		.amdhsa_exception_fp_ieee_invalid_op 0
		.amdhsa_exception_fp_denorm_src 0
		.amdhsa_exception_fp_ieee_div_zero 0
		.amdhsa_exception_fp_ieee_overflow 0
		.amdhsa_exception_fp_ieee_underflow 0
		.amdhsa_exception_fp_ieee_inexact 0
		.amdhsa_exception_int_div_zero 0
	.end_amdhsa_kernel
	.section	.text._ZL9mul_mat_fI15__hip_bfloat162Li32ELi13ELi8ELb1EEvPKT_PKfPKiPfiiiiiiiiiiiiiiii,"axG",@progbits,_ZL9mul_mat_fI15__hip_bfloat162Li32ELi13ELi8ELb1EEvPKT_PKfPKiPfiiiiiiiiiiiiiiii,comdat
.Lfunc_end73:
	.size	_ZL9mul_mat_fI15__hip_bfloat162Li32ELi13ELi8ELb1EEvPKT_PKfPKiPfiiiiiiiiiiiiiiii, .Lfunc_end73-_ZL9mul_mat_fI15__hip_bfloat162Li32ELi13ELi8ELb1EEvPKT_PKfPKiPfiiiiiiiiiiiiiiii
                                        ; -- End function
	.section	.AMDGPU.csdata,"",@progbits
; Kernel info:
; codeLenInByte = 88
; NumSgprs: 40
; NumVgprs: 41
; NumAgprs: 0
; TotalNumVgprs: 41
; ScratchSize: 16
; MemoryBound: 0
; FloatMode: 240
; IeeeMode: 1
; LDSByteSize: 0 bytes/workgroup (compile time only)
; SGPRBlocks: 4
; VGPRBlocks: 5
; NumSGPRsForWavesPerEU: 40
; NumVGPRsForWavesPerEU: 41
; AccumOffset: 44
; Occupancy: 8
; WaveLimiterHint : 1
; COMPUTE_PGM_RSRC2:SCRATCH_EN: 1
; COMPUTE_PGM_RSRC2:USER_SGPR: 8
; COMPUTE_PGM_RSRC2:TRAP_HANDLER: 0
; COMPUTE_PGM_RSRC2:TGID_X_EN: 1
; COMPUTE_PGM_RSRC2:TGID_Y_EN: 0
; COMPUTE_PGM_RSRC2:TGID_Z_EN: 0
; COMPUTE_PGM_RSRC2:TIDIG_COMP_CNT: 0
; COMPUTE_PGM_RSRC3_GFX90A:ACCUM_OFFSET: 10
; COMPUTE_PGM_RSRC3_GFX90A:TG_SPLIT: 0
	.section	.text._ZL9mul_mat_fI15__hip_bfloat162Li32ELi13ELi8ELb0EEvPKT_PKfPKiPfiiiiiiiiiiiiiiii,"axG",@progbits,_ZL9mul_mat_fI15__hip_bfloat162Li32ELi13ELi8ELb0EEvPKT_PKfPKiPfiiiiiiiiiiiiiiii,comdat
	.globl	_ZL9mul_mat_fI15__hip_bfloat162Li32ELi13ELi8ELb0EEvPKT_PKfPKiPfiiiiiiiiiiiiiiii ; -- Begin function _ZL9mul_mat_fI15__hip_bfloat162Li32ELi13ELi8ELb0EEvPKT_PKfPKiPfiiiiiiiiiiiiiiii
	.p2align	8
	.type	_ZL9mul_mat_fI15__hip_bfloat162Li32ELi13ELi8ELb0EEvPKT_PKfPKiPfiiiiiiiiiiiiiiii,@function
_ZL9mul_mat_fI15__hip_bfloat162Li32ELi13ELi8ELb0EEvPKT_PKfPKiPfiiiiiiiiiiiiiiii: ; @_ZL9mul_mat_fI15__hip_bfloat162Li32ELi13ELi8ELb0EEvPKT_PKfPKiPfiiiiiiiiiiiiiiii
; %bb.0:
	s_add_u32 flat_scratch_lo, s6, s9
	s_addc_u32 flat_scratch_hi, s7, 0
	s_add_u32 s0, s0, s9
	s_addc_u32 s1, s1, 0
	s_add_u32 s8, s4, 0x60
	s_addc_u32 s9, s5, 0
	s_getpc_b64 s[4:5]
	s_add_u32 s4, s4, __FUNCTION__._ZL9mul_mat_fIfLi32ELi13ELi1ELb1EEvPKT_PKfPKiPfiiiiiiiiiiiiiiii@rel32@lo+4
	s_addc_u32 s5, s5, __FUNCTION__._ZL9mul_mat_fIfLi32ELi13ELi1ELb1EEvPKT_PKfPKiPfiiiiiiiiiiiiiiii@rel32@hi+12
	v_mov_b32_e32 v0, 64
	v_mov_b32_e32 v1, s4
	;; [unrolled: 1-line block ×3, first 2 shown]
	s_mov_b32 s32, 0
	s_getpc_b64 s[6:7]
	s_add_u32 s6, s6, _ZL14no_device_codePKciS0_iS0_@rel32@lo+4
	s_addc_u32 s7, s7, _ZL14no_device_codePKciS0_iS0_@rel32@hi+12
	s_swappc_b64 s[30:31], s[6:7]
	.section	.rodata,"a",@progbits
	.p2align	6, 0x0
	.amdhsa_kernel _ZL9mul_mat_fI15__hip_bfloat162Li32ELi13ELi8ELb0EEvPKT_PKfPKiPfiiiiiiiiiiiiiiii
		.amdhsa_group_segment_fixed_size 0
		.amdhsa_private_segment_fixed_size 16
		.amdhsa_kernarg_size 352
		.amdhsa_user_sgpr_count 8
		.amdhsa_user_sgpr_private_segment_buffer 1
		.amdhsa_user_sgpr_dispatch_ptr 0
		.amdhsa_user_sgpr_queue_ptr 0
		.amdhsa_user_sgpr_kernarg_segment_ptr 1
		.amdhsa_user_sgpr_dispatch_id 0
		.amdhsa_user_sgpr_flat_scratch_init 1
		.amdhsa_user_sgpr_kernarg_preload_length 0
		.amdhsa_user_sgpr_kernarg_preload_offset 0
		.amdhsa_user_sgpr_private_segment_size 0
		.amdhsa_uses_dynamic_stack 0
		.amdhsa_system_sgpr_private_segment_wavefront_offset 1
		.amdhsa_system_sgpr_workgroup_id_x 1
		.amdhsa_system_sgpr_workgroup_id_y 0
		.amdhsa_system_sgpr_workgroup_id_z 0
		.amdhsa_system_sgpr_workgroup_info 0
		.amdhsa_system_vgpr_workitem_id 0
		.amdhsa_next_free_vgpr 41
		.amdhsa_next_free_sgpr 34
		.amdhsa_accum_offset 44
		.amdhsa_reserve_vcc 1
		.amdhsa_reserve_flat_scratch 1
		.amdhsa_float_round_mode_32 0
		.amdhsa_float_round_mode_16_64 0
		.amdhsa_float_denorm_mode_32 3
		.amdhsa_float_denorm_mode_16_64 3
		.amdhsa_dx10_clamp 1
		.amdhsa_ieee_mode 1
		.amdhsa_fp16_overflow 0
		.amdhsa_tg_split 0
		.amdhsa_exception_fp_ieee_invalid_op 0
		.amdhsa_exception_fp_denorm_src 0
		.amdhsa_exception_fp_ieee_div_zero 0
		.amdhsa_exception_fp_ieee_overflow 0
		.amdhsa_exception_fp_ieee_underflow 0
		.amdhsa_exception_fp_ieee_inexact 0
		.amdhsa_exception_int_div_zero 0
	.end_amdhsa_kernel
	.section	.text._ZL9mul_mat_fI15__hip_bfloat162Li32ELi13ELi8ELb0EEvPKT_PKfPKiPfiiiiiiiiiiiiiiii,"axG",@progbits,_ZL9mul_mat_fI15__hip_bfloat162Li32ELi13ELi8ELb0EEvPKT_PKfPKiPfiiiiiiiiiiiiiiii,comdat
.Lfunc_end74:
	.size	_ZL9mul_mat_fI15__hip_bfloat162Li32ELi13ELi8ELb0EEvPKT_PKfPKiPfiiiiiiiiiiiiiiii, .Lfunc_end74-_ZL9mul_mat_fI15__hip_bfloat162Li32ELi13ELi8ELb0EEvPKT_PKfPKiPfiiiiiiiiiiiiiiii
                                        ; -- End function
	.section	.AMDGPU.csdata,"",@progbits
; Kernel info:
; codeLenInByte = 88
; NumSgprs: 40
; NumVgprs: 41
; NumAgprs: 0
; TotalNumVgprs: 41
; ScratchSize: 16
; MemoryBound: 0
; FloatMode: 240
; IeeeMode: 1
; LDSByteSize: 0 bytes/workgroup (compile time only)
; SGPRBlocks: 4
; VGPRBlocks: 5
; NumSGPRsForWavesPerEU: 40
; NumVGPRsForWavesPerEU: 41
; AccumOffset: 44
; Occupancy: 8
; WaveLimiterHint : 1
; COMPUTE_PGM_RSRC2:SCRATCH_EN: 1
; COMPUTE_PGM_RSRC2:USER_SGPR: 8
; COMPUTE_PGM_RSRC2:TRAP_HANDLER: 0
; COMPUTE_PGM_RSRC2:TGID_X_EN: 1
; COMPUTE_PGM_RSRC2:TGID_Y_EN: 0
; COMPUTE_PGM_RSRC2:TGID_Z_EN: 0
; COMPUTE_PGM_RSRC2:TIDIG_COMP_CNT: 0
; COMPUTE_PGM_RSRC3_GFX90A:ACCUM_OFFSET: 10
; COMPUTE_PGM_RSRC3_GFX90A:TG_SPLIT: 0
	.section	.text._ZL13mul_mat_f_idsIfLi64ELi13ELi1EEvPKT_PKfPKiS6_S6_Pfiiiiiiiiiiiiii15HIP_vector_typeIjLj3EES9_,"axG",@progbits,_ZL13mul_mat_f_idsIfLi64ELi13ELi1EEvPKT_PKfPKiS6_S6_Pfiiiiiiiiiiiiii15HIP_vector_typeIjLj3EES9_,comdat
	.globl	_ZL13mul_mat_f_idsIfLi64ELi13ELi1EEvPKT_PKfPKiS6_S6_Pfiiiiiiiiiiiiii15HIP_vector_typeIjLj3EES9_ ; -- Begin function _ZL13mul_mat_f_idsIfLi64ELi13ELi1EEvPKT_PKfPKiS6_S6_Pfiiiiiiiiiiiiii15HIP_vector_typeIjLj3EES9_
	.p2align	8
	.type	_ZL13mul_mat_f_idsIfLi64ELi13ELi1EEvPKT_PKfPKiS6_S6_Pfiiiiiiiiiiiiii15HIP_vector_typeIjLj3EES9_,@function
_ZL13mul_mat_f_idsIfLi64ELi13ELi1EEvPKT_PKfPKiS6_S6_Pfiiiiiiiiiiiiii15HIP_vector_typeIjLj3EES9_: ; @_ZL13mul_mat_f_idsIfLi64ELi13ELi1EEvPKT_PKfPKiS6_S6_Pfiiiiiiiiiiiiii15HIP_vector_typeIjLj3EES9_
; %bb.0:
	s_load_dwordx2 s[0:1], s[4:5], 0x20
	s_mov_b32 s34, s7
	s_ashr_i32 s35, s7, 31
	s_lshl_b64 s[2:3], s[34:35], 2
	s_waitcnt lgkmcnt(0)
	s_add_u32 s0, s0, s2
	s_addc_u32 s1, s1, s3
	s_load_dwordx2 s[26:27], s[0:1], 0x0
	s_waitcnt lgkmcnt(0)
	s_sub_i32 s33, s27, s26
	s_add_i32 s0, s33, 12
	s_mul_hi_i32 s0, s0, 0x4ec4ec4f
	s_lshr_b32 s1, s0, 31
	s_ashr_i32 s0, s0, 2
	s_add_i32 s0, s0, s1
	s_cmp_ge_i32 s8, s0
	s_cbranch_scc1 .LBB75_85
; %bb.1:
	v_bfe_u32 v66, v0, 10, 10
	v_lshlrev_b32_e32 v68, 6, v66
	v_and_b32_e32 v67, 0x3ff, v0
	s_load_dwordx4 s[12:15], s[4:5], 0x30
	s_load_dwordx2 s[20:21], s[4:5], 0x40
	s_load_dwordx4 s[0:3], s[4:5], 0x4c
	s_load_dwordx4 s[16:19], s[4:5], 0x68
	s_load_dwordx2 s[24:25], s[4:5], 0x78
	v_or_b32_e32 v70, v68, v67
	s_ashr_i32 s27, s26, 31
	s_waitcnt lgkmcnt(0)
	v_cmp_le_i32_e32 vcc, s12, v70
	v_and_b32_e32 v0, 15, v67
                                        ; implicit-def: $sgpr3
                                        ; implicit-def: $vgpr69
	s_and_saveexec_b64 s[10:11], vcc
	s_xor_b64 s[10:11], exec, s[10:11]
; %bb.2:
	v_mul_u32_u24_e32 v69, 0x108, v0
	s_mov_b32 s3, 0
                                        ; implicit-def: $vgpr70
                                        ; implicit-def: $vgpr0
; %bb.3:
	s_or_saveexec_b64 s[22:23], s[10:11]
	s_load_dwordx2 s[10:11], s[4:5], 0x18
                                        ; implicit-def: $vgpr92 : SGPR spill to VGPR lane
	s_lshl_b32 s7, s6, 6
	s_mul_i32 s6, s8, 13
	v_accvgpr_write_b32 a0, s3
	v_accvgpr_write_b32 a1, s3
	s_waitcnt lgkmcnt(0)
	v_writelane_b32 v92, s10, 0
	v_writelane_b32 v92, s11, 1
	s_load_dwordx2 s[10:11], s[4:5], 0x28
	v_accvgpr_write_b32 a2, s3
	v_accvgpr_write_b32 a3, s3
	;; [unrolled: 1-line block ×4, first 2 shown]
	s_waitcnt lgkmcnt(0)
	v_writelane_b32 v92, s10, 2
	v_writelane_b32 v92, s11, 3
	v_accvgpr_write_b32 a6, s3
	v_accvgpr_write_b32 a7, s3
	;; [unrolled: 1-line block ×10, first 2 shown]
	v_writelane_b32 v92, s22, 4
	v_writelane_b32 v92, s23, 5
	s_xor_b64 exec, exec, s[22:23]
	s_cbranch_execz .LBB75_46
; %bb.4:
	v_writelane_b32 v92, s24, 6
	v_writelane_b32 v92, s25, 7
	s_load_dwordx4 s[8:11], s[4:5], 0x0
	s_load_dwordx2 s[22:23], s[4:5], 0x10
	s_mul_i32 s4, s34, s0
	s_mul_i32 s24, s7, s15
	s_ashr_i32 s5, s4, 31
	s_ashr_i32 s25, s24, 31
	s_lshl_b64 s[24:25], s[24:25], 2
	s_lshl_b64 s[4:5], s[4:5], 2
	s_add_u32 s3, s4, s24
	s_addc_u32 s24, s5, s25
	v_writelane_b32 v92, s7, 8
	s_waitcnt lgkmcnt(0)
	s_add_u32 s0, s3, s8
	s_addc_u32 s25, s24, s9
	v_writelane_b32 v92, s26, 9
	s_lshl_b64 s[4:5], s[26:27], 2
	v_writelane_b32 v92, s27, 10
	s_add_u32 s26, s22, s4
	s_addc_u32 s27, s23, s5
	s_movk_i32 s4, 0x1080
	s_cmp_lt_i32 s6, s33
	v_mad_u32_u24 v1, v66, s4, 0
	s_cselect_b64 s[4:5], -1, 0
	s_ashr_i32 s7, s6, 31
	s_lshl_b64 s[22:23], s[6:7], 2
	s_add_u32 s34, s26, s22
	s_addc_u32 s35, s27, s23
	s_add_i32 s7, s6, 1
	s_cmp_lt_i32 s7, s33
	s_cselect_b64 s[36:37], -1, 0
	s_add_i32 s7, s6, 2
	s_cmp_lt_i32 s7, s33
	s_cselect_b64 s[38:39], -1, 0
	;; [unrolled: 3-line block ×3, first 2 shown]
	s_add_i32 s7, s6, 4
	s_cmp_lt_i32 s7, s33
	v_mul_u32_u24_e32 v69, 0x108, v0
	v_lshrrev_b32_e32 v0, 1, v67
	s_cselect_b64 s[42:43], -1, 0
	s_add_i32 s7, s6, 5
	v_and_b32_e32 v0, 0x1f8, v0
	s_cmp_lt_i32 s7, s33
	v_add3_u32 v72, v1, v69, v0
	s_cselect_b64 s[44:45], -1, 0
	s_add_i32 s7, s6, 6
	v_lshlrev_b32_e32 v0, 8, v66
	s_cmp_lt_i32 s7, s33
	v_add_co_u32_e32 v0, vcc, s3, v0
	s_mul_i32 s3, s15, 3
	s_cselect_b64 s[46:47], -1, 0
	s_add_i32 s7, s6, 7
	v_writelane_b32 v92, s3, 11
	s_mul_i32 s3, s15, 5
	s_cmp_lt_i32 s7, s33
	v_writelane_b32 v92, s3, 12
	s_mul_i32 s3, s15, 6
	s_cselect_b64 s[48:49], -1, 0
	s_add_i32 s7, s6, 8
	v_writelane_b32 v92, s3, 13
	s_mul_i32 s3, s15, 7
	s_cmp_lt_i32 s7, s33
	v_writelane_b32 v92, s3, 14
	;; [unrolled: 7-line block ×4, first 2 shown]
	s_mul_i32 s3, s15, 13
	v_lshlrev_b32_e32 v2, 2, v67
	s_cselect_b64 s[54:55], -1, 0
	s_add_i32 s7, s6, 11
	v_writelane_b32 v92, s3, 19
	s_mul_i32 s3, s15, 14
	v_add_u32_e32 v71, v1, v2
	s_cmp_lt_i32 s7, s33
	v_mov_b32_e32 v1, s24
	v_writelane_b32 v92, s3, 20
	s_mul_i32 s3, s15, 15
	s_cselect_b64 s[56:57], -1, 0
	s_add_i32 s7, s6, 12
	v_addc_co_u32_e32 v1, vcc, 0, v1, vcc
	v_writelane_b32 v92, s3, 21
	s_mul_i32 s3, s15, 17
	s_cmp_lt_i32 s7, s33
	v_add_co_u32_e32 v0, vcc, v0, v2
	v_writelane_b32 v92, s3, 22
	s_mul_i32 s3, s15, 18
	s_cselect_b64 s[58:59], -1, 0
	s_ashr_i32 s23, s15, 31
	s_mov_b32 s22, s15
	v_addc_co_u32_e32 v1, vcc, 0, v1, vcc
	v_writelane_b32 v92, s3, 23
	s_mul_i32 s3, s15, 19
	s_lshl_b64 s[60:61], s[22:23], 2
	v_mov_b32_e32 v2, s9
	v_add_co_u32_e32 v0, vcc, s8, v0
	v_writelane_b32 v92, s3, 24
	s_mul_i32 s3, s15, 20
	v_addc_co_u32_e32 v1, vcc, v2, v1, vcc
	s_lshl_b32 s7, s15, 1
	s_lshl_b32 s63, s15, 2
	;; [unrolled: 1-line block ×4, first 2 shown]
	v_writelane_b32 v92, s3, 25
	s_mul_i32 s80, s15, 21
	s_mul_i32 s81, s15, 22
	;; [unrolled: 1-line block ×9, first 2 shown]
	v_mov_b32_e32 v73, s25
	s_mul_i32 s89, s15, 30
	v_mov_b32_e32 v74, 0
	v_accvgpr_write_b32 a15, 0
	v_accvgpr_write_b32 a14, 0
	;; [unrolled: 1-line block ×16, first 2 shown]
	v_mov_b32_e32 v75, s61
	s_mul_i32 s61, s15, 31
	s_lshl_b32 s90, s15, 5
	s_mul_i32 s91, s15, 33
	s_mul_i32 s92, s15, 34
	;; [unrolled: 1-line block ×31, first 2 shown]
	s_mov_b64 s[8:9], 0
	s_branch .LBB75_6
.LBB75_5:                               ;   in Loop: Header=BB75_6 Depth=1
	s_waitcnt vmcnt(0)
	ds_write2_b32 v71, v76, v78 offset1:66
	ds_write2_b32 v71, v77, v80 offset0:132 offset1:198
	v_add_u32_e32 v76, 0x400, v71
	ds_write2_b32 v76, v79, v82 offset0:8 offset1:74
	ds_write2_b32 v76, v81, v84 offset0:140 offset1:206
	v_add_u32_e32 v76, 0x800, v71
	ds_write2_b32 v76, v83, v86 offset0:16 offset1:82
	;; [unrolled: 3-line block ×3, first 2 shown]
	ds_write2_b32 v76, v74, v74 offset0:156 offset1:222
	ds_read2_b64 v[76:79], v72 offset1:4
	v_add_co_u32_e32 v0, vcc, 0x100, v0
	s_waitcnt lgkmcnt(0)
	v_mfma_f32_16x16x4f32 a[0:3], v28, v76, a[0:3]
	v_add_u32_e32 v70, 64, v70
	v_addc_co_u32_e32 v1, vcc, 0, v1, vcc
	v_cmp_le_i32_e32 vcc, s12, v70
	s_or_b64 s[8:9], vcc, s[8:9]
	v_mfma_f32_16x16x4f32 a[4:7], v44, v76, a[4:7]
	v_mfma_f32_16x16x4f32 a[8:11], v52, v76, a[8:11]
	;; [unrolled: 1-line block ×15, first 2 shown]
	ds_read2_b64 v[62:65], v72 offset0:8 offset1:12
	s_waitcnt lgkmcnt(0)
	v_mfma_f32_16x16x4f32 a[0:3], v16, v62, a[0:3]
	v_mfma_f32_16x16x4f32 a[4:7], v34, v62, a[4:7]
	;; [unrolled: 1-line block ×14, first 2 shown]
	ds_read2_b64 v[28:31], v72 offset0:16 offset1:20
	v_mfma_f32_16x16x4f32 a[8:11], v43, v65, a[8:11]
	v_mfma_f32_16x16x4f32 a[12:15], v59, v65, a[12:15]
	s_waitcnt lgkmcnt(0)
	v_mfma_f32_16x16x4f32 a[0:3], v10, v28, a[0:3]
	v_mfma_f32_16x16x4f32 a[4:7], v24, v28, a[4:7]
	v_mfma_f32_16x16x4f32 a[8:11], v36, v28, a[8:11]
	v_mfma_f32_16x16x4f32 a[12:15], v56, v28, a[12:15]
	v_mfma_f32_16x16x4f32 a[0:3], v11, v29, a[0:3]
	ds_read2_b64 v[10:13], v72 offset0:24 offset1:28
	v_mfma_f32_16x16x4f32 a[4:7], v25, v29, a[4:7]
	v_mfma_f32_16x16x4f32 a[8:11], v37, v29, a[8:11]
	;; [unrolled: 1-line block ×11, first 2 shown]
	s_waitcnt lgkmcnt(0)
	v_mfma_f32_16x16x4f32 a[0:3], v4, v10, a[0:3]
	v_mfma_f32_16x16x4f32 a[4:7], v14, v10, a[4:7]
	;; [unrolled: 1-line block ×16, first 2 shown]
	s_andn2_b64 exec, exec, s[8:9]
	s_cbranch_execz .LBB75_45
.LBB75_6:                               ; =>This Inner Loop Header: Depth=1
	v_add_co_u32_e32 v2, vcc, s60, v0
	v_addc_co_u32_e32 v3, vcc, v1, v75, vcc
	global_load_dword v18, v[0:1], off
	global_load_dword v19, v[2:3], off
	v_add_u32_e32 v2, s7, v70
	v_ashrrev_i32_e32 v3, 31, v2
	v_readlane_b32 s79, v92, 11
	v_lshlrev_b64 v[2:3], 2, v[2:3]
	v_add_u32_e32 v4, s79, v70
	v_add_co_u32_e32 v2, vcc, s0, v2
	v_ashrrev_i32_e32 v5, 31, v4
	v_addc_co_u32_e32 v3, vcc, v73, v3, vcc
	v_lshlrev_b64 v[4:5], 2, v[4:5]
	v_add_u32_e32 v6, s63, v70
	v_add_co_u32_e32 v4, vcc, s0, v4
	v_ashrrev_i32_e32 v7, 31, v6
	v_readlane_b32 s79, v92, 12
	v_addc_co_u32_e32 v5, vcc, v73, v5, vcc
	v_lshlrev_b64 v[6:7], 2, v[6:7]
	v_add_u32_e32 v8, s79, v70
	v_add_co_u32_e32 v6, vcc, s0, v6
	v_ashrrev_i32_e32 v9, 31, v8
	v_readlane_b32 s79, v92, 13
	;; [unrolled: 6-line block ×3, first 2 shown]
	v_addc_co_u32_e32 v9, vcc, v73, v9, vcc
	v_lshlrev_b64 v[10:11], 2, v[10:11]
	v_add_u32_e32 v12, s79, v70
	v_add_co_u32_e32 v10, vcc, s0, v10
	v_ashrrev_i32_e32 v13, 31, v12
	v_addc_co_u32_e32 v11, vcc, v73, v11, vcc
	v_lshlrev_b64 v[12:13], 2, v[12:13]
	v_add_u32_e32 v14, s67, v70
	v_add_co_u32_e32 v12, vcc, s0, v12
	v_ashrrev_i32_e32 v15, 31, v14
	v_readlane_b32 s79, v92, 15
	v_addc_co_u32_e32 v13, vcc, v73, v13, vcc
	v_lshlrev_b64 v[14:15], 2, v[14:15]
	v_add_u32_e32 v16, s79, v70
	v_add_co_u32_e32 v14, vcc, s0, v14
	v_ashrrev_i32_e32 v17, 31, v16
	v_addc_co_u32_e32 v15, vcc, v73, v15, vcc
	v_lshlrev_b64 v[16:17], 2, v[16:17]
	v_add_co_u32_e32 v16, vcc, s0, v16
	v_readlane_b32 s79, v92, 16
	v_addc_co_u32_e32 v17, vcc, v73, v17, vcc
	global_load_dword v20, v[2:3], off
	global_load_dword v21, v[4:5], off
	;; [unrolled: 1-line block ×6, first 2 shown]
	s_nop 0
	global_load_dword v14, v[14:15], off
	s_nop 0
	global_load_dword v15, v[16:17], off
	v_add_u32_e32 v2, s79, v70
	v_ashrrev_i32_e32 v3, 31, v2
	v_readlane_b32 s79, v92, 17
	v_lshlrev_b64 v[2:3], 2, v[2:3]
	v_add_u32_e32 v4, s79, v70
	v_add_co_u32_e32 v2, vcc, s0, v2
	v_ashrrev_i32_e32 v5, 31, v4
	v_readlane_b32 s79, v92, 18
	v_addc_co_u32_e32 v3, vcc, v73, v3, vcc
	v_lshlrev_b64 v[4:5], 2, v[4:5]
	v_add_u32_e32 v6, s79, v70
	v_add_co_u32_e32 v4, vcc, s0, v4
	v_ashrrev_i32_e32 v7, 31, v6
	v_readlane_b32 s79, v92, 19
	v_addc_co_u32_e32 v5, vcc, v73, v5, vcc
	;; [unrolled: 6-line block ×4, first 2 shown]
	v_lshlrev_b64 v[10:11], 2, v[10:11]
	v_add_u32_e32 v12, s79, v70
	v_add_co_u32_e32 v10, vcc, s0, v10
	v_ashrrev_i32_e32 v13, 31, v12
	v_addc_co_u32_e32 v11, vcc, v73, v11, vcc
	v_lshlrev_b64 v[12:13], 2, v[12:13]
	v_add_co_u32_e32 v12, vcc, s0, v12
	v_addc_co_u32_e32 v13, vcc, v73, v13, vcc
	global_load_dword v16, v[2:3], off
	global_load_dword v17, v[4:5], off
	s_nop 0
	global_load_dword v6, v[6:7], off
	s_nop 0
	;; [unrolled: 2-line block ×4, first 2 shown]
	global_load_dword v11, v[12:13], off
	v_add_u32_e32 v2, s75, v70
	v_ashrrev_i32_e32 v3, 31, v2
	v_readlane_b32 s79, v92, 22
	v_lshlrev_b64 v[2:3], 2, v[2:3]
	v_add_u32_e32 v4, s79, v70
	v_add_co_u32_e32 v2, vcc, s0, v2
	v_ashrrev_i32_e32 v5, 31, v4
	v_addc_co_u32_e32 v3, vcc, v73, v3, vcc
	v_lshlrev_b64 v[4:5], 2, v[4:5]
	s_waitcnt vmcnt(15)
	ds_write_b32 v71, v18
	s_waitcnt vmcnt(14)
	ds_write_b32 v71, v19 offset:264
	s_waitcnt vmcnt(13)
	ds_write_b32 v71, v20 offset:528
	;; [unrolled: 2-line block ×9, first 2 shown]
	v_add_co_u32_e32 v4, vcc, s0, v4
	v_readlane_b32 s79, v92, 23
	v_addc_co_u32_e32 v5, vcc, v73, v5, vcc
	global_load_dword v8, v[2:3], off
	global_load_dword v9, v[4:5], off
	v_add_u32_e32 v2, s79, v70
	v_ashrrev_i32_e32 v3, 31, v2
	v_readlane_b32 s79, v92, 24
	v_lshlrev_b64 v[2:3], 2, v[2:3]
	v_add_u32_e32 v4, s79, v70
	v_add_co_u32_e32 v2, vcc, s0, v2
	v_ashrrev_i32_e32 v5, 31, v4
	v_readlane_b32 s79, v92, 25
	s_waitcnt vmcnt(7)
	ds_write_b32 v71, v16 offset:2640
	s_waitcnt vmcnt(6)
	ds_write_b32 v71, v17 offset:2904
	s_waitcnt vmcnt(5)
	ds_write_b32 v71, v6 offset:3168
	s_waitcnt vmcnt(4)
	ds_write_b32 v71, v7 offset:3432
	s_waitcnt vmcnt(3)
	ds_write_b32 v71, v10 offset:3696
	s_waitcnt vmcnt(2)
	ds_write_b32 v71, v11 offset:3960
	v_addc_co_u32_e32 v3, vcc, v73, v3, vcc
	v_lshlrev_b64 v[4:5], 2, v[4:5]
	v_add_u32_e32 v6, s79, v70
	v_add_co_u32_e32 v4, vcc, s0, v4
	v_ashrrev_i32_e32 v7, 31, v6
	v_addc_co_u32_e32 v5, vcc, v73, v5, vcc
	v_lshlrev_b64 v[6:7], 2, v[6:7]
	v_add_u32_e32 v10, s80, v70
	v_add_co_u32_e32 v6, vcc, s0, v6
	v_ashrrev_i32_e32 v11, 31, v10
	v_addc_co_u32_e32 v7, vcc, v73, v7, vcc
	v_lshlrev_b64 v[10:11], 2, v[10:11]
	v_add_u32_e32 v12, s81, v70
	v_add_co_u32_e32 v10, vcc, s0, v10
	v_ashrrev_i32_e32 v13, 31, v12
	v_addc_co_u32_e32 v11, vcc, v73, v11, vcc
	v_lshlrev_b64 v[12:13], 2, v[12:13]
	v_add_u32_e32 v14, s82, v70
	v_add_co_u32_e32 v12, vcc, s0, v12
	v_ashrrev_i32_e32 v15, 31, v14
	v_addc_co_u32_e32 v13, vcc, v73, v13, vcc
	v_lshlrev_b64 v[14:15], 2, v[14:15]
	v_add_u32_e32 v16, s83, v70
	v_add_co_u32_e32 v14, vcc, s0, v14
	v_ashrrev_i32_e32 v17, 31, v16
	v_addc_co_u32_e32 v15, vcc, v73, v15, vcc
	v_lshlrev_b64 v[16:17], 2, v[16:17]
	v_add_u32_e32 v18, s84, v70
	v_add_co_u32_e32 v16, vcc, s0, v16
	v_ashrrev_i32_e32 v19, 31, v18
	v_addc_co_u32_e32 v17, vcc, v73, v17, vcc
	v_lshlrev_b64 v[18:19], 2, v[18:19]
	v_add_co_u32_e32 v18, vcc, s0, v18
	v_addc_co_u32_e32 v19, vcc, v73, v19, vcc
	global_load_dword v22, v[2:3], off
	global_load_dword v23, v[4:5], off
	global_load_dword v24, v[6:7], off
	global_load_dword v25, v[10:11], off
	global_load_dword v26, v[12:13], off
	global_load_dword v27, v[14:15], off
	global_load_dword v30, v[16:17], off
	global_load_dword v31, v[18:19], off
	v_add_u32_e32 v2, s85, v70
	v_ashrrev_i32_e32 v3, 31, v2
	v_lshlrev_b64 v[2:3], 2, v[2:3]
	v_add_u32_e32 v4, s86, v70
	v_add_co_u32_e32 v2, vcc, s0, v2
	v_ashrrev_i32_e32 v5, 31, v4
	v_addc_co_u32_e32 v3, vcc, v73, v3, vcc
	v_lshlrev_b64 v[4:5], 2, v[4:5]
	v_add_u32_e32 v6, s87, v70
	v_add_co_u32_e32 v4, vcc, s0, v4
	v_ashrrev_i32_e32 v7, 31, v6
	v_addc_co_u32_e32 v5, vcc, v73, v5, vcc
	v_lshlrev_b64 v[6:7], 2, v[6:7]
	v_add_u32_e32 v10, s88, v70
	v_add_co_u32_e32 v6, vcc, s0, v6
	v_ashrrev_i32_e32 v11, 31, v10
	v_addc_co_u32_e32 v7, vcc, v73, v7, vcc
	v_lshlrev_b64 v[10:11], 2, v[10:11]
	v_add_u32_e32 v12, s89, v70
	v_add_co_u32_e32 v10, vcc, s0, v10
	v_ashrrev_i32_e32 v13, 31, v12
	v_addc_co_u32_e32 v11, vcc, v73, v11, vcc
	v_lshlrev_b64 v[12:13], 2, v[12:13]
	v_add_u32_e32 v14, s61, v70
	v_add_co_u32_e32 v12, vcc, s0, v12
	v_ashrrev_i32_e32 v15, 31, v14
	v_addc_co_u32_e32 v13, vcc, v73, v13, vcc
	v_lshlrev_b64 v[14:15], 2, v[14:15]
	v_add_u32_e32 v16, s90, v70
	v_add_co_u32_e32 v14, vcc, s0, v14
	v_ashrrev_i32_e32 v17, 31, v16
	v_addc_co_u32_e32 v15, vcc, v73, v15, vcc
	v_lshlrev_b64 v[16:17], 2, v[16:17]
	v_add_u32_e32 v18, s91, v70
	v_add_co_u32_e32 v16, vcc, s0, v16
	v_ashrrev_i32_e32 v19, 31, v18
	v_addc_co_u32_e32 v17, vcc, v73, v17, vcc
	v_lshlrev_b64 v[18:19], 2, v[18:19]
	v_add_co_u32_e32 v18, vcc, s0, v18
	v_addc_co_u32_e32 v19, vcc, v73, v19, vcc
	global_load_dword v32, v[2:3], off
	global_load_dword v33, v[4:5], off
	global_load_dword v34, v[6:7], off
	global_load_dword v35, v[10:11], off
	global_load_dword v36, v[12:13], off
	global_load_dword v37, v[14:15], off
	global_load_dword v40, v[16:17], off
	global_load_dword v41, v[18:19], off
	v_add_u32_e32 v2, s92, v70
	v_ashrrev_i32_e32 v3, 31, v2
	v_lshlrev_b64 v[2:3], 2, v[2:3]
	v_add_u32_e32 v4, s93, v70
	v_add_co_u32_e32 v2, vcc, s0, v2
	v_ashrrev_i32_e32 v5, 31, v4
	;; [unrolled: 48-line block ×5, first 2 shown]
	v_addc_co_u32_e32 v3, vcc, v73, v3, vcc
	v_lshlrev_b64 v[4:5], 2, v[4:5]
	v_add_u32_e32 v6, s76, v70
	v_add_co_u32_e32 v4, vcc, s0, v4
	v_ashrrev_i32_e32 v7, 31, v6
	v_addc_co_u32_e32 v5, vcc, v73, v5, vcc
	v_lshlrev_b64 v[6:7], 2, v[6:7]
	v_add_u32_e32 v10, s77, v70
	v_add_co_u32_e32 v6, vcc, s0, v6
	v_ashrrev_i32_e32 v11, 31, v10
	v_addc_co_u32_e32 v7, vcc, v73, v7, vcc
	v_lshlrev_b64 v[10:11], 2, v[10:11]
	v_add_u32_e32 v12, s78, v70
	v_add_co_u32_e32 v10, vcc, s0, v10
	v_ashrrev_i32_e32 v13, 31, v12
	v_addc_co_u32_e32 v11, vcc, v73, v11, vcc
	v_lshlrev_b64 v[12:13], 2, v[12:13]
	v_add_co_u32_e32 v14, vcc, s0, v12
	v_add_u32_e32 v12, s15, v70
	v_addc_co_u32_e32 v15, vcc, v73, v13, vcc
	v_ashrrev_i32_e32 v13, 31, v12
	v_lshlrev_b64 v[12:13], 2, v[12:13]
	v_add_co_u32_e32 v18, vcc, s0, v12
	v_addc_co_u32_e32 v19, vcc, v73, v13, vcc
	ds_read_b64 v[28:29], v72
	ds_read_b64 v[20:21], v72 offset:32
	ds_read_b64 v[16:17], v72 offset:64
	;; [unrolled: 1-line block ×3, first 2 shown]
	global_load_dword v78, v[2:3], off
	global_load_dword v79, v[4:5], off
	;; [unrolled: 1-line block ×6, first 2 shown]
	ds_read_b64 v[10:11], v72 offset:128
	ds_read_b64 v[6:7], v72 offset:160
	ds_read_b64 v[4:5], v72 offset:192
	ds_read_b64 v[2:3], v72 offset:224
	s_waitcnt vmcnt(47)
	ds_write_b32 v71, v8
	s_waitcnt vmcnt(46)
	ds_write_b32 v71, v9 offset:264
	s_waitcnt vmcnt(45)
	ds_write_b32 v71, v22 offset:528
	s_waitcnt vmcnt(44)
	ds_write_b32 v71, v23 offset:792
	s_waitcnt vmcnt(43)
	ds_write_b32 v71, v24 offset:1056
	s_waitcnt vmcnt(42)
	ds_write_b32 v71, v25 offset:1320
	s_waitcnt vmcnt(41)
	ds_write_b32 v71, v26 offset:1584
	s_waitcnt vmcnt(40)
	ds_write_b32 v71, v27 offset:1848
	s_waitcnt vmcnt(39)
	ds_write_b32 v71, v30 offset:2112
	s_waitcnt vmcnt(38)
	ds_write_b32 v71, v31 offset:2376
	s_waitcnt vmcnt(37)
	ds_write_b32 v71, v32 offset:2640
	s_waitcnt vmcnt(36)
	ds_write_b32 v71, v33 offset:2904
	s_waitcnt vmcnt(35)
	ds_write_b32 v71, v34 offset:3168
	s_waitcnt vmcnt(34)
	ds_write_b32 v71, v35 offset:3432
	s_waitcnt vmcnt(33)
	ds_write_b32 v71, v36 offset:3696
	s_waitcnt vmcnt(32)
	ds_write_b32 v71, v37 offset:3960
	ds_read_b64 v[44:45], v72
	ds_read_b64 v[38:39], v72 offset:32
	ds_read_b64 v[34:35], v72 offset:64
	ds_read_b64 v[30:31], v72 offset:96
	ds_read_b64 v[24:25], v72 offset:128
	ds_read_b64 v[18:19], v72 offset:160
	ds_read_b64 v[14:15], v72 offset:192
	ds_read_b64 v[8:9], v72 offset:224
	s_waitcnt vmcnt(31)
	ds_write_b32 v71, v40
	s_waitcnt vmcnt(30)
	ds_write_b32 v71, v41 offset:264
	s_waitcnt vmcnt(29)
	ds_write_b32 v71, v42 offset:528
	s_waitcnt vmcnt(28)
	ds_write_b32 v71, v43 offset:792
	s_waitcnt vmcnt(27)
	ds_write_b32 v71, v46 offset:1056
	s_waitcnt vmcnt(26)
	ds_write_b32 v71, v47 offset:1320
	s_waitcnt vmcnt(25)
	ds_write_b32 v71, v48 offset:1584
	s_waitcnt vmcnt(24)
	ds_write_b32 v71, v49 offset:1848
	s_waitcnt vmcnt(23)
	ds_write_b32 v71, v50 offset:2112
	s_waitcnt vmcnt(22)
	ds_write_b32 v71, v51 offset:2376
	s_waitcnt vmcnt(21)
	ds_write_b32 v71, v52 offset:2640
	s_waitcnt vmcnt(20)
	ds_write_b32 v71, v53 offset:2904
	s_waitcnt vmcnt(19)
	ds_write_b32 v71, v54 offset:3168
	s_waitcnt vmcnt(18)
	ds_write_b32 v71, v55 offset:3432
	s_waitcnt vmcnt(17)
	ds_write_b32 v71, v56 offset:3696
	s_waitcnt vmcnt(16)
	ds_write_b32 v71, v57 offset:3960
	ds_read_b64 v[52:53], v72
	ds_read_b64 v[48:49], v72 offset:32
	ds_read_b64 v[46:47], v72 offset:64
	ds_read_b64 v[42:43], v72 offset:96
	;; [unrolled: 40-line block ×3, first 2 shown]
	ds_read_b64 v[56:57], v72 offset:128
	ds_read_b64 v[54:55], v72 offset:160
	;; [unrolled: 1-line block ×4, first 2 shown]
	s_andn2_b64 vcc, exec, s[4:5]
	v_mov_b32_e32 v76, 0
	s_cbranch_vccnz .LBB75_9
; %bb.7:                                ;   in Loop: Header=BB75_6 Depth=1
	s_load_dword vcc_lo, s[34:35], 0x0
	v_mov_b32_e32 v76, 0
	s_waitcnt lgkmcnt(0)
	s_mul_hi_u32 vcc_hi, vcc_lo, s16
	s_add_i32 vcc_hi, vcc_lo, vcc_hi
	s_lshr_b32 s79, vcc_hi, s17
	s_cmp_ge_i32 s79, s13
	s_cbranch_scc1 .LBB75_9
; %bb.8:                                ;   in Loop: Header=BB75_6 Depth=1
	s_mul_i32 vcc_hi, s79, s18
	s_sub_i32 vcc_lo, vcc_lo, vcc_hi
	s_mul_i32 vcc_lo, vcc_lo, s1
	s_mul_i32 s79, s79, s20
	s_add_i32 s79, s79, vcc_lo
	v_add_u32_e32 v76, s79, v70
	v_ashrrev_i32_e32 v77, 31, v76
	v_lshlrev_b64 v[76:77], 2, v[76:77]
	v_mov_b32_e32 v78, s11
	v_add_co_u32_e32 v76, vcc, s10, v76
	v_addc_co_u32_e32 v77, vcc, v78, v77, vcc
	global_load_dword v76, v[76:77], off
.LBB75_9:                               ;   in Loop: Header=BB75_6 Depth=1
	s_andn2_b64 vcc, exec, s[36:37]
	v_mov_b32_e32 v77, 0
	v_mov_b32_e32 v78, 0
	s_cbranch_vccnz .LBB75_12
; %bb.10:                               ;   in Loop: Header=BB75_6 Depth=1
	s_load_dword vcc_lo, s[34:35], 0x4
	v_mov_b32_e32 v78, 0
	s_waitcnt lgkmcnt(0)
	s_mul_hi_u32 s79, vcc_lo, s16
	s_add_i32 s79, vcc_lo, s79
	s_lshr_b32 vcc_hi, s79, s17
	s_cmp_ge_i32 vcc_hi, s13
	s_cbranch_scc1 .LBB75_12
; %bb.11:                               ;   in Loop: Header=BB75_6 Depth=1
	s_mul_i32 s79, vcc_hi, s18
	s_sub_i32 s79, vcc_lo, s79
	s_mul_i32 s79, s79, s1
	s_mul_i32 vcc_lo, vcc_hi, s20
	s_add_i32 vcc_lo, vcc_lo, s79
	v_add_u32_e32 v78, vcc_lo, v70
	v_ashrrev_i32_e32 v79, 31, v78
	v_lshlrev_b64 v[78:79], 2, v[78:79]
	v_mov_b32_e32 v80, s11
	v_add_co_u32_e32 v78, vcc, s10, v78
	v_addc_co_u32_e32 v79, vcc, v80, v79, vcc
	global_load_dword v78, v[78:79], off
.LBB75_12:                              ;   in Loop: Header=BB75_6 Depth=1
	s_andn2_b64 vcc, exec, s[38:39]
	s_cbranch_vccnz .LBB75_15
; %bb.13:                               ;   in Loop: Header=BB75_6 Depth=1
	s_load_dword vcc_lo, s[34:35], 0x8
	v_mov_b32_e32 v77, 0
	s_waitcnt lgkmcnt(0)
	s_mul_hi_u32 s79, vcc_lo, s16
	s_add_i32 s79, vcc_lo, s79
	s_lshr_b32 vcc_hi, s79, s17
	s_cmp_ge_i32 vcc_hi, s13
	s_cbranch_scc1 .LBB75_15
; %bb.14:                               ;   in Loop: Header=BB75_6 Depth=1
	s_mul_i32 s79, vcc_hi, s18
	s_sub_i32 s79, vcc_lo, s79
	s_mul_i32 s79, s79, s1
	s_mul_i32 vcc_lo, vcc_hi, s20
	s_add_i32 vcc_lo, vcc_lo, s79
	v_add_u32_e32 v80, vcc_lo, v70
	v_ashrrev_i32_e32 v81, 31, v80
	v_lshlrev_b64 v[80:81], 2, v[80:81]
	v_mov_b32_e32 v77, s11
	v_add_co_u32_e32 v80, vcc, s10, v80
	v_addc_co_u32_e32 v81, vcc, v77, v81, vcc
	global_load_dword v77, v[80:81], off
.LBB75_15:                              ;   in Loop: Header=BB75_6 Depth=1
	s_andn2_b64 vcc, exec, s[40:41]
	v_mov_b32_e32 v79, 0
	v_mov_b32_e32 v80, 0
	s_cbranch_vccnz .LBB75_18
; %bb.16:                               ;   in Loop: Header=BB75_6 Depth=1
	s_load_dword vcc_lo, s[34:35], 0xc
	v_mov_b32_e32 v80, 0
	s_waitcnt lgkmcnt(0)
	s_mul_hi_u32 s79, vcc_lo, s16
	s_add_i32 s79, vcc_lo, s79
	s_lshr_b32 vcc_hi, s79, s17
	s_cmp_ge_i32 vcc_hi, s13
	s_cbranch_scc1 .LBB75_18
; %bb.17:                               ;   in Loop: Header=BB75_6 Depth=1
	s_mul_i32 s79, vcc_hi, s18
	s_sub_i32 s79, vcc_lo, s79
	s_mul_i32 s79, s79, s1
	s_mul_i32 vcc_lo, vcc_hi, s20
	s_add_i32 vcc_lo, vcc_lo, s79
	v_add_u32_e32 v80, vcc_lo, v70
	v_ashrrev_i32_e32 v81, 31, v80
	v_lshlrev_b64 v[80:81], 2, v[80:81]
	v_mov_b32_e32 v82, s11
	v_add_co_u32_e32 v80, vcc, s10, v80
	v_addc_co_u32_e32 v81, vcc, v82, v81, vcc
	global_load_dword v80, v[80:81], off
.LBB75_18:                              ;   in Loop: Header=BB75_6 Depth=1
	s_andn2_b64 vcc, exec, s[42:43]
	s_cbranch_vccnz .LBB75_21
; %bb.19:                               ;   in Loop: Header=BB75_6 Depth=1
	s_load_dword vcc_lo, s[34:35], 0x10
	v_mov_b32_e32 v79, 0
	s_waitcnt lgkmcnt(0)
	s_mul_hi_u32 s79, vcc_lo, s16
	s_add_i32 s79, vcc_lo, s79
	s_lshr_b32 vcc_hi, s79, s17
	s_cmp_ge_i32 vcc_hi, s13
	s_cbranch_scc1 .LBB75_21
; %bb.20:                               ;   in Loop: Header=BB75_6 Depth=1
	s_mul_i32 s79, vcc_hi, s18
	s_sub_i32 s79, vcc_lo, s79
	s_mul_i32 s79, s79, s1
	s_mul_i32 vcc_lo, vcc_hi, s20
	s_add_i32 vcc_lo, vcc_lo, s79
	v_add_u32_e32 v82, vcc_lo, v70
	v_ashrrev_i32_e32 v83, 31, v82
	v_lshlrev_b64 v[82:83], 2, v[82:83]
	v_mov_b32_e32 v79, s11
	v_add_co_u32_e32 v82, vcc, s10, v82
	v_addc_co_u32_e32 v83, vcc, v79, v83, vcc
	global_load_dword v79, v[82:83], off
.LBB75_21:                              ;   in Loop: Header=BB75_6 Depth=1
	;; [unrolled: 52-line block ×5, first 2 shown]
	s_andn2_b64 vcc, exec, s[56:57]
	v_mov_b32_e32 v87, 0
	v_mov_b32_e32 v88, 0
	s_cbranch_vccnz .LBB75_42
; %bb.40:                               ;   in Loop: Header=BB75_6 Depth=1
	s_load_dword vcc_lo, s[34:35], 0x2c
	v_mov_b32_e32 v88, 0
	s_waitcnt lgkmcnt(0)
	s_mul_hi_u32 s79, vcc_lo, s16
	s_add_i32 s79, vcc_lo, s79
	s_lshr_b32 vcc_hi, s79, s17
	s_cmp_ge_i32 vcc_hi, s13
	s_cbranch_scc1 .LBB75_42
; %bb.41:                               ;   in Loop: Header=BB75_6 Depth=1
	s_mul_i32 s79, vcc_hi, s18
	s_sub_i32 s79, vcc_lo, s79
	s_mul_i32 s79, s79, s1
	s_mul_i32 vcc_lo, vcc_hi, s20
	s_add_i32 vcc_lo, vcc_lo, s79
	v_add_u32_e32 v88, vcc_lo, v70
	v_ashrrev_i32_e32 v89, 31, v88
	v_lshlrev_b64 v[88:89], 2, v[88:89]
	v_mov_b32_e32 v90, s11
	v_add_co_u32_e32 v88, vcc, s10, v88
	v_addc_co_u32_e32 v89, vcc, v90, v89, vcc
	global_load_dword v88, v[88:89], off
.LBB75_42:                              ;   in Loop: Header=BB75_6 Depth=1
	s_andn2_b64 vcc, exec, s[58:59]
	s_cbranch_vccnz .LBB75_5
; %bb.43:                               ;   in Loop: Header=BB75_6 Depth=1
	s_load_dword vcc_lo, s[34:35], 0x30
	v_mov_b32_e32 v87, 0
	s_waitcnt lgkmcnt(0)
	s_mul_hi_u32 s79, vcc_lo, s16
	s_add_i32 s79, vcc_lo, s79
	s_lshr_b32 vcc_hi, s79, s17
	s_cmp_ge_i32 vcc_hi, s13
	s_cbranch_scc1 .LBB75_5
; %bb.44:                               ;   in Loop: Header=BB75_6 Depth=1
	s_mul_i32 s79, vcc_hi, s18
	s_sub_i32 s79, vcc_lo, s79
	s_mul_i32 s79, s79, s1
	s_mul_i32 vcc_lo, vcc_hi, s20
	s_add_i32 vcc_lo, vcc_lo, s79
	v_add_u32_e32 v90, vcc_lo, v70
	v_ashrrev_i32_e32 v91, 31, v90
	v_lshlrev_b64 v[90:91], 2, v[90:91]
	v_mov_b32_e32 v87, s11
	v_add_co_u32_e32 v90, vcc, s10, v90
	v_addc_co_u32_e32 v91, vcc, v87, v91, vcc
	global_load_dword v87, v[90:91], off
	s_branch .LBB75_5
.LBB75_45:
	s_or_b64 exec, exec, s[8:9]
	v_readlane_b32 s24, v92, 6
	v_readlane_b32 s26, v92, 9
	v_readlane_b32 s25, v92, 7
	v_readlane_b32 s27, v92, 10
	v_readlane_b32 s7, v92, 8
.LBB75_46:
	v_readlane_b32 s0, v92, 4
	v_readlane_b32 s1, v92, 5
	s_or_b64 exec, exec, s[0:1]
	s_lshl_b64 s[0:1], s[26:27], 2
	v_readlane_b32 s4, v92, 0
	v_lshlrev_b32_e32 v0, 2, v68
	v_or_b32_e32 v2, 12, v67
	v_readlane_b32 s5, v92, 1
	s_add_u32 s3, s4, s0
	v_add3_u32 v0, 0, v69, v0
	v_and_b32_e32 v1, 0x3f0, v67
	v_and_b32_e32 v2, 0x3fc, v2
	s_addc_u32 s8, s5, s1
	v_add_u32_e32 v1, v0, v1
	v_add_u32_e32 v0, v0, v2
	ds_write2_b32 v1, a0, a1 offset1:1
	ds_write_b32 v1, a2 offset:8
	ds_write_b32 v0, a3
	ds_write2_b32 v1, a4, a5 offset0:16 offset1:17
	ds_write_b32 v1, a6 offset:72
	ds_write_b32 v0, a7 offset:64
	ds_write2_b32 v1, a8, a9 offset0:32 offset1:33
	ds_write_b32 v1, a10 offset:136
	ds_write_b32 v0, a11 offset:128
	;; [unrolled: 3-line block ×3, first 2 shown]
	s_cmp_gt_i32 s14, 0
	v_add_u32_e32 v0, s6, v66
	s_cselect_b64 s[4:5], -1, 0
	v_cmp_gt_i32_e64 s[0:1], s33, v0
	v_cmp_gt_u32_e32 vcc, 13, v66
	s_and_b64 s[0:1], s[4:5], s[0:1]
	v_lshl_add_u32 v5, v67, 2, 0
	v_add_u32_e32 v4, s7, v67
	v_mul_u32_u24_e32 v6, 0x108, v66
	s_and_b64 s[10:11], vcc, s[0:1]
	s_and_saveexec_b64 s[0:1], s[10:11]
	v_readlane_b32 s14, v92, 2
	v_readlane_b32 s15, v92, 3
	s_cbranch_execz .LBB75_49
; %bb.47:
	v_ashrrev_i32_e32 v1, 31, v0
	v_lshlrev_b64 v[2:3], 2, v[0:1]
	v_mov_b32_e32 v1, s8
	v_add_co_u32_e32 v2, vcc, s3, v2
	v_addc_co_u32_e32 v3, vcc, v1, v3, vcc
	global_load_dword v1, v[2:3], off
	s_waitcnt vmcnt(0)
	v_mul_hi_u32 v2, v1, s19
	v_add_u32_e32 v2, v1, v2
	v_lshrrev_b32_e32 v2, s24, v2
	v_cmp_gt_i32_e32 vcc, s13, v2
	s_and_b64 exec, exec, vcc
	s_cbranch_execz .LBB75_49
; %bb.48:
	v_add_u32_e32 v3, v5, v6
	ds_read_b32 v3, v3
	v_mul_lo_u32 v7, v2, s25
	v_sub_u32_e32 v1, v1, v7
	v_mul_lo_u32 v2, v2, s21
	v_mul_lo_u32 v1, v1, s2
	s_waitcnt lgkmcnt(0)
	v_add_f32_e32 v7, 0, v3
	v_add3_u32 v2, v4, v2, v1
	v_mov_b32_e32 v3, 0
	v_lshlrev_b64 v[2:3], 2, v[2:3]
	v_mov_b32_e32 v1, s15
	v_add_co_u32_e32 v2, vcc, s14, v2
	v_addc_co_u32_e32 v3, vcc, v1, v3, vcc
	global_store_dword v[2:3], v7, off
.LBB75_49:
	s_or_b64 exec, exec, s[0:1]
	v_add_u32_e32 v1, 1, v0
	v_cmp_gt_i32_e64 s[0:1], s33, v1
	v_cmp_gt_u32_e32 vcc, 12, v66
	s_and_b64 s[0:1], s[4:5], s[0:1]
	s_and_b64 s[10:11], vcc, s[0:1]
	s_and_saveexec_b64 s[0:1], s[10:11]
	s_cbranch_execz .LBB75_52
; %bb.50:
	s_ashr_i32 s7, s6, 31
	v_mov_b32_e32 v1, s7
	v_add_co_u32_e32 v2, vcc, s6, v66
	v_addc_co_u32_e32 v3, vcc, 0, v1, vcc
	v_lshlrev_b64 v[2:3], 2, v[2:3]
	v_mov_b32_e32 v1, s8
	v_add_co_u32_e32 v2, vcc, s3, v2
	v_addc_co_u32_e32 v3, vcc, v1, v3, vcc
	global_load_dword v1, v[2:3], off offset:4
	v_mov_b32_e32 v3, 0
	s_waitcnt vmcnt(0)
	v_mul_hi_u32 v2, v1, s19
	v_add_u32_e32 v2, v1, v2
	v_lshrrev_b32_e32 v2, s24, v2
	v_cmp_gt_i32_e32 vcc, s13, v2
	s_and_b64 exec, exec, vcc
	s_cbranch_execz .LBB75_52
; %bb.51:
	v_add_u32_e32 v7, v6, v5
	v_mul_lo_u32 v8, v2, s25
	ds_read_b32 v7, v7 offset:264
	v_sub_u32_e32 v1, v1, v8
	v_mul_lo_u32 v2, v2, s21
	v_mul_lo_u32 v1, v1, s2
	v_add3_u32 v2, v4, v2, v1
	v_lshlrev_b64 v[2:3], 2, v[2:3]
	v_mov_b32_e32 v1, s15
	v_add_co_u32_e32 v2, vcc, s14, v2
	s_waitcnt lgkmcnt(0)
	v_add_f32_e32 v7, 0, v7
	v_addc_co_u32_e32 v3, vcc, v1, v3, vcc
	global_store_dword v[2:3], v7, off
.LBB75_52:
	s_or_b64 exec, exec, s[0:1]
	v_add_u32_e32 v1, 2, v0
	v_cmp_gt_i32_e64 s[0:1], s33, v1
	v_cmp_gt_u32_e32 vcc, 11, v66
	s_and_b64 s[0:1], s[4:5], s[0:1]
	s_and_b64 s[10:11], vcc, s[0:1]
	s_and_saveexec_b64 s[0:1], s[10:11]
	s_cbranch_execz .LBB75_55
; %bb.53:
	s_ashr_i32 s7, s6, 31
	v_mov_b32_e32 v1, s7
	v_add_co_u32_e32 v2, vcc, s6, v66
	v_addc_co_u32_e32 v3, vcc, 0, v1, vcc
	v_lshlrev_b64 v[2:3], 2, v[2:3]
	v_mov_b32_e32 v1, s8
	v_add_co_u32_e32 v2, vcc, s3, v2
	v_addc_co_u32_e32 v3, vcc, v1, v3, vcc
	global_load_dword v1, v[2:3], off offset:8
	v_mov_b32_e32 v3, 0
	s_waitcnt vmcnt(0)
	v_mul_hi_u32 v2, v1, s19
	v_add_u32_e32 v2, v1, v2
	v_lshrrev_b32_e32 v2, s24, v2
	v_cmp_gt_i32_e32 vcc, s13, v2
	s_and_b64 exec, exec, vcc
	s_cbranch_execz .LBB75_55
; %bb.54:
	v_add_u32_e32 v7, v5, v6
	v_mul_lo_u32 v8, v2, s25
	ds_read_b32 v7, v7 offset:528
	v_sub_u32_e32 v1, v1, v8
	v_mul_lo_u32 v2, v2, s21
	v_mul_lo_u32 v1, v1, s2
	v_add3_u32 v2, v4, v2, v1
	v_lshlrev_b64 v[2:3], 2, v[2:3]
	v_mov_b32_e32 v1, s15
	v_add_co_u32_e32 v2, vcc, s14, v2
	s_waitcnt lgkmcnt(0)
	v_add_f32_e32 v7, 0, v7
	v_addc_co_u32_e32 v3, vcc, v1, v3, vcc
	global_store_dword v[2:3], v7, off
.LBB75_55:
	;; [unrolled: 42-line block ×11, first 2 shown]
	s_or_b64 exec, exec, s[0:1]
	v_add_u32_e32 v0, 12, v0
	v_cmp_gt_i32_e64 s[0:1], s33, v0
	v_cmp_eq_u32_e32 vcc, 0, v66
	s_and_b64 s[0:1], s[4:5], s[0:1]
	s_and_b64 s[0:1], vcc, s[0:1]
	s_and_saveexec_b64 s[4:5], s[0:1]
	s_cbranch_execz .LBB75_85
; %bb.83:
	s_ashr_i32 s7, s6, 31
	s_lshl_b64 s[0:1], s[6:7], 2
	s_add_u32 s0, s3, s0
	s_addc_u32 s1, s8, s1
	s_load_dword s0, s[0:1], 0x30
	s_waitcnt lgkmcnt(0)
	s_mul_hi_u32 s1, s0, s19
	s_add_i32 s1, s0, s1
	s_lshr_b32 s1, s1, s24
	s_cmp_ge_i32 s1, s13
	s_cbranch_scc1 .LBB75_85
; %bb.84:
	v_add_u32_e32 v0, v5, v6
	ds_read_b32 v0, v0 offset:3168
	s_mul_i32 s3, s1, s25
	s_sub_i32 s0, s0, s3
	s_mul_i32 s1, s1, s21
	s_mul_i32 s0, s0, s2
	s_add_i32 s0, s0, s1
	s_waitcnt lgkmcnt(0)
	v_add_f32_e32 v2, 0, v0
	v_add_u32_e32 v0, s0, v4
	v_mov_b32_e32 v1, 0
	v_lshlrev_b64 v[0:1], 2, v[0:1]
	v_mov_b32_e32 v3, s15
	v_add_co_u32_e32 v0, vcc, s14, v0
	v_addc_co_u32_e32 v1, vcc, v3, v1, vcc
	global_store_dword v[0:1], v2, off
.LBB75_85:
	s_endpgm
	.section	.rodata,"a",@progbits
	.p2align	6, 0x0
	.amdhsa_kernel _ZL13mul_mat_f_idsIfLi64ELi13ELi1EEvPKT_PKfPKiS6_S6_Pfiiiiiiiiiiiiii15HIP_vector_typeIjLj3EES9_
		.amdhsa_group_segment_fixed_size 0
		.amdhsa_private_segment_fixed_size 0
		.amdhsa_kernarg_size 128
		.amdhsa_user_sgpr_count 6
		.amdhsa_user_sgpr_private_segment_buffer 1
		.amdhsa_user_sgpr_dispatch_ptr 0
		.amdhsa_user_sgpr_queue_ptr 0
		.amdhsa_user_sgpr_kernarg_segment_ptr 1
		.amdhsa_user_sgpr_dispatch_id 0
		.amdhsa_user_sgpr_flat_scratch_init 0
		.amdhsa_user_sgpr_kernarg_preload_length 0
		.amdhsa_user_sgpr_kernarg_preload_offset 0
		.amdhsa_user_sgpr_private_segment_size 0
		.amdhsa_uses_dynamic_stack 0
		.amdhsa_system_sgpr_private_segment_wavefront_offset 0
		.amdhsa_system_sgpr_workgroup_id_x 1
		.amdhsa_system_sgpr_workgroup_id_y 1
		.amdhsa_system_sgpr_workgroup_id_z 1
		.amdhsa_system_sgpr_workgroup_info 0
		.amdhsa_system_vgpr_workitem_id 1
		.amdhsa_next_free_vgpr 112
		.amdhsa_next_free_sgpr 96
		.amdhsa_accum_offset 96
		.amdhsa_reserve_vcc 1
		.amdhsa_reserve_flat_scratch 0
		.amdhsa_float_round_mode_32 0
		.amdhsa_float_round_mode_16_64 0
		.amdhsa_float_denorm_mode_32 3
		.amdhsa_float_denorm_mode_16_64 3
		.amdhsa_dx10_clamp 1
		.amdhsa_ieee_mode 1
		.amdhsa_fp16_overflow 0
		.amdhsa_tg_split 0
		.amdhsa_exception_fp_ieee_invalid_op 0
		.amdhsa_exception_fp_denorm_src 0
		.amdhsa_exception_fp_ieee_div_zero 0
		.amdhsa_exception_fp_ieee_overflow 0
		.amdhsa_exception_fp_ieee_underflow 0
		.amdhsa_exception_fp_ieee_inexact 0
		.amdhsa_exception_int_div_zero 0
	.end_amdhsa_kernel
	.section	.text._ZL13mul_mat_f_idsIfLi64ELi13ELi1EEvPKT_PKfPKiS6_S6_Pfiiiiiiiiiiiiii15HIP_vector_typeIjLj3EES9_,"axG",@progbits,_ZL13mul_mat_f_idsIfLi64ELi13ELi1EEvPKT_PKfPKiS6_S6_Pfiiiiiiiiiiiiii15HIP_vector_typeIjLj3EES9_,comdat
.Lfunc_end75:
	.size	_ZL13mul_mat_f_idsIfLi64ELi13ELi1EEvPKT_PKfPKiS6_S6_Pfiiiiiiiiiiiiii15HIP_vector_typeIjLj3EES9_, .Lfunc_end75-_ZL13mul_mat_f_idsIfLi64ELi13ELi1EEvPKT_PKfPKiS6_S6_Pfiiiiiiiiiiiiii15HIP_vector_typeIjLj3EES9_
                                        ; -- End function
	.section	.AMDGPU.csdata,"",@progbits
; Kernel info:
; codeLenInByte = 9328
; NumSgprs: 100
; NumVgprs: 93
; NumAgprs: 16
; TotalNumVgprs: 112
; ScratchSize: 0
; MemoryBound: 0
; FloatMode: 240
; IeeeMode: 1
; LDSByteSize: 0 bytes/workgroup (compile time only)
; SGPRBlocks: 12
; VGPRBlocks: 13
; NumSGPRsForWavesPerEU: 100
; NumVGPRsForWavesPerEU: 112
; AccumOffset: 96
; Occupancy: 4
; WaveLimiterHint : 1
; COMPUTE_PGM_RSRC2:SCRATCH_EN: 0
; COMPUTE_PGM_RSRC2:USER_SGPR: 6
; COMPUTE_PGM_RSRC2:TRAP_HANDLER: 0
; COMPUTE_PGM_RSRC2:TGID_X_EN: 1
; COMPUTE_PGM_RSRC2:TGID_Y_EN: 1
; COMPUTE_PGM_RSRC2:TGID_Z_EN: 1
; COMPUTE_PGM_RSRC2:TIDIG_COMP_CNT: 1
; COMPUTE_PGM_RSRC3_GFX90A:ACCUM_OFFSET: 23
; COMPUTE_PGM_RSRC3_GFX90A:TG_SPLIT: 0
	.section	.text._ZL9mul_mat_fIfLi64ELi13ELi1ELb1EEvPKT_PKfPKiPfiiiiiiiiiiiiiiii,"axG",@progbits,_ZL9mul_mat_fIfLi64ELi13ELi1ELb1EEvPKT_PKfPKiPfiiiiiiiiiiiiiiii,comdat
	.globl	_ZL9mul_mat_fIfLi64ELi13ELi1ELb1EEvPKT_PKfPKiPfiiiiiiiiiiiiiiii ; -- Begin function _ZL9mul_mat_fIfLi64ELi13ELi1ELb1EEvPKT_PKfPKiPfiiiiiiiiiiiiiiii
	.p2align	8
	.type	_ZL9mul_mat_fIfLi64ELi13ELi1ELb1EEvPKT_PKfPKiPfiiiiiiiiiiiiiiii,@function
_ZL9mul_mat_fIfLi64ELi13ELi1ELb1EEvPKT_PKfPKiPfiiiiiiiiiiiiiiii: ; @_ZL9mul_mat_fIfLi64ELi13ELi1ELb1EEvPKT_PKfPKiPfiiiiiiiiiiiiiiii
; %bb.0:
	s_load_dwordx8 s[40:47], s[4:5], 0x20
	s_mov_b32 s27, s8
	v_bfe_u32 v3, v0, 10, 10
	s_waitcnt lgkmcnt(0)
	s_add_i32 s0, s41, 12
	s_mul_hi_i32 s0, s0, 0x4ec4ec4f
	s_lshr_b32 s1, s0, 31
	s_ashr_i32 s0, s0, 2
	s_add_i32 s0, s0, s1
	v_cvt_f32_u32_e32 v1, s0
	s_load_dwordx4 s[48:51], s[4:5], 0x44
	s_load_dword s1, s[4:5], 0x64
	s_add_u32 s52, s4, 0x60
	s_addc_u32 s53, s5, 0
	v_rcp_iflag_f32_e32 v1, v1
	s_sub_i32 s2, 0, s0
	v_mul_f32_e32 v1, 0x4f7ffffe, v1
	v_cvt_u32_f32_e32 v1, v1
	v_readfirstlane_b32 s3, v1
	s_mul_i32 s2, s2, s3
	s_mul_hi_u32 s2, s3, s2
	s_add_i32 s3, s3, s2
	s_waitcnt lgkmcnt(0)
	s_mul_hi_u32 s2, s1, s3
	s_mul_i32 s3, s2, s0
	s_sub_i32 s1, s1, s3
	s_add_i32 s8, s2, 1
	s_sub_i32 s3, s1, s0
	s_cmp_ge_u32 s1, s0
	s_cselect_b32 s2, s8, s2
	s_cselect_b32 s1, s3, s1
	s_add_i32 s3, s2, 1
	s_cmp_ge_u32 s1, s0
	s_cselect_b32 s9, s3, s2
	v_cvt_f32_u32_e32 v1, s9
	s_abs_i32 s26, s51
	v_cvt_f32_u32_e32 v2, s26
	s_load_dwordx2 s[0:1], s[4:5], 0x10
	v_rcp_iflag_f32_e32 v1, v1
	s_sub_i32 s2, 0, s9
	v_rcp_iflag_f32_e32 v2, v2
	v_mul_f32_e32 v1, 0x4f7ffffe, v1
	v_cvt_u32_f32_e32 v1, v1
	v_mul_f32_e32 v2, 0x4f7ffffe, v2
	v_cvt_u32_f32_e32 v4, v2
	v_and_b32_e32 v2, 0x3ff, v0
	v_readfirstlane_b32 s3, v1
	s_mul_i32 s2, s2, s3
	s_mul_hi_u32 s2, s3, s2
	s_add_i32 s3, s3, s2
	v_readfirstlane_b32 s8, v4
	s_mul_hi_u32 s10, s7, s3
	v_cmp_eq_u32_e32 vcc, 0, v2
	s_and_saveexec_b64 s[2:3], vcc
	s_cbranch_execz .LBB76_2
; %bb.1:
	v_mov_b32_e32 v1, 0x100
	v_lshl_add_u32 v1, v3, 2, v1
	v_mov_b32_e32 v4, -1
	ds_write_b32 v1, v4
.LBB76_2:
	s_or_b64 exec, exec, s[2:3]
	s_mul_i32 s2, s10, s9
	s_sub_i32 s2, s7, s2
	s_add_i32 s3, s10, 1
	s_sub_i32 s11, s2, s9
	s_cmp_ge_u32 s2, s9
	s_cselect_b32 s3, s3, s10
	s_cselect_b32 s2, s11, s2
	s_add_i32 s10, s3, 1
	s_cmp_ge_u32 s2, s9
	s_cselect_b32 s2, s10, s3
	s_mul_i32 s3, s2, s9
	s_mul_i32 s9, s2, 13
	s_sub_i32 s7, s7, s3
	s_mul_hi_i32 s3, s9, s47
	s_mul_i32 s2, s9, s47
	s_lshl_b64 s[2:3], s[2:3], 2
	s_waitcnt lgkmcnt(0)
	s_add_u32 s0, s0, s2
	v_add_u32_e32 v1, s9, v3
	s_addc_u32 s1, s1, s3
	v_cmp_gt_i32_e64 s[28:29], s42, v2
	v_cmp_gt_i32_e64 s[30:31], s41, v1
	v_mov_b32_e32 v1, 0
	s_and_saveexec_b64 s[12:13], s[30:31]
	s_cbranch_execz .LBB76_10
; %bb.3:
	v_mov_b32_e32 v1, 0
	s_and_saveexec_b64 s[14:15], s[28:29]
	s_cbranch_execz .LBB76_9
; %bb.4:
	v_mul_lo_u32 v4, v3, s47
	v_ashrrev_i32_e32 v5, 31, v4
	v_lshlrev_b64 v[4:5], 2, v[4:5]
	v_mov_b32_e32 v1, s1
	v_add_co_u32_e64 v6, s[2:3], s0, v4
	v_addc_co_u32_e64 v7, s[2:3], v1, v5, s[2:3]
	v_mov_b32_e32 v1, 0x100
	v_lshl_add_u32 v8, v3, 2, v1
	v_mul_lo_u32 v4, v2, s46
	s_lshl_b32 s20, s46, 6
	s_mov_b64 s[16:17], 0
	v_mov_b32_e32 v1, 0
	v_mov_b32_e32 v9, v2
	s_branch .LBB76_6
.LBB76_5:                               ;   in Loop: Header=BB76_6 Depth=1
	s_or_b64 exec, exec, s[18:19]
	v_add_u32_e32 v9, 64, v9
	v_cmp_le_i32_e64 s[10:11], s42, v9
	s_xor_b64 s[2:3], s[2:3], -1
	s_or_b64 s[2:3], s[2:3], s[10:11]
	s_and_b64 s[2:3], exec, s[2:3]
	s_or_b64 s[16:17], s[2:3], s[16:17]
	v_add_u32_e32 v4, s20, v4
	s_andn2_b64 exec, exec, s[16:17]
	s_cbranch_execz .LBB76_8
.LBB76_6:                               ; =>This Inner Loop Header: Depth=1
	v_ashrrev_i32_e32 v5, 31, v4
	v_lshlrev_b64 v[10:11], 2, v[4:5]
	v_add_co_u32_e64 v10, s[2:3], v6, v10
	v_addc_co_u32_e64 v11, s[2:3], v7, v11, s[2:3]
	global_load_dword v5, v[10:11], off
	s_waitcnt vmcnt(0)
	v_cmp_ne_u32_e64 s[2:3], s7, v5
	v_cmp_eq_u32_e64 s[10:11], s7, v5
	s_and_saveexec_b64 s[18:19], s[10:11]
	s_cbranch_execz .LBB76_5
; %bb.7:                                ;   in Loop: Header=BB76_6 Depth=1
	v_mov_b32_e32 v1, 1
	ds_write_b32 v8, v9
	s_branch .LBB76_5
.LBB76_8:
	s_or_b64 exec, exec, s[16:17]
.LBB76_9:
	s_or_b64 exec, exec, s[14:15]
.LBB76_10:
	s_or_b64 exec, exec, s[12:13]
	s_and_saveexec_b64 s[2:3], vcc
	s_cbranch_execz .LBB76_12
; %bb.11:
	v_mov_b32_e32 v4, 0x100
	v_lshl_add_u32 v4, v3, 2, v4
	v_mov_b32_e32 v5, -1
	ds_write_b32 v4, v5 offset:4
.LBB76_12:
	s_or_b64 exec, exec, s[2:3]
	v_add_u32_e32 v68, 1, v3
	v_add_u32_e32 v4, s9, v68
	v_cmp_gt_i32_e64 s[2:3], s41, v4
	s_mov_b64 s[14:15], exec
                                        ; implicit-def: $vgpr97 : SGPR spill to VGPR lane
	v_writelane_b32 v97, s2, 0
	v_writelane_b32 v97, s3, 1
	s_and_b64 s[2:3], s[14:15], s[2:3]
	s_mov_b64 exec, s[2:3]
	s_cbranch_execz .LBB76_20
; %bb.13:
	s_and_saveexec_b64 s[16:17], s[28:29]
	s_cbranch_execz .LBB76_19
; %bb.14:
	v_mul_lo_u32 v4, v68, s47
	v_ashrrev_i32_e32 v5, 31, v4
	v_lshlrev_b64 v[4:5], 2, v[4:5]
	v_mov_b32_e32 v7, s1
	v_add_co_u32_e64 v6, s[10:11], s0, v4
	v_mov_b32_e32 v4, 0x100
	v_addc_co_u32_e64 v7, s[10:11], v7, v5, s[10:11]
	v_lshl_add_u32 v8, v3, 2, v4
	v_mul_lo_u32 v4, v2, s46
	s_lshl_b32 s2, s46, 6
	s_mov_b64 s[18:19], 0
	v_mov_b32_e32 v9, v2
	s_branch .LBB76_16
.LBB76_15:                              ;   in Loop: Header=BB76_16 Depth=1
	s_or_b64 exec, exec, s[20:21]
	v_add_u32_e32 v9, 64, v9
	v_cmp_le_i32_e64 s[12:13], s42, v9
	s_xor_b64 s[10:11], s[10:11], -1
	s_or_b64 s[10:11], s[10:11], s[12:13]
	s_and_b64 s[10:11], exec, s[10:11]
	s_or_b64 s[18:19], s[10:11], s[18:19]
	v_add_u32_e32 v4, s2, v4
	s_andn2_b64 exec, exec, s[18:19]
	s_cbranch_execz .LBB76_18
.LBB76_16:                              ; =>This Inner Loop Header: Depth=1
	v_ashrrev_i32_e32 v5, 31, v4
	v_lshlrev_b64 v[10:11], 2, v[4:5]
	v_add_co_u32_e64 v10, s[10:11], v6, v10
	v_addc_co_u32_e64 v11, s[10:11], v7, v11, s[10:11]
	global_load_dword v5, v[10:11], off
	s_waitcnt vmcnt(0)
	v_cmp_ne_u32_e64 s[10:11], s7, v5
	v_cmp_eq_u32_e64 s[12:13], s7, v5
	s_and_saveexec_b64 s[20:21], s[12:13]
	s_cbranch_execz .LBB76_15
; %bb.17:                               ;   in Loop: Header=BB76_16 Depth=1
	v_mov_b32_e32 v1, 1
	ds_write_b32 v8, v9 offset:4
	s_branch .LBB76_15
.LBB76_18:
	s_or_b64 exec, exec, s[18:19]
.LBB76_19:
	s_or_b64 exec, exec, s[16:17]
.LBB76_20:
	s_or_b64 exec, exec, s[14:15]
	s_and_saveexec_b64 s[10:11], vcc
	s_cbranch_execz .LBB76_22
; %bb.21:
	v_mov_b32_e32 v4, 0x100
	v_lshl_add_u32 v4, v3, 2, v4
	v_mov_b32_e32 v5, -1
	ds_write_b32 v4, v5 offset:8
.LBB76_22:
	s_or_b64 exec, exec, s[10:11]
	v_add_u32_e32 v69, 2, v3
	v_add_u32_e32 v4, s9, v69
	v_cmp_gt_i32_e64 s[2:3], s41, v4
	s_mov_b64 s[14:15], exec
	v_writelane_b32 v97, s2, 2
	v_writelane_b32 v97, s3, 3
	s_and_b64 s[2:3], s[14:15], s[2:3]
	s_mov_b64 exec, s[2:3]
	s_cbranch_execz .LBB76_30
; %bb.23:
	s_and_saveexec_b64 s[16:17], s[28:29]
	s_cbranch_execz .LBB76_29
; %bb.24:
	v_mul_lo_u32 v4, v69, s47
	v_ashrrev_i32_e32 v5, 31, v4
	v_lshlrev_b64 v[4:5], 2, v[4:5]
	v_mov_b32_e32 v7, s1
	v_add_co_u32_e64 v6, s[10:11], s0, v4
	v_mov_b32_e32 v4, 0x100
	v_addc_co_u32_e64 v7, s[10:11], v7, v5, s[10:11]
	v_lshl_add_u32 v8, v3, 2, v4
	v_mul_lo_u32 v4, v2, s46
	s_lshl_b32 s2, s46, 6
	s_mov_b64 s[18:19], 0
	v_mov_b32_e32 v9, v2
	s_branch .LBB76_26
.LBB76_25:                              ;   in Loop: Header=BB76_26 Depth=1
	s_or_b64 exec, exec, s[20:21]
	v_add_u32_e32 v9, 64, v9
	v_cmp_le_i32_e64 s[12:13], s42, v9
	s_xor_b64 s[10:11], s[10:11], -1
	s_or_b64 s[10:11], s[10:11], s[12:13]
	s_and_b64 s[10:11], exec, s[10:11]
	s_or_b64 s[18:19], s[10:11], s[18:19]
	v_add_u32_e32 v4, s2, v4
	s_andn2_b64 exec, exec, s[18:19]
	s_cbranch_execz .LBB76_28
.LBB76_26:                              ; =>This Inner Loop Header: Depth=1
	v_ashrrev_i32_e32 v5, 31, v4
	v_lshlrev_b64 v[10:11], 2, v[4:5]
	v_add_co_u32_e64 v10, s[10:11], v6, v10
	v_addc_co_u32_e64 v11, s[10:11], v7, v11, s[10:11]
	global_load_dword v5, v[10:11], off
	s_waitcnt vmcnt(0)
	v_cmp_ne_u32_e64 s[10:11], s7, v5
	v_cmp_eq_u32_e64 s[12:13], s7, v5
	s_and_saveexec_b64 s[20:21], s[12:13]
	s_cbranch_execz .LBB76_25
; %bb.27:                               ;   in Loop: Header=BB76_26 Depth=1
	v_mov_b32_e32 v1, 1
	ds_write_b32 v8, v9 offset:8
	s_branch .LBB76_25
.LBB76_28:
	s_or_b64 exec, exec, s[18:19]
.LBB76_29:
	s_or_b64 exec, exec, s[16:17]
.LBB76_30:
	s_or_b64 exec, exec, s[14:15]
	s_and_saveexec_b64 s[10:11], vcc
	s_cbranch_execz .LBB76_32
; %bb.31:
	v_mov_b32_e32 v4, 0x100
	v_lshl_add_u32 v4, v3, 2, v4
	v_mov_b32_e32 v5, -1
	ds_write_b32 v4, v5 offset:12
.LBB76_32:
	s_or_b64 exec, exec, s[10:11]
	v_add_u32_e32 v70, 3, v3
	v_add_u32_e32 v4, s9, v70
	v_cmp_gt_i32_e64 s[2:3], s41, v4
	s_mov_b64 s[14:15], exec
	v_writelane_b32 v97, s2, 4
	v_writelane_b32 v97, s3, 5
	s_and_b64 s[2:3], s[14:15], s[2:3]
	s_mov_b64 exec, s[2:3]
	s_cbranch_execz .LBB76_40
; %bb.33:
	s_and_saveexec_b64 s[16:17], s[28:29]
	s_cbranch_execz .LBB76_39
; %bb.34:
	v_mul_lo_u32 v4, v70, s47
	v_ashrrev_i32_e32 v5, 31, v4
	v_lshlrev_b64 v[4:5], 2, v[4:5]
	v_mov_b32_e32 v7, s1
	v_add_co_u32_e64 v6, s[10:11], s0, v4
	v_mov_b32_e32 v4, 0x100
	v_addc_co_u32_e64 v7, s[10:11], v7, v5, s[10:11]
	v_lshl_add_u32 v8, v3, 2, v4
	v_mul_lo_u32 v4, v2, s46
	s_lshl_b32 s2, s46, 6
	s_mov_b64 s[18:19], 0
	v_mov_b32_e32 v9, v2
	s_branch .LBB76_36
.LBB76_35:                              ;   in Loop: Header=BB76_36 Depth=1
	s_or_b64 exec, exec, s[20:21]
	v_add_u32_e32 v9, 64, v9
	v_cmp_le_i32_e64 s[12:13], s42, v9
	s_xor_b64 s[10:11], s[10:11], -1
	s_or_b64 s[10:11], s[10:11], s[12:13]
	s_and_b64 s[10:11], exec, s[10:11]
	s_or_b64 s[18:19], s[10:11], s[18:19]
	v_add_u32_e32 v4, s2, v4
	s_andn2_b64 exec, exec, s[18:19]
	s_cbranch_execz .LBB76_38
.LBB76_36:                              ; =>This Inner Loop Header: Depth=1
	v_ashrrev_i32_e32 v5, 31, v4
	v_lshlrev_b64 v[10:11], 2, v[4:5]
	v_add_co_u32_e64 v10, s[10:11], v6, v10
	v_addc_co_u32_e64 v11, s[10:11], v7, v11, s[10:11]
	global_load_dword v5, v[10:11], off
	s_waitcnt vmcnt(0)
	v_cmp_ne_u32_e64 s[10:11], s7, v5
	v_cmp_eq_u32_e64 s[12:13], s7, v5
	s_and_saveexec_b64 s[20:21], s[12:13]
	s_cbranch_execz .LBB76_35
; %bb.37:                               ;   in Loop: Header=BB76_36 Depth=1
	v_mov_b32_e32 v1, 1
	ds_write_b32 v8, v9 offset:12
	s_branch .LBB76_35
.LBB76_38:
	s_or_b64 exec, exec, s[18:19]
.LBB76_39:
	s_or_b64 exec, exec, s[16:17]
.LBB76_40:
	s_or_b64 exec, exec, s[14:15]
	s_and_saveexec_b64 s[10:11], vcc
	s_cbranch_execz .LBB76_42
; %bb.41:
	v_mov_b32_e32 v4, 0x100
	v_lshl_add_u32 v4, v3, 2, v4
	v_mov_b32_e32 v5, -1
	ds_write_b32 v4, v5 offset:16
.LBB76_42:
	s_or_b64 exec, exec, s[10:11]
	v_add_u32_e32 v71, 4, v3
	v_add_u32_e32 v4, s9, v71
	v_cmp_gt_i32_e64 s[2:3], s41, v4
	s_mov_b64 s[14:15], exec
	v_writelane_b32 v97, s2, 6
	v_writelane_b32 v97, s3, 7
	s_and_b64 s[2:3], s[14:15], s[2:3]
	s_mov_b64 exec, s[2:3]
	s_cbranch_execz .LBB76_50
; %bb.43:
	s_and_saveexec_b64 s[16:17], s[28:29]
	s_cbranch_execz .LBB76_49
; %bb.44:
	v_mul_lo_u32 v4, v71, s47
	v_ashrrev_i32_e32 v5, 31, v4
	v_lshlrev_b64 v[4:5], 2, v[4:5]
	v_mov_b32_e32 v7, s1
	v_add_co_u32_e64 v6, s[10:11], s0, v4
	v_mov_b32_e32 v4, 0x100
	v_addc_co_u32_e64 v7, s[10:11], v7, v5, s[10:11]
	v_lshl_add_u32 v8, v3, 2, v4
	v_mul_lo_u32 v4, v2, s46
	s_lshl_b32 s2, s46, 6
	s_mov_b64 s[18:19], 0
	v_mov_b32_e32 v9, v2
	s_branch .LBB76_46
.LBB76_45:                              ;   in Loop: Header=BB76_46 Depth=1
	s_or_b64 exec, exec, s[20:21]
	v_add_u32_e32 v9, 64, v9
	v_cmp_le_i32_e64 s[12:13], s42, v9
	s_xor_b64 s[10:11], s[10:11], -1
	s_or_b64 s[10:11], s[10:11], s[12:13]
	s_and_b64 s[10:11], exec, s[10:11]
	s_or_b64 s[18:19], s[10:11], s[18:19]
	v_add_u32_e32 v4, s2, v4
	s_andn2_b64 exec, exec, s[18:19]
	s_cbranch_execz .LBB76_48
.LBB76_46:                              ; =>This Inner Loop Header: Depth=1
	v_ashrrev_i32_e32 v5, 31, v4
	v_lshlrev_b64 v[10:11], 2, v[4:5]
	v_add_co_u32_e64 v10, s[10:11], v6, v10
	v_addc_co_u32_e64 v11, s[10:11], v7, v11, s[10:11]
	global_load_dword v5, v[10:11], off
	s_waitcnt vmcnt(0)
	v_cmp_ne_u32_e64 s[10:11], s7, v5
	v_cmp_eq_u32_e64 s[12:13], s7, v5
	s_and_saveexec_b64 s[20:21], s[12:13]
	s_cbranch_execz .LBB76_45
; %bb.47:                               ;   in Loop: Header=BB76_46 Depth=1
	v_mov_b32_e32 v1, 1
	ds_write_b32 v8, v9 offset:16
	s_branch .LBB76_45
.LBB76_48:
	s_or_b64 exec, exec, s[18:19]
.LBB76_49:
	s_or_b64 exec, exec, s[16:17]
.LBB76_50:
	s_or_b64 exec, exec, s[14:15]
	s_and_saveexec_b64 s[10:11], vcc
	s_cbranch_execz .LBB76_52
; %bb.51:
	v_mov_b32_e32 v4, 0x100
	v_lshl_add_u32 v4, v3, 2, v4
	v_mov_b32_e32 v5, -1
	ds_write_b32 v4, v5 offset:20
.LBB76_52:
	s_or_b64 exec, exec, s[10:11]
	v_add_u32_e32 v72, 5, v3
	v_add_u32_e32 v4, s9, v72
	v_cmp_gt_i32_e64 s[2:3], s41, v4
	s_mov_b64 s[16:17], exec
	v_writelane_b32 v97, s2, 8
	v_writelane_b32 v97, s3, 9
	s_and_b64 s[2:3], s[16:17], s[2:3]
	s_mov_b64 exec, s[2:3]
	s_cbranch_execz .LBB76_60
; %bb.53:
	s_and_saveexec_b64 s[18:19], s[28:29]
	s_cbranch_execz .LBB76_59
; %bb.54:
	v_mul_lo_u32 v4, v72, s47
	v_ashrrev_i32_e32 v5, 31, v4
	v_lshlrev_b64 v[4:5], 2, v[4:5]
	v_mov_b32_e32 v7, s1
	v_add_co_u32_e64 v6, s[12:13], s0, v4
	v_mov_b32_e32 v4, 0x100
	v_addc_co_u32_e64 v7, s[12:13], v7, v5, s[12:13]
	v_lshl_add_u32 v8, v3, 2, v4
	v_mul_lo_u32 v4, v2, s46
	s_lshl_b32 s2, s46, 6
	s_mov_b64 s[20:21], 0
	v_mov_b32_e32 v9, v2
	s_branch .LBB76_56
.LBB76_55:                              ;   in Loop: Header=BB76_56 Depth=1
	s_or_b64 exec, exec, s[22:23]
	v_add_u32_e32 v9, 64, v9
	v_cmp_le_i32_e64 s[14:15], s42, v9
	s_xor_b64 s[10:11], s[12:13], -1
	s_or_b64 s[10:11], s[10:11], s[14:15]
	s_and_b64 s[10:11], exec, s[10:11]
	s_or_b64 s[20:21], s[10:11], s[20:21]
	v_add_u32_e32 v4, s2, v4
	s_andn2_b64 exec, exec, s[20:21]
	s_cbranch_execz .LBB76_58
.LBB76_56:                              ; =>This Inner Loop Header: Depth=1
	v_ashrrev_i32_e32 v5, 31, v4
	v_lshlrev_b64 v[10:11], 2, v[4:5]
	v_add_co_u32_e64 v10, s[12:13], v6, v10
	v_addc_co_u32_e64 v11, s[12:13], v7, v11, s[12:13]
	global_load_dword v5, v[10:11], off
	s_waitcnt vmcnt(0)
	v_cmp_ne_u32_e64 s[12:13], s7, v5
	v_cmp_eq_u32_e64 s[14:15], s7, v5
	s_and_saveexec_b64 s[22:23], s[14:15]
	s_cbranch_execz .LBB76_55
; %bb.57:                               ;   in Loop: Header=BB76_56 Depth=1
	v_mov_b32_e32 v1, 1
	ds_write_b32 v8, v9 offset:20
	s_branch .LBB76_55
.LBB76_58:
	s_or_b64 exec, exec, s[20:21]
.LBB76_59:
	s_or_b64 exec, exec, s[18:19]
.LBB76_60:
	s_or_b64 exec, exec, s[16:17]
	s_and_saveexec_b64 s[12:13], vcc
	s_cbranch_execz .LBB76_62
; %bb.61:
	v_mov_b32_e32 v4, 0x100
	v_lshl_add_u32 v4, v3, 2, v4
	v_mov_b32_e32 v5, -1
	ds_write_b32 v4, v5 offset:24
.LBB76_62:
	s_or_b64 exec, exec, s[12:13]
	v_add_u32_e32 v73, 6, v3
	v_add_u32_e32 v4, s9, v73
	v_cmp_gt_i32_e64 s[2:3], s41, v4
	s_mov_b64 s[18:19], exec
	v_writelane_b32 v97, s2, 10
	v_writelane_b32 v97, s3, 11
	s_and_b64 s[2:3], s[18:19], s[2:3]
	s_mov_b64 exec, s[2:3]
	s_cbranch_execz .LBB76_70
; %bb.63:
	s_and_saveexec_b64 s[20:21], s[28:29]
	s_cbranch_execz .LBB76_69
; %bb.64:
	v_mul_lo_u32 v4, v73, s47
	v_ashrrev_i32_e32 v5, 31, v4
	v_lshlrev_b64 v[4:5], 2, v[4:5]
	v_mov_b32_e32 v7, s1
	v_add_co_u32_e64 v6, s[14:15], s0, v4
	v_mov_b32_e32 v4, 0x100
	v_addc_co_u32_e64 v7, s[14:15], v7, v5, s[14:15]
	v_lshl_add_u32 v8, v3, 2, v4
	v_mul_lo_u32 v4, v2, s46
	s_lshl_b32 s2, s46, 6
	s_mov_b64 s[22:23], 0
	v_mov_b32_e32 v9, v2
	s_branch .LBB76_66
.LBB76_65:                              ;   in Loop: Header=BB76_66 Depth=1
	s_or_b64 exec, exec, s[24:25]
	v_add_u32_e32 v9, 64, v9
	v_cmp_le_i32_e64 s[16:17], s42, v9
	s_xor_b64 s[10:11], s[14:15], -1
	s_or_b64 s[10:11], s[10:11], s[16:17]
	s_and_b64 s[10:11], exec, s[10:11]
	s_or_b64 s[22:23], s[10:11], s[22:23]
	v_add_u32_e32 v4, s2, v4
	s_andn2_b64 exec, exec, s[22:23]
	s_cbranch_execz .LBB76_68
.LBB76_66:                              ; =>This Inner Loop Header: Depth=1
	v_ashrrev_i32_e32 v5, 31, v4
	v_lshlrev_b64 v[10:11], 2, v[4:5]
	v_add_co_u32_e64 v10, s[14:15], v6, v10
	v_addc_co_u32_e64 v11, s[14:15], v7, v11, s[14:15]
	global_load_dword v5, v[10:11], off
	s_waitcnt vmcnt(0)
	v_cmp_ne_u32_e64 s[14:15], s7, v5
	v_cmp_eq_u32_e64 s[16:17], s7, v5
	s_and_saveexec_b64 s[24:25], s[16:17]
	s_cbranch_execz .LBB76_65
; %bb.67:                               ;   in Loop: Header=BB76_66 Depth=1
	v_mov_b32_e32 v1, 1
	ds_write_b32 v8, v9 offset:24
	s_branch .LBB76_65
.LBB76_68:
	s_or_b64 exec, exec, s[22:23]
.LBB76_69:
	s_or_b64 exec, exec, s[20:21]
.LBB76_70:
	s_or_b64 exec, exec, s[18:19]
	s_and_saveexec_b64 s[14:15], vcc
	s_cbranch_execz .LBB76_72
; %bb.71:
	v_mov_b32_e32 v4, 0x100
	v_lshl_add_u32 v4, v3, 2, v4
	v_mov_b32_e32 v5, -1
	ds_write_b32 v4, v5 offset:28
.LBB76_72:
	s_or_b64 exec, exec, s[14:15]
	v_add_u32_e32 v74, 7, v3
	v_add_u32_e32 v4, s9, v74
	v_cmp_gt_i32_e64 s[2:3], s41, v4
	s_mov_b64 s[20:21], exec
	v_writelane_b32 v97, s2, 12
	v_writelane_b32 v97, s3, 13
	s_and_b64 s[2:3], s[20:21], s[2:3]
	s_mov_b64 exec, s[2:3]
	s_cbranch_execz .LBB76_80
; %bb.73:
	s_and_saveexec_b64 s[22:23], s[28:29]
	s_cbranch_execz .LBB76_79
; %bb.74:
	v_mul_lo_u32 v4, v74, s47
	v_ashrrev_i32_e32 v5, 31, v4
	v_lshlrev_b64 v[4:5], 2, v[4:5]
	v_mov_b32_e32 v7, s1
	v_add_co_u32_e64 v6, s[16:17], s0, v4
	v_mov_b32_e32 v4, 0x100
	v_addc_co_u32_e64 v7, s[16:17], v7, v5, s[16:17]
	v_lshl_add_u32 v8, v3, 2, v4
	v_mul_lo_u32 v4, v2, s46
	s_lshl_b32 s2, s46, 6
	s_mov_b64 s[24:25], 0
	v_mov_b32_e32 v9, v2
	s_branch .LBB76_76
.LBB76_75:                              ;   in Loop: Header=BB76_76 Depth=1
	s_or_b64 exec, exec, s[36:37]
	v_add_u32_e32 v9, 64, v9
	v_cmp_le_i32_e64 s[18:19], s42, v9
	s_xor_b64 s[10:11], s[16:17], -1
	s_or_b64 s[10:11], s[10:11], s[18:19]
	s_and_b64 s[10:11], exec, s[10:11]
	s_or_b64 s[24:25], s[10:11], s[24:25]
	v_add_u32_e32 v4, s2, v4
	s_andn2_b64 exec, exec, s[24:25]
	s_cbranch_execz .LBB76_78
.LBB76_76:                              ; =>This Inner Loop Header: Depth=1
	v_ashrrev_i32_e32 v5, 31, v4
	v_lshlrev_b64 v[10:11], 2, v[4:5]
	v_add_co_u32_e64 v10, s[16:17], v6, v10
	v_addc_co_u32_e64 v11, s[16:17], v7, v11, s[16:17]
	global_load_dword v5, v[10:11], off
	s_waitcnt vmcnt(0)
	v_cmp_ne_u32_e64 s[16:17], s7, v5
	v_cmp_eq_u32_e64 s[18:19], s7, v5
	s_and_saveexec_b64 s[36:37], s[18:19]
	s_cbranch_execz .LBB76_75
; %bb.77:                               ;   in Loop: Header=BB76_76 Depth=1
	v_mov_b32_e32 v1, 1
	ds_write_b32 v8, v9 offset:28
	s_branch .LBB76_75
.LBB76_78:
	s_or_b64 exec, exec, s[24:25]
.LBB76_79:
	s_or_b64 exec, exec, s[22:23]
.LBB76_80:
	s_or_b64 exec, exec, s[20:21]
	s_and_saveexec_b64 s[16:17], vcc
	s_cbranch_execz .LBB76_82
; %bb.81:
	v_mov_b32_e32 v4, 0x100
	v_lshl_add_u32 v4, v3, 2, v4
	v_mov_b32_e32 v5, -1
	ds_write_b32 v4, v5 offset:32
.LBB76_82:
	s_or_b64 exec, exec, s[16:17]
	v_add_u32_e32 v75, 8, v3
	v_add_u32_e32 v4, s9, v75
	v_cmp_gt_i32_e64 s[2:3], s41, v4
	s_mov_b64 s[22:23], exec
	v_writelane_b32 v97, s2, 14
	v_writelane_b32 v97, s3, 15
	s_and_b64 s[2:3], s[22:23], s[2:3]
	s_mov_b64 exec, s[2:3]
	s_cbranch_execz .LBB76_90
; %bb.83:
	s_and_saveexec_b64 s[24:25], s[28:29]
	s_cbranch_execz .LBB76_89
; %bb.84:
	v_mul_lo_u32 v4, v75, s47
	v_ashrrev_i32_e32 v5, 31, v4
	v_lshlrev_b64 v[4:5], 2, v[4:5]
	v_mov_b32_e32 v7, s1
	v_add_co_u32_e64 v6, s[18:19], s0, v4
	v_mov_b32_e32 v4, 0x100
	v_addc_co_u32_e64 v7, s[18:19], v7, v5, s[18:19]
	v_lshl_add_u32 v8, v3, 2, v4
	v_mul_lo_u32 v4, v2, s46
	s_lshl_b32 s2, s46, 6
	s_mov_b64 s[36:37], 0
	v_mov_b32_e32 v9, v2
	s_branch .LBB76_86
.LBB76_85:                              ;   in Loop: Header=BB76_86 Depth=1
	s_or_b64 exec, exec, s[38:39]
	v_add_u32_e32 v9, 64, v9
	v_cmp_le_i32_e64 s[20:21], s42, v9
	s_xor_b64 s[10:11], s[18:19], -1
	s_or_b64 s[10:11], s[10:11], s[20:21]
	s_and_b64 s[10:11], exec, s[10:11]
	s_or_b64 s[36:37], s[10:11], s[36:37]
	v_add_u32_e32 v4, s2, v4
	s_andn2_b64 exec, exec, s[36:37]
	s_cbranch_execz .LBB76_88
.LBB76_86:                              ; =>This Inner Loop Header: Depth=1
	v_ashrrev_i32_e32 v5, 31, v4
	v_lshlrev_b64 v[10:11], 2, v[4:5]
	v_add_co_u32_e64 v10, s[18:19], v6, v10
	v_addc_co_u32_e64 v11, s[18:19], v7, v11, s[18:19]
	global_load_dword v5, v[10:11], off
	s_waitcnt vmcnt(0)
	v_cmp_ne_u32_e64 s[18:19], s7, v5
	v_cmp_eq_u32_e64 s[20:21], s7, v5
	s_and_saveexec_b64 s[38:39], s[20:21]
	s_cbranch_execz .LBB76_85
; %bb.87:                               ;   in Loop: Header=BB76_86 Depth=1
	v_mov_b32_e32 v1, 1
	ds_write_b32 v8, v9 offset:32
	s_branch .LBB76_85
.LBB76_88:
	s_or_b64 exec, exec, s[36:37]
.LBB76_89:
	s_or_b64 exec, exec, s[24:25]
.LBB76_90:
	s_or_b64 exec, exec, s[22:23]
	s_and_saveexec_b64 s[18:19], vcc
	s_cbranch_execz .LBB76_92
; %bb.91:
	v_mov_b32_e32 v4, 0x100
	v_lshl_add_u32 v4, v3, 2, v4
	v_mov_b32_e32 v5, -1
	ds_write_b32 v4, v5 offset:36
.LBB76_92:
	s_or_b64 exec, exec, s[18:19]
	v_add_u32_e32 v76, 9, v3
	v_add_u32_e32 v4, s9, v76
	v_cmp_gt_i32_e64 s[2:3], s41, v4
	s_mov_b64 s[24:25], exec
	v_writelane_b32 v97, s2, 16
	v_writelane_b32 v97, s3, 17
	s_and_b64 s[2:3], s[24:25], s[2:3]
	s_mov_b64 exec, s[2:3]
	s_cbranch_execz .LBB76_100
; %bb.93:
	s_and_saveexec_b64 s[36:37], s[28:29]
	s_cbranch_execz .LBB76_99
; %bb.94:
	v_mul_lo_u32 v4, v76, s47
	v_ashrrev_i32_e32 v5, 31, v4
	v_lshlrev_b64 v[4:5], 2, v[4:5]
	v_mov_b32_e32 v7, s1
	v_add_co_u32_e64 v6, s[20:21], s0, v4
	v_mov_b32_e32 v4, 0x100
	v_addc_co_u32_e64 v7, s[20:21], v7, v5, s[20:21]
	v_lshl_add_u32 v8, v3, 2, v4
	v_mul_lo_u32 v4, v2, s46
	s_lshl_b32 s2, s46, 6
	s_mov_b64 s[38:39], 0
	v_mov_b32_e32 v9, v2
	s_branch .LBB76_96
.LBB76_95:                              ;   in Loop: Header=BB76_96 Depth=1
	s_or_b64 exec, exec, s[54:55]
	v_add_u32_e32 v9, 64, v9
	v_cmp_le_i32_e64 s[22:23], s42, v9
	s_xor_b64 s[10:11], s[20:21], -1
	s_or_b64 s[10:11], s[10:11], s[22:23]
	s_and_b64 s[10:11], exec, s[10:11]
	s_or_b64 s[38:39], s[10:11], s[38:39]
	v_add_u32_e32 v4, s2, v4
	s_andn2_b64 exec, exec, s[38:39]
	s_cbranch_execz .LBB76_98
.LBB76_96:                              ; =>This Inner Loop Header: Depth=1
	v_ashrrev_i32_e32 v5, 31, v4
	v_lshlrev_b64 v[10:11], 2, v[4:5]
	v_add_co_u32_e64 v10, s[20:21], v6, v10
	v_addc_co_u32_e64 v11, s[20:21], v7, v11, s[20:21]
	global_load_dword v5, v[10:11], off
	s_waitcnt vmcnt(0)
	v_cmp_ne_u32_e64 s[20:21], s7, v5
	v_cmp_eq_u32_e64 s[22:23], s7, v5
	s_and_saveexec_b64 s[54:55], s[22:23]
	s_cbranch_execz .LBB76_95
; %bb.97:                               ;   in Loop: Header=BB76_96 Depth=1
	v_mov_b32_e32 v1, 1
	ds_write_b32 v8, v9 offset:36
	s_branch .LBB76_95
.LBB76_98:
	s_or_b64 exec, exec, s[38:39]
.LBB76_99:
	s_or_b64 exec, exec, s[36:37]
.LBB76_100:
	s_or_b64 exec, exec, s[24:25]
	s_and_saveexec_b64 s[20:21], vcc
	s_cbranch_execz .LBB76_102
; %bb.101:
	v_mov_b32_e32 v4, 0x100
	v_lshl_add_u32 v4, v3, 2, v4
	v_mov_b32_e32 v5, -1
	ds_write_b32 v4, v5 offset:40
.LBB76_102:
	s_or_b64 exec, exec, s[20:21]
	v_add_u32_e32 v77, 10, v3
	v_add_u32_e32 v4, s9, v77
	v_cmp_gt_i32_e64 s[2:3], s41, v4
	s_mov_b64 s[36:37], exec
	v_writelane_b32 v97, s2, 18
	v_writelane_b32 v97, s3, 19
	s_and_b64 s[2:3], s[36:37], s[2:3]
	s_mov_b64 exec, s[2:3]
	s_cbranch_execz .LBB76_110
; %bb.103:
	s_and_saveexec_b64 s[38:39], s[28:29]
	s_cbranch_execz .LBB76_109
; %bb.104:
	v_mul_lo_u32 v4, v77, s47
	v_ashrrev_i32_e32 v5, 31, v4
	v_lshlrev_b64 v[4:5], 2, v[4:5]
	v_mov_b32_e32 v7, s1
	v_add_co_u32_e64 v6, s[22:23], s0, v4
	v_mov_b32_e32 v4, 0x100
	v_addc_co_u32_e64 v7, s[22:23], v7, v5, s[22:23]
	v_lshl_add_u32 v8, v3, 2, v4
	v_mul_lo_u32 v4, v2, s46
	s_lshl_b32 s2, s46, 6
	s_mov_b64 s[54:55], 0
	v_mov_b32_e32 v9, v2
	s_branch .LBB76_106
.LBB76_105:                             ;   in Loop: Header=BB76_106 Depth=1
	s_or_b64 exec, exec, s[56:57]
	v_add_u32_e32 v9, 64, v9
	v_cmp_le_i32_e64 s[24:25], s42, v9
	s_xor_b64 s[10:11], s[22:23], -1
	s_or_b64 s[10:11], s[10:11], s[24:25]
	s_and_b64 s[10:11], exec, s[10:11]
	s_or_b64 s[54:55], s[10:11], s[54:55]
	v_add_u32_e32 v4, s2, v4
	s_andn2_b64 exec, exec, s[54:55]
	s_cbranch_execz .LBB76_108
.LBB76_106:                             ; =>This Inner Loop Header: Depth=1
	v_ashrrev_i32_e32 v5, 31, v4
	v_lshlrev_b64 v[10:11], 2, v[4:5]
	v_add_co_u32_e64 v10, s[22:23], v6, v10
	v_addc_co_u32_e64 v11, s[22:23], v7, v11, s[22:23]
	global_load_dword v5, v[10:11], off
	s_waitcnt vmcnt(0)
	v_cmp_ne_u32_e64 s[22:23], s7, v5
	v_cmp_eq_u32_e64 s[24:25], s7, v5
	s_and_saveexec_b64 s[56:57], s[24:25]
	s_cbranch_execz .LBB76_105
; %bb.107:                              ;   in Loop: Header=BB76_106 Depth=1
	v_mov_b32_e32 v1, 1
	ds_write_b32 v8, v9 offset:40
	s_branch .LBB76_105
.LBB76_108:
	s_or_b64 exec, exec, s[54:55]
.LBB76_109:
	s_or_b64 exec, exec, s[38:39]
.LBB76_110:
	s_or_b64 exec, exec, s[36:37]
	s_sub_i32 s2, 0, s26
	s_and_saveexec_b64 s[22:23], vcc
	s_cbranch_execz .LBB76_112
; %bb.111:
	v_mov_b32_e32 v4, 0x100
	v_lshl_add_u32 v4, v3, 2, v4
	v_mov_b32_e32 v5, -1
	ds_write_b32 v4, v5 offset:44
.LBB76_112:
	s_or_b64 exec, exec, s[22:23]
	v_add_u32_e32 v78, 11, v3
	s_mul_i32 s2, s2, s8
	v_add_u32_e32 v4, s9, v78
	v_cmp_gt_i32_e64 s[10:11], s41, v4
	s_mov_b64 s[38:39], exec
	v_writelane_b32 v97, s10, 20
	v_writelane_b32 v97, s11, 21
	s_and_b64 s[10:11], s[38:39], s[10:11]
	s_mov_b64 exec, s[10:11]
	s_cbranch_execz .LBB76_120
; %bb.113:
	s_and_saveexec_b64 s[54:55], s[28:29]
	s_cbranch_execz .LBB76_119
; %bb.114:
	v_mul_lo_u32 v4, v78, s47
	v_ashrrev_i32_e32 v5, 31, v4
	v_lshlrev_b64 v[4:5], 2, v[4:5]
	v_mov_b32_e32 v7, s1
	v_add_co_u32_e64 v6, s[24:25], s0, v4
	v_mov_b32_e32 v4, 0x100
	v_addc_co_u32_e64 v7, s[24:25], v7, v5, s[24:25]
	v_lshl_add_u32 v8, v3, 2, v4
	v_mul_lo_u32 v4, v2, s46
	s_lshl_b32 s3, s46, 6
	s_mov_b64 s[56:57], 0
	v_mov_b32_e32 v9, v2
	s_branch .LBB76_116
.LBB76_115:                             ;   in Loop: Header=BB76_116 Depth=1
	s_or_b64 exec, exec, s[58:59]
	v_add_u32_e32 v9, 64, v9
	v_cmp_le_i32_e64 s[36:37], s42, v9
	s_xor_b64 s[10:11], s[24:25], -1
	s_or_b64 s[10:11], s[10:11], s[36:37]
	s_and_b64 s[10:11], exec, s[10:11]
	s_or_b64 s[56:57], s[10:11], s[56:57]
	v_add_u32_e32 v4, s3, v4
	s_andn2_b64 exec, exec, s[56:57]
	s_cbranch_execz .LBB76_118
.LBB76_116:                             ; =>This Inner Loop Header: Depth=1
	v_ashrrev_i32_e32 v5, 31, v4
	v_lshlrev_b64 v[10:11], 2, v[4:5]
	v_add_co_u32_e64 v10, s[24:25], v6, v10
	v_addc_co_u32_e64 v11, s[24:25], v7, v11, s[24:25]
	global_load_dword v5, v[10:11], off
	s_waitcnt vmcnt(0)
	v_cmp_ne_u32_e64 s[24:25], s7, v5
	v_cmp_eq_u32_e64 s[36:37], s7, v5
	s_and_saveexec_b64 s[58:59], s[36:37]
	s_cbranch_execz .LBB76_115
; %bb.117:                              ;   in Loop: Header=BB76_116 Depth=1
	v_mov_b32_e32 v1, 1
	ds_write_b32 v8, v9 offset:44
	s_branch .LBB76_115
.LBB76_118:
	s_or_b64 exec, exec, s[56:57]
.LBB76_119:
	s_or_b64 exec, exec, s[54:55]
.LBB76_120:
	s_or_b64 exec, exec, s[38:39]
	s_mul_hi_u32 s3, s8, s2
	s_and_saveexec_b64 s[24:25], vcc
	s_cbranch_execz .LBB76_122
; %bb.121:
	v_mov_b32_e32 v4, 0x100
	v_lshl_add_u32 v4, v3, 2, v4
	v_mov_b32_e32 v5, -1
	ds_write_b32 v4, v5 offset:48
.LBB76_122:
	s_or_b64 exec, exec, s[24:25]
	s_load_dwordx4 s[12:15], s[4:5], 0x54
	v_add_u32_e32 v79, 12, v3
	s_abs_i32 s2, s27
	s_add_i32 s8, s8, s3
	v_add_u32_e32 v4, s9, v79
	v_cmp_gt_i32_e64 s[10:11], s41, v4
	s_mov_b64 s[54:55], exec
	v_writelane_b32 v97, s10, 22
	v_writelane_b32 v97, s11, 23
	s_and_b64 s[10:11], s[54:55], s[10:11]
	s_mov_b64 exec, s[10:11]
	s_cbranch_execz .LBB76_130
; %bb.123:
	s_and_saveexec_b64 s[56:57], s[28:29]
	s_cbranch_execz .LBB76_129
; %bb.124:
	v_mul_lo_u32 v4, v79, s47
	v_ashrrev_i32_e32 v5, 31, v4
	v_lshlrev_b64 v[4:5], 2, v[4:5]
	v_mov_b32_e32 v7, s1
	v_add_co_u32_e32 v6, vcc, s0, v4
	v_mov_b32_e32 v4, 0x100
	v_addc_co_u32_e32 v7, vcc, v7, v5, vcc
	v_lshl_add_u32 v8, v3, 2, v4
	v_mul_lo_u32 v4, v2, s46
	s_lshl_b32 s0, s46, 6
	s_mov_b64 s[46:47], 0
	v_mov_b32_e32 v9, v2
	s_branch .LBB76_126
.LBB76_125:                             ;   in Loop: Header=BB76_126 Depth=1
	s_or_b64 exec, exec, s[58:59]
	v_add_u32_e32 v9, 64, v9
	v_cmp_le_i32_e64 s[28:29], s42, v9
	s_xor_b64 s[10:11], vcc, -1
	s_or_b64 s[10:11], s[10:11], s[28:29]
	s_and_b64 s[10:11], exec, s[10:11]
	s_or_b64 s[46:47], s[10:11], s[46:47]
	v_add_u32_e32 v4, s0, v4
	s_andn2_b64 exec, exec, s[46:47]
	s_cbranch_execz .LBB76_128
.LBB76_126:                             ; =>This Inner Loop Header: Depth=1
	v_ashrrev_i32_e32 v5, 31, v4
	v_lshlrev_b64 v[10:11], 2, v[4:5]
	v_add_co_u32_e32 v10, vcc, v6, v10
	v_addc_co_u32_e32 v11, vcc, v7, v11, vcc
	global_load_dword v5, v[10:11], off
	s_waitcnt vmcnt(0)
	v_cmp_ne_u32_e32 vcc, s7, v5
	v_cmp_eq_u32_e64 s[28:29], s7, v5
	s_and_saveexec_b64 s[58:59], s[28:29]
	s_cbranch_execz .LBB76_125
; %bb.127:                              ;   in Loop: Header=BB76_126 Depth=1
	v_mov_b32_e32 v1, 1
	ds_write_b32 v8, v9 offset:48
	s_branch .LBB76_125
.LBB76_128:
	s_or_b64 exec, exec, s[46:47]
.LBB76_129:
	s_or_b64 exec, exec, s[56:57]
.LBB76_130:
	s_or_b64 exec, exec, s[54:55]
	s_load_dwordx2 s[10:11], s[52:53], 0xc
	s_nop 0
	s_load_dwordx4 s[52:55], s[4:5], 0x0
	s_load_dwordx2 s[0:1], s[4:5], 0x18
	v_cmp_ne_u32_e32 vcc, 0, v1
	v_cndmask_b32_e64 v1, 0, 1, vcc
	s_waitcnt lgkmcnt(0)
	s_lshr_b32 s4, s10, 16
	s_and_b32 s3, s10, 0xffff
	v_or_b32_dpp v1, v1, v1 row_shl:1 row_mask:0xf bank_mask:0xf bound_ctrl:1
	v_writelane_b32 v97, s0, 24
	s_mul_i32 s5, s4, s3
	v_or_b32_dpp v1, v1, v1 row_shl:2 row_mask:0xf bank_mask:0xf bound_ctrl:1
	v_writelane_b32 v97, s1, 25
	s_and_b32 s1, s11, 0xffff
	v_or_b32_dpp v1, v1, v1 row_shl:4 row_mask:0xf bank_mask:0xf bound_ctrl:1
	s_bfe_i32 s5, s5, 0x180000
	s_mul_i32 s1, s5, s1
	v_or_b32_dpp v1, v1, v1 row_shl:8 row_mask:0xf bank_mask:0xf bound_ctrl:1
	s_add_i32 s5, s1, 63
	s_bitcmp1_b32 exec_hi, 0
	v_mov_b32_dpp v4, v1 wave_shl:1 row_mask:0xf bank_mask:0xf bound_ctrl:1
	s_mul_hi_u32 s0, s2, s8
	s_nop 0
	v_or_b32_dpp v1, v4, v1 row_mirror row_mask:0xf bank_mask:0xf bound_ctrl:1
	v_readlane_b32 s1, v1, 32
	s_cselect_b32 s1, s1, 0
	v_readlane_b32 s8, v1, 0
	s_or_b32 s1, s1, s8
	s_andn2_b32 s5, s5, 63
	s_cmp_lg_u32 s5, 64
	v_mov_b32_e32 v1, s1
	s_cbranch_scc0 .LBB76_137
; %bb.131:
	v_bfe_u32 v0, v0, 20, 10
	v_mbcnt_lo_u32_b32 v1, -1, 0
	v_mad_u32_u24 v0, v0, s4, v3
	v_mbcnt_hi_u32_b32 v4, -1, v1
	v_mad_u64_u32 v[0:1], s[4:5], v0, s3, v[2:3]
	v_lshrrev_b32_e32 v1, 6, v0
	v_or_b32_e32 v1, v4, v1
	v_cmp_eq_u32_e32 vcc, 0, v1
	s_and_saveexec_b64 s[4:5], vcc
	s_cbranch_execz .LBB76_133
; %bb.132:
	v_mov_b32_e32 v1, 0
	v_mov_b32_e32 v5, s1
	ds_write_b32 v1, v5
.LBB76_133:
	s_or_b64 exec, exec, s[4:5]
	v_cmp_eq_u32_e32 vcc, 0, v4
	v_cmp_lt_u32_e64 s[4:5], 63, v0
	s_and_b64 s[10:11], s[4:5], vcc
	s_waitcnt lgkmcnt(0)
	; wave barrier
	s_waitcnt lgkmcnt(0)
	s_and_saveexec_b64 s[4:5], s[10:11]
	s_cbranch_execz .LBB76_136
; %bb.134:
	v_mbcnt_lo_u32_b32 v0, exec_lo, 0
	v_mbcnt_hi_u32_b32 v0, exec_hi, v0
	v_cmp_eq_u32_e32 vcc, 0, v0
	s_and_b64 exec, exec, vcc
	s_cbranch_execz .LBB76_136
; %bb.135:
	v_mov_b32_e32 v0, 0
	v_mov_b32_e32 v1, s1
	ds_or_b32 v0, v1
.LBB76_136:
	s_or_b64 exec, exec, s[4:5]
	v_mov_b32_e32 v0, 0
	s_waitcnt lgkmcnt(0)
	; wave barrier
	s_waitcnt lgkmcnt(0)
	ds_read_b32 v1, v0
	s_waitcnt lgkmcnt(0)
	; wave barrier
	s_waitcnt lgkmcnt(0)
.LBB76_137:
	v_cmp_ne_u32_e32 vcc, 0, v1
	s_ashr_i32 s1, s27, 31
	s_ashr_i32 s3, s51, 31
	s_cbranch_vccz .LBB76_248
; %bb.138:
	v_lshlrev_b32_e32 v80, 6, v3
	v_add_u32_e32 v81, v80, v2
	v_cmp_le_i32_e32 vcc, s40, v81
	v_and_b32_e32 v0, 15, v2
                                        ; implicit-def: $sgpr8
                                        ; implicit-def: $vgpr82
	s_and_saveexec_b64 s[4:5], vcc
	s_xor_b64 s[4:5], exec, s[4:5]
; %bb.139:
	v_mul_u32_u24_e32 v82, 0x108, v0
	s_mov_b32 s8, 0
                                        ; implicit-def: $vgpr81
                                        ; implicit-def: $vgpr0
; %bb.140:
	s_or_saveexec_b64 s[4:5], s[4:5]
	s_lshl_b32 s6, s6, 6
	v_accvgpr_write_b32 a0, s8
	v_accvgpr_write_b32 a1, s8
	;; [unrolled: 1-line block ×16, first 2 shown]
	v_writelane_b32 v97, s4, 26
	v_writelane_b32 v97, s5, 27
	s_xor_b64 exec, exec, s[4:5]
	s_cbranch_execz .LBB76_196
; %bb.141:
	s_xor_b32 s1, s1, s3
	s_mul_i32 s3, s0, s26
	s_sub_i32 s2, s2, s3
	s_add_i32 s3, s0, 1
	s_sub_i32 s4, s2, s26
	s_cmp_ge_u32 s2, s26
	s_cselect_b32 s0, s3, s0
	s_cselect_b32 s2, s4, s2
	s_add_i32 s3, s0, 1
	s_cmp_ge_u32 s2, s26
	s_cselect_b32 s0, s3, s0
	s_xor_b32 s0, s0, s1
	s_sub_i32 s0, s0, s1
	s_mul_hi_i32 s1, s0, s12
	s_mul_i32 s0, s0, s12
	s_mul_i32 s2, s7, s48
	v_writelane_b32 v97, s30, 28
	s_ashr_i32 s3, s2, 31
	s_lshl_b64 s[0:1], s[0:1], 2
	v_writelane_b32 v97, s31, 29
	s_add_u32 s5, s52, s0
	v_writelane_b32 v97, s6, 30
	s_mul_i32 s4, s6, s43
	s_addc_u32 s6, s53, s1
	s_lshl_b64 s[2:3], s[2:3], 2
	s_add_u32 s7, s5, s2
	s_addc_u32 s6, s6, s3
	s_ashr_i32 s5, s4, 31
	s_lshl_b64 s[4:5], s[4:5], 2
	s_add_u32 s39, s7, s4
	v_writelane_b32 v97, s27, 31
	s_addc_u32 s8, s6, s5
	s_movk_i32 s6, 0x1080
	v_mov_b32_e32 v83, 0x100
	s_mul_hi_i32 s7, s13, s27
	v_writelane_b32 v97, s12, 32
	v_mad_u32_u24 v1, v3, s6, v83
	v_writelane_b32 v97, s13, 33
	s_mul_i32 s6, s13, s27
	v_writelane_b32 v97, s14, 34
	s_lshl_b64 s[6:7], s[6:7], 2
	v_writelane_b32 v97, s15, 35
	s_mul_hi_i32 s11, s9, s44
	s_mul_i32 s10, s9, s44
	s_add_u32 s12, s54, s6
	s_addc_u32 s13, s55, s7
	s_lshl_b64 s[6:7], s[10:11], 2
	s_add_u32 s48, s12, s6
	s_addc_u32 s51, s13, s7
	s_cmp_lt_i32 s9, s41
	s_cselect_b64 s[6:7], -1, 0
	s_add_i32 s10, s9, 1
	s_cmp_lt_i32 s10, s41
	s_cselect_b64 s[36:37], -1, 0
	s_add_i32 s10, s9, 2
	s_cmp_lt_i32 s10, s41
	s_cselect_b64 s[46:47], -1, 0
	s_lshl_b32 s10, s44, 1
	v_writelane_b32 v97, s10, 36
	s_add_i32 s10, s9, 3
	s_cmp_lt_i32 s10, s41
	s_cselect_b64 s[54:55], -1, 0
	s_add_i32 s10, s9, 4
	s_cmp_lt_i32 s10, s41
	s_cselect_b64 s[56:57], -1, 0
	s_lshl_b32 s10, s44, 2
	v_writelane_b32 v97, s10, 37
	s_add_i32 s10, s9, 5
	s_cmp_lt_i32 s10, s41
	s_cselect_b64 s[58:59], -1, 0
	s_add_i32 s10, s9, 6
	s_cmp_lt_i32 s10, s41
	s_cselect_b64 s[60:61], -1, 0
	;; [unrolled: 3-line block ×4, first 2 shown]
	s_lshl_b32 s10, s44, 3
	v_writelane_b32 v97, s10, 38
	s_add_i32 s10, s9, 9
	s_cmp_lt_i32 s10, s41
	s_cselect_b64 s[66:67], -1, 0
	s_add_i32 s10, s9, 10
	s_cmp_lt_i32 s10, s41
	s_cselect_b64 s[68:69], -1, 0
	;; [unrolled: 3-line block ×4, first 2 shown]
	s_ashr_i32 s11, s43, 31
	s_mov_b32 s10, s43
	s_lshl_b64 s[74:75], s[10:11], 2
	s_add_u32 s0, s0, s4
	s_addc_u32 s1, s1, s5
	v_mul_u32_u24_e32 v82, 0x108, v0
	v_lshrrev_b32_e32 v0, 1, v2
	s_add_u32 s0, s0, s2
	v_and_b32_e32 v0, 0x1f8, v0
	s_addc_u32 s1, s1, s3
	v_add3_u32 v85, v1, v82, v0
	v_lshlrev_b32_e32 v0, 2, v81
	s_add_u32 s0, s52, s0
	v_add_co_u32_e32 v0, vcc, s0, v0
	s_mul_i32 s0, s43, 3
	v_writelane_b32 v97, s0, 39
	s_mul_i32 s0, s43, 5
	v_writelane_b32 v97, s0, 40
	s_mul_i32 s0, s43, 6
	s_addc_u32 s1, s53, s1
	v_writelane_b32 v97, s0, 41
	s_mul_i32 s0, s43, 7
	v_lshl_add_u32 v84, v2, 2, v1
	v_mov_b32_e32 v1, s1
	v_writelane_b32 v97, s0, 42
	s_mul_i32 s0, s43, 9
	v_mov_b32_e32 v86, 0
	v_addc_co_u32_e32 v1, vcc, 0, v1, vcc
	s_lshl_b32 s52, s43, 1
	s_lshl_b32 s86, s43, 2
	;; [unrolled: 1-line block ×3, first 2 shown]
	v_writelane_b32 v97, s0, 43
	s_mul_i32 s92, s43, 10
	s_mul_i32 s93, s43, 11
	;; [unrolled: 1-line block ×6, first 2 shown]
	s_lshl_b32 s0, s43, 4
	s_mul_i32 s1, s43, 17
	v_mov_b32_e32 v87, s8
	s_mul_i32 s2, s43, 18
	v_accvgpr_write_b32 a15, 0
	v_accvgpr_write_b32 a14, 0
	;; [unrolled: 1-line block ×16, first 2 shown]
	v_mov_b32_e32 v88, s75
	s_mul_i32 s3, s43, 19
	s_mul_i32 s75, s43, 20
	;; [unrolled: 1-line block ×13, first 2 shown]
	s_lshl_b32 s13, s43, 5
	s_mul_i32 s14, s43, 33
	s_mul_i32 s15, s43, 34
	;; [unrolled: 1-line block ×31, first 2 shown]
	s_mov_b64 s[42:43], 0
	s_branch .LBB76_144
.LBB76_142:                             ;   in Loop: Header=BB76_144 Depth=1
	v_mul_lo_u32 v89, v89, s49
	s_mul_i32 vcc_lo, s44, 12
	v_add_u32_e32 v89, vcc_lo, v89
	v_add_u32_e32 v90, v89, v81
	v_ashrrev_i32_e32 v91, 31, v90
	v_lshlrev_b64 v[90:91], 2, v[90:91]
	v_mov_b32_e32 v89, s51
	v_add_co_u32_e32 v90, vcc, s48, v90
	v_addc_co_u32_e32 v91, vcc, v89, v91, vcc
	global_load_dword v89, v[90:91], off
.LBB76_143:                             ;   in Loop: Header=BB76_144 Depth=1
	v_add_u32_e32 v90, 0xc00, v84
	s_waitcnt vmcnt(0)
	ds_write2_b32 v90, v89, v86 offset0:40 offset1:106
	ds_write2_b32 v90, v86, v86 offset0:172 offset1:238
	ds_read2_b64 v[90:93], v85 offset0:8 offset1:12
	v_add_co_u32_e32 v0, vcc, 0x100, v0
	v_add_u32_e32 v81, 64, v81
	v_addc_co_u32_e32 v1, vcc, 0, v1, vcc
	s_waitcnt lgkmcnt(0)
	v_mfma_f32_16x16x4f32 a[12:15], v30, v90, a[12:15]
	v_cmp_le_i32_e32 vcc, s40, v81
	s_or_b64 s[42:43], vcc, s[42:43]
	v_mfma_f32_16x16x4f32 a[8:11], v46, v90, a[8:11]
	v_mfma_f32_16x16x4f32 a[4:7], v54, v90, a[4:7]
	v_mfma_f32_16x16x4f32 a[0:3], v66, v90, a[0:3]
	v_mfma_f32_16x16x4f32 a[12:15], v31, v91, a[12:15]
	v_mfma_f32_16x16x4f32 a[8:11], v47, v91, a[8:11]
	v_mfma_f32_16x16x4f32 a[4:7], v55, v91, a[4:7]
	v_mfma_f32_16x16x4f32 a[0:3], v67, v91, a[0:3]
	v_mfma_f32_16x16x4f32 a[12:15], v22, v92, a[12:15]
	v_mfma_f32_16x16x4f32 a[8:11], v40, v92, a[8:11]
	v_mfma_f32_16x16x4f32 a[4:7], v50, v92, a[4:7]
	v_mfma_f32_16x16x4f32 a[0:3], v64, v92, a[0:3]
	v_mfma_f32_16x16x4f32 a[12:15], v23, v93, a[12:15]
	v_mfma_f32_16x16x4f32 a[8:11], v41, v93, a[8:11]
	v_mfma_f32_16x16x4f32 a[4:7], v51, v93, a[4:7]
	v_mfma_f32_16x16x4f32 a[0:3], v65, v93, a[0:3]
	ds_read2_b64 v[64:67], v85 offset0:16 offset1:20
	s_waitcnt lgkmcnt(0)
	v_mfma_f32_16x16x4f32 a[12:15], v18, v64, a[12:15]
	v_mfma_f32_16x16x4f32 a[8:11], v36, v64, a[8:11]
	v_mfma_f32_16x16x4f32 a[4:7], v48, v64, a[4:7]
	v_mfma_f32_16x16x4f32 a[0:3], v62, v64, a[0:3]
	v_mfma_f32_16x16x4f32 a[12:15], v19, v65, a[12:15]
	v_mfma_f32_16x16x4f32 a[8:11], v37, v65, a[8:11]
	v_mfma_f32_16x16x4f32 a[4:7], v49, v65, a[4:7]
	v_mfma_f32_16x16x4f32 a[0:3], v63, v65, a[0:3]
	v_mfma_f32_16x16x4f32 a[12:15], v14, v66, a[12:15]
	v_mfma_f32_16x16x4f32 a[8:11], v32, v66, a[8:11]
	v_mfma_f32_16x16x4f32 a[4:7], v44, v66, a[4:7]
	v_mfma_f32_16x16x4f32 a[0:3], v60, v66, a[0:3]
	v_mfma_f32_16x16x4f32 a[12:15], v15, v67, a[12:15]
	v_mfma_f32_16x16x4f32 a[8:11], v33, v67, a[8:11]
	ds_read2_b64 v[30:33], v85 offset0:24 offset1:28
	v_mfma_f32_16x16x4f32 a[4:7], v45, v67, a[4:7]
	v_mfma_f32_16x16x4f32 a[0:3], v61, v67, a[0:3]
	s_waitcnt lgkmcnt(0)
	v_mfma_f32_16x16x4f32 a[12:15], v12, v30, a[12:15]
	v_mfma_f32_16x16x4f32 a[8:11], v26, v30, a[8:11]
	;; [unrolled: 1-line block ×5, first 2 shown]
	ds_read2_b64 v[12:15], v85 offset0:32 offset1:36
	v_mfma_f32_16x16x4f32 a[8:11], v27, v31, a[8:11]
	v_mfma_f32_16x16x4f32 a[4:7], v39, v31, a[4:7]
	;; [unrolled: 1-line block ×11, first 2 shown]
	s_waitcnt lgkmcnt(0)
	v_mfma_f32_16x16x4f32 a[12:15], v6, v12, a[12:15]
	v_mfma_f32_16x16x4f32 a[8:11], v16, v12, a[8:11]
	v_mfma_f32_16x16x4f32 a[4:7], v28, v12, a[4:7]
	v_mfma_f32_16x16x4f32 a[0:3], v52, v12, a[0:3]
	v_mfma_f32_16x16x4f32 a[12:15], v7, v13, a[12:15]
	v_mfma_f32_16x16x4f32 a[8:11], v17, v13, a[8:11]
	v_mfma_f32_16x16x4f32 a[4:7], v29, v13, a[4:7]
	v_mfma_f32_16x16x4f32 a[0:3], v53, v13, a[0:3]
	v_mfma_f32_16x16x4f32 a[12:15], v4, v14, a[12:15]
	v_mfma_f32_16x16x4f32 a[8:11], v10, v14, a[8:11]
	v_mfma_f32_16x16x4f32 a[4:7], v24, v14, a[4:7]
	v_mfma_f32_16x16x4f32 a[0:3], v42, v14, a[0:3]
	v_mfma_f32_16x16x4f32 a[12:15], v5, v15, a[12:15]
	v_mfma_f32_16x16x4f32 a[8:11], v11, v15, a[8:11]
	v_mfma_f32_16x16x4f32 a[4:7], v25, v15, a[4:7]
	v_mfma_f32_16x16x4f32 a[0:3], v43, v15, a[0:3]
	s_andn2_b64 exec, exec, s[42:43]
	s_cbranch_execz .LBB76_195
.LBB76_144:                             ; =>This Inner Loop Header: Depth=1
	v_add_co_u32_e32 v4, vcc, s74, v0
	v_addc_co_u32_e32 v5, vcc, v1, v88, vcc
	global_load_dword v20, v[0:1], off
	global_load_dword v21, v[4:5], off
	v_add_u32_e32 v4, s52, v81
	v_ashrrev_i32_e32 v5, 31, v4
	v_lshlrev_b64 v[4:5], 2, v[4:5]
	v_add_co_u32_e32 v4, vcc, s39, v4
	v_addc_co_u32_e32 v5, vcc, v87, v5, vcc
	v_readlane_b32 vcc_lo, v97, 39
	v_add_u32_e32 v6, vcc_lo, v81
	v_ashrrev_i32_e32 v7, 31, v6
	v_lshlrev_b64 v[6:7], 2, v[6:7]
	v_add_u32_e32 v8, s86, v81
	v_add_co_u32_e32 v6, vcc, s39, v6
	v_ashrrev_i32_e32 v9, 31, v8
	v_addc_co_u32_e32 v7, vcc, v87, v7, vcc
	v_lshlrev_b64 v[8:9], 2, v[8:9]
	v_add_co_u32_e32 v8, vcc, s39, v8
	v_addc_co_u32_e32 v9, vcc, v87, v9, vcc
	v_readlane_b32 vcc_lo, v97, 40
	v_add_u32_e32 v10, vcc_lo, v81
	v_ashrrev_i32_e32 v11, 31, v10
	v_lshlrev_b64 v[10:11], 2, v[10:11]
	v_add_co_u32_e32 v10, vcc, s39, v10
	v_addc_co_u32_e32 v11, vcc, v87, v11, vcc
	v_readlane_b32 vcc_lo, v97, 41
	v_add_u32_e32 v12, vcc_lo, v81
	v_ashrrev_i32_e32 v13, 31, v12
	;; [unrolled: 6-line block ×3, first 2 shown]
	v_lshlrev_b64 v[14:15], 2, v[14:15]
	v_add_u32_e32 v16, s90, v81
	v_add_co_u32_e32 v14, vcc, s39, v14
	v_ashrrev_i32_e32 v17, 31, v16
	v_addc_co_u32_e32 v15, vcc, v87, v15, vcc
	v_lshlrev_b64 v[16:17], 2, v[16:17]
	v_add_co_u32_e32 v16, vcc, s39, v16
	v_addc_co_u32_e32 v17, vcc, v87, v17, vcc
	v_readlane_b32 vcc_lo, v97, 43
	v_add_u32_e32 v18, vcc_lo, v81
	v_ashrrev_i32_e32 v19, 31, v18
	v_lshlrev_b64 v[18:19], 2, v[18:19]
	v_add_co_u32_e32 v18, vcc, s39, v18
	v_addc_co_u32_e32 v19, vcc, v87, v19, vcc
	global_load_dword v22, v[4:5], off
	global_load_dword v23, v[6:7], off
	;; [unrolled: 1-line block ×6, first 2 shown]
	s_nop 0
	global_load_dword v16, v[16:17], off
	s_nop 0
	global_load_dword v17, v[18:19], off
	v_add_u32_e32 v4, s92, v81
	v_ashrrev_i32_e32 v5, 31, v4
	v_lshlrev_b64 v[4:5], 2, v[4:5]
	v_add_u32_e32 v6, s93, v81
	v_add_co_u32_e32 v4, vcc, s39, v4
	v_ashrrev_i32_e32 v7, 31, v6
	v_addc_co_u32_e32 v5, vcc, v87, v5, vcc
	v_lshlrev_b64 v[6:7], 2, v[6:7]
	v_add_u32_e32 v8, s94, v81
	v_add_co_u32_e32 v6, vcc, s39, v6
	v_ashrrev_i32_e32 v9, 31, v8
	v_addc_co_u32_e32 v7, vcc, v87, v7, vcc
	;; [unrolled: 5-line block ×5, first 2 shown]
	v_lshlrev_b64 v[14:15], 2, v[14:15]
	v_add_co_u32_e32 v14, vcc, s39, v14
	v_addc_co_u32_e32 v15, vcc, v87, v15, vcc
	global_load_dword v18, v[4:5], off
	global_load_dword v19, v[6:7], off
	s_nop 0
	global_load_dword v8, v[8:9], off
	s_nop 0
	;; [unrolled: 2-line block ×4, first 2 shown]
	global_load_dword v13, v[14:15], off
	v_add_u32_e32 v4, s0, v81
	v_ashrrev_i32_e32 v5, 31, v4
	v_lshlrev_b64 v[4:5], 2, v[4:5]
	v_add_u32_e32 v6, s1, v81
	v_add_co_u32_e32 v4, vcc, s39, v4
	v_ashrrev_i32_e32 v7, 31, v6
	v_addc_co_u32_e32 v5, vcc, v87, v5, vcc
	v_lshlrev_b64 v[6:7], 2, v[6:7]
	s_waitcnt vmcnt(15)
	ds_write_b32 v84, v20 offset:64
	s_waitcnt vmcnt(14)
	ds_write_b32 v84, v21 offset:328
	;; [unrolled: 2-line block ×10, first 2 shown]
	v_add_co_u32_e32 v6, vcc, s39, v6
	v_addc_co_u32_e32 v7, vcc, v87, v7, vcc
	global_load_dword v10, v[4:5], off
	global_load_dword v11, v[6:7], off
	v_add_u32_e32 v4, s2, v81
	v_ashrrev_i32_e32 v5, 31, v4
	v_lshlrev_b64 v[4:5], 2, v[4:5]
	v_add_u32_e32 v6, s3, v81
	v_add_co_u32_e32 v4, vcc, s39, v4
	v_ashrrev_i32_e32 v7, 31, v6
	s_waitcnt vmcnt(7)
	ds_write_b32 v84, v18 offset:2704
	s_waitcnt vmcnt(6)
	ds_write_b32 v84, v19 offset:2968
	;; [unrolled: 2-line block ×6, first 2 shown]
	v_addc_co_u32_e32 v5, vcc, v87, v5, vcc
	v_lshlrev_b64 v[6:7], 2, v[6:7]
	v_add_u32_e32 v8, s75, v81
	v_add_co_u32_e32 v6, vcc, s39, v6
	v_ashrrev_i32_e32 v9, 31, v8
	v_addc_co_u32_e32 v7, vcc, v87, v7, vcc
	v_lshlrev_b64 v[8:9], 2, v[8:9]
	v_add_u32_e32 v12, s26, v81
	v_add_co_u32_e32 v8, vcc, s39, v8
	v_ashrrev_i32_e32 v13, 31, v12
	v_addc_co_u32_e32 v9, vcc, v87, v9, vcc
	v_lshlrev_b64 v[12:13], 2, v[12:13]
	v_add_u32_e32 v14, s27, v81
	v_add_co_u32_e32 v12, vcc, s39, v12
	v_ashrrev_i32_e32 v15, 31, v14
	v_addc_co_u32_e32 v13, vcc, v87, v13, vcc
	v_lshlrev_b64 v[14:15], 2, v[14:15]
	v_add_u32_e32 v16, s33, v81
	v_add_co_u32_e32 v14, vcc, s39, v14
	v_ashrrev_i32_e32 v17, 31, v16
	v_addc_co_u32_e32 v15, vcc, v87, v15, vcc
	v_lshlrev_b64 v[16:17], 2, v[16:17]
	v_add_u32_e32 v18, s38, v81
	v_add_co_u32_e32 v16, vcc, s39, v16
	v_ashrrev_i32_e32 v19, 31, v18
	v_addc_co_u32_e32 v17, vcc, v87, v17, vcc
	v_lshlrev_b64 v[18:19], 2, v[18:19]
	v_add_u32_e32 v20, s34, v81
	v_add_co_u32_e32 v18, vcc, s39, v18
	v_ashrrev_i32_e32 v21, 31, v20
	v_addc_co_u32_e32 v19, vcc, v87, v19, vcc
	v_lshlrev_b64 v[20:21], 2, v[20:21]
	v_add_co_u32_e32 v20, vcc, s39, v20
	v_addc_co_u32_e32 v21, vcc, v87, v21, vcc
	global_load_dword v24, v[4:5], off
	global_load_dword v25, v[6:7], off
	global_load_dword v26, v[8:9], off
	global_load_dword v27, v[12:13], off
	global_load_dword v28, v[14:15], off
	global_load_dword v29, v[16:17], off
	global_load_dword v32, v[18:19], off
	global_load_dword v33, v[20:21], off
	v_add_u32_e32 v4, s35, v81
	v_ashrrev_i32_e32 v5, 31, v4
	v_lshlrev_b64 v[4:5], 2, v[4:5]
	v_add_u32_e32 v6, s30, v81
	v_add_co_u32_e32 v4, vcc, s39, v4
	v_ashrrev_i32_e32 v7, 31, v6
	v_addc_co_u32_e32 v5, vcc, v87, v5, vcc
	v_lshlrev_b64 v[6:7], 2, v[6:7]
	v_add_u32_e32 v8, s31, v81
	v_add_co_u32_e32 v6, vcc, s39, v6
	v_ashrrev_i32_e32 v9, 31, v8
	v_addc_co_u32_e32 v7, vcc, v87, v7, vcc
	v_lshlrev_b64 v[8:9], 2, v[8:9]
	v_add_u32_e32 v12, s10, v81
	v_add_co_u32_e32 v8, vcc, s39, v8
	v_ashrrev_i32_e32 v13, 31, v12
	v_addc_co_u32_e32 v9, vcc, v87, v9, vcc
	v_lshlrev_b64 v[12:13], 2, v[12:13]
	v_add_u32_e32 v14, s11, v81
	v_add_co_u32_e32 v12, vcc, s39, v12
	v_ashrrev_i32_e32 v15, 31, v14
	v_addc_co_u32_e32 v13, vcc, v87, v13, vcc
	v_lshlrev_b64 v[14:15], 2, v[14:15]
	v_add_u32_e32 v16, s12, v81
	v_add_co_u32_e32 v14, vcc, s39, v14
	v_ashrrev_i32_e32 v17, 31, v16
	v_addc_co_u32_e32 v15, vcc, v87, v15, vcc
	v_lshlrev_b64 v[16:17], 2, v[16:17]
	v_add_u32_e32 v18, s13, v81
	v_add_co_u32_e32 v16, vcc, s39, v16
	v_ashrrev_i32_e32 v19, 31, v18
	v_addc_co_u32_e32 v17, vcc, v87, v17, vcc
	v_lshlrev_b64 v[18:19], 2, v[18:19]
	v_add_u32_e32 v20, s14, v81
	v_add_co_u32_e32 v18, vcc, s39, v18
	v_ashrrev_i32_e32 v21, 31, v20
	v_addc_co_u32_e32 v19, vcc, v87, v19, vcc
	v_lshlrev_b64 v[20:21], 2, v[20:21]
	v_add_co_u32_e32 v20, vcc, s39, v20
	v_addc_co_u32_e32 v21, vcc, v87, v21, vcc
	global_load_dword v34, v[4:5], off
	global_load_dword v35, v[6:7], off
	global_load_dword v36, v[8:9], off
	global_load_dword v37, v[12:13], off
	global_load_dword v38, v[14:15], off
	global_load_dword v39, v[16:17], off
	global_load_dword v42, v[18:19], off
	global_load_dword v43, v[20:21], off
	v_add_u32_e32 v4, s15, v81
	v_ashrrev_i32_e32 v5, 31, v4
	v_lshlrev_b64 v[4:5], 2, v[4:5]
	v_add_u32_e32 v6, s16, v81
	v_add_co_u32_e32 v4, vcc, s39, v4
	v_ashrrev_i32_e32 v7, 31, v6
	;; [unrolled: 48-line block ×5, first 2 shown]
	v_addc_co_u32_e32 v5, vcc, v87, v5, vcc
	v_lshlrev_b64 v[6:7], 2, v[6:7]
	v_add_u32_e32 v8, s87, v81
	v_add_co_u32_e32 v6, vcc, s39, v6
	v_ashrrev_i32_e32 v9, 31, v8
	v_addc_co_u32_e32 v7, vcc, v87, v7, vcc
	v_lshlrev_b64 v[8:9], 2, v[8:9]
	v_add_u32_e32 v12, s88, v81
	v_add_co_u32_e32 v8, vcc, s39, v8
	v_ashrrev_i32_e32 v13, 31, v12
	v_addc_co_u32_e32 v9, vcc, v87, v9, vcc
	v_lshlrev_b64 v[12:13], 2, v[12:13]
	v_add_u32_e32 v14, s89, v81
	v_add_co_u32_e32 v12, vcc, s39, v12
	v_ashrrev_i32_e32 v15, 31, v14
	v_addc_co_u32_e32 v13, vcc, v87, v13, vcc
	v_lshlrev_b64 v[14:15], 2, v[14:15]
	v_add_co_u32_e32 v16, vcc, s39, v14
	v_add_u32_e32 v14, s91, v81
	v_addc_co_u32_e32 v17, vcc, v87, v15, vcc
	v_ashrrev_i32_e32 v15, 31, v14
	v_lshlrev_b64 v[14:15], 2, v[14:15]
	v_add_co_u32_e32 v20, vcc, s39, v14
	v_addc_co_u32_e32 v21, vcc, v87, v15, vcc
	ds_read_b64 v[30:31], v85 offset:64
	ds_read_b64 v[22:23], v85 offset:96
	;; [unrolled: 1-line block ×4, first 2 shown]
	global_load_dword v91, v[4:5], off
	global_load_dword v92, v[6:7], off
	;; [unrolled: 1-line block ×6, first 2 shown]
	ds_read_b64 v[12:13], v85 offset:192
	ds_read_b64 v[8:9], v85 offset:224
	ds_read_b64 v[6:7], v85 offset:256
	ds_read_b64 v[4:5], v85 offset:288
	s_waitcnt vmcnt(47)
	ds_write_b32 v84, v10 offset:64
	s_waitcnt vmcnt(46)
	ds_write_b32 v84, v11 offset:328
	s_waitcnt vmcnt(45)
	ds_write_b32 v84, v24 offset:592
	s_waitcnt vmcnt(44)
	ds_write_b32 v84, v25 offset:856
	s_waitcnt vmcnt(43)
	ds_write_b32 v84, v26 offset:1120
	s_waitcnt vmcnt(42)
	ds_write_b32 v84, v27 offset:1384
	s_waitcnt vmcnt(41)
	ds_write_b32 v84, v28 offset:1648
	s_waitcnt vmcnt(40)
	ds_write_b32 v84, v29 offset:1912
	s_waitcnt vmcnt(39)
	ds_write_b32 v84, v32 offset:2176
	s_waitcnt vmcnt(38)
	ds_write_b32 v84, v33 offset:2440
	s_waitcnt vmcnt(37)
	ds_write_b32 v84, v34 offset:2704
	s_waitcnt vmcnt(36)
	ds_write_b32 v84, v35 offset:2968
	s_waitcnt vmcnt(35)
	ds_write_b32 v84, v36 offset:3232
	s_waitcnt vmcnt(34)
	ds_write_b32 v84, v37 offset:3496
	s_waitcnt vmcnt(33)
	ds_write_b32 v84, v38 offset:3760
	s_waitcnt vmcnt(32)
	ds_write_b32 v84, v39 offset:4024
	ds_read_b64 v[46:47], v85 offset:64
	ds_read_b64 v[40:41], v85 offset:96
	ds_read_b64 v[36:37], v85 offset:128
	ds_read_b64 v[32:33], v85 offset:160
	ds_read_b64 v[26:27], v85 offset:192
	ds_read_b64 v[20:21], v85 offset:224
	ds_read_b64 v[16:17], v85 offset:256
	ds_read_b64 v[10:11], v85 offset:288
	s_waitcnt vmcnt(31)
	ds_write_b32 v84, v42 offset:64
	s_waitcnt vmcnt(30)
	ds_write_b32 v84, v43 offset:328
	s_waitcnt vmcnt(29)
	ds_write_b32 v84, v44 offset:592
	s_waitcnt vmcnt(28)
	ds_write_b32 v84, v45 offset:856
	s_waitcnt vmcnt(27)
	ds_write_b32 v84, v48 offset:1120
	s_waitcnt vmcnt(26)
	ds_write_b32 v84, v49 offset:1384
	s_waitcnt vmcnt(25)
	ds_write_b32 v84, v50 offset:1648
	s_waitcnt vmcnt(24)
	ds_write_b32 v84, v51 offset:1912
	s_waitcnt vmcnt(23)
	ds_write_b32 v84, v52 offset:2176
	s_waitcnt vmcnt(22)
	ds_write_b32 v84, v53 offset:2440
	s_waitcnt vmcnt(21)
	ds_write_b32 v84, v54 offset:2704
	s_waitcnt vmcnt(20)
	ds_write_b32 v84, v55 offset:2968
	s_waitcnt vmcnt(19)
	ds_write_b32 v84, v56 offset:3232
	s_waitcnt vmcnt(18)
	ds_write_b32 v84, v57 offset:3496
	s_waitcnt vmcnt(17)
	ds_write_b32 v84, v58 offset:3760
	s_waitcnt vmcnt(16)
	ds_write_b32 v84, v59 offset:4024
	ds_read_b64 v[54:55], v85 offset:64
	ds_read_b64 v[50:51], v85 offset:96
	ds_read_b64 v[48:49], v85 offset:128
	ds_read_b64 v[44:45], v85 offset:160
	;; [unrolled: 40-line block ×3, first 2 shown]
	ds_read_b64 v[58:59], v85 offset:192
	ds_read_b64 v[56:57], v85 offset:224
	ds_read_b64 v[52:53], v85 offset:256
	ds_read_b64 v[42:43], v85 offset:288
	s_andn2_b64 vcc, exec, s[6:7]
	v_mov_b32_e32 v89, 0
	s_cbranch_vccnz .LBB76_148
; %bb.145:                              ;   in Loop: Header=BB76_144 Depth=1
	ds_read_b32 v89, v83
	s_waitcnt lgkmcnt(0)
	v_cmp_gt_i32_e32 vcc, 0, v89
	s_cbranch_vccnz .LBB76_147
; %bb.146:                              ;   in Loop: Header=BB76_144 Depth=1
	v_mul_lo_u32 v89, v89, s49
	v_add_u32_e32 v90, v81, v89
	v_ashrrev_i32_e32 v91, 31, v90
	v_lshlrev_b64 v[90:91], 2, v[90:91]
	v_mov_b32_e32 v89, s51
	v_add_co_u32_e32 v90, vcc, s48, v90
	v_addc_co_u32_e32 v91, vcc, v89, v91, vcc
	global_load_dword v89, v[90:91], off
	s_branch .LBB76_148
.LBB76_147:                             ;   in Loop: Header=BB76_144 Depth=1
	v_mov_b32_e32 v89, 0
.LBB76_148:                             ;   in Loop: Header=BB76_144 Depth=1
	s_waitcnt vmcnt(0)
	ds_write_b32 v84, v89 offset:64
	s_andn2_b64 vcc, exec, s[36:37]
	v_mov_b32_e32 v89, 0
	v_mov_b32_e32 v90, 0
	s_cbranch_vccnz .LBB76_151
; %bb.149:                              ;   in Loop: Header=BB76_144 Depth=1
	ds_read_b32 v90, v83 offset:4
	s_waitcnt lgkmcnt(0)
	v_cmp_gt_i32_e32 vcc, 0, v90
	s_cbranch_vccnz .LBB76_154
; %bb.150:                              ;   in Loop: Header=BB76_144 Depth=1
	v_mul_lo_u32 v90, v90, s49
	v_add_u32_e32 v90, s44, v90
	v_add_u32_e32 v90, v90, v81
	v_ashrrev_i32_e32 v91, 31, v90
	v_lshlrev_b64 v[90:91], 2, v[90:91]
	v_mov_b32_e32 v92, s51
	v_add_co_u32_e32 v90, vcc, s48, v90
	v_addc_co_u32_e32 v91, vcc, v92, v91, vcc
	global_load_dword v90, v[90:91], off
.LBB76_151:                             ;   in Loop: Header=BB76_144 Depth=1
	s_andn2_b64 vcc, exec, s[46:47]
	s_waitcnt vmcnt(0)
	ds_write_b32 v84, v90 offset:328
	s_cbranch_vccnz .LBB76_156
.LBB76_152:                             ;   in Loop: Header=BB76_144 Depth=1
	ds_read_b32 v89, v83 offset:8
	s_waitcnt lgkmcnt(0)
	v_cmp_gt_i32_e32 vcc, 0, v89
	s_cbranch_vccnz .LBB76_155
; %bb.153:                              ;   in Loop: Header=BB76_144 Depth=1
	v_mul_lo_u32 v89, v89, s49
	v_readlane_b32 vcc_lo, v97, 36
	v_add_u32_e32 v89, vcc_lo, v89
	v_add_u32_e32 v90, v89, v81
	v_ashrrev_i32_e32 v91, 31, v90
	v_lshlrev_b64 v[90:91], 2, v[90:91]
	v_mov_b32_e32 v89, s51
	v_add_co_u32_e32 v90, vcc, s48, v90
	v_addc_co_u32_e32 v91, vcc, v89, v91, vcc
	global_load_dword v89, v[90:91], off
	s_branch .LBB76_156
.LBB76_154:                             ;   in Loop: Header=BB76_144 Depth=1
	v_mov_b32_e32 v90, 0
	s_andn2_b64 vcc, exec, s[46:47]
	ds_write_b32 v84, v90 offset:328
	s_cbranch_vccz .LBB76_152
	s_branch .LBB76_156
.LBB76_155:                             ;   in Loop: Header=BB76_144 Depth=1
	v_mov_b32_e32 v89, 0
.LBB76_156:                             ;   in Loop: Header=BB76_144 Depth=1
	s_waitcnt vmcnt(0)
	ds_write_b32 v84, v89 offset:592
	s_andn2_b64 vcc, exec, s[54:55]
	v_mov_b32_e32 v89, 0
	v_mov_b32_e32 v90, 0
	s_cbranch_vccnz .LBB76_159
; %bb.157:                              ;   in Loop: Header=BB76_144 Depth=1
	ds_read_b32 v90, v83 offset:12
	s_waitcnt lgkmcnt(0)
	v_cmp_gt_i32_e32 vcc, 0, v90
	s_cbranch_vccnz .LBB76_162
; %bb.158:                              ;   in Loop: Header=BB76_144 Depth=1
	v_mul_lo_u32 v90, v90, s49
	s_mul_i32 vcc_lo, s44, 3
	v_add_u32_e32 v90, vcc_lo, v90
	v_add_u32_e32 v90, v90, v81
	v_ashrrev_i32_e32 v91, 31, v90
	v_lshlrev_b64 v[90:91], 2, v[90:91]
	v_mov_b32_e32 v92, s51
	v_add_co_u32_e32 v90, vcc, s48, v90
	v_addc_co_u32_e32 v91, vcc, v92, v91, vcc
	global_load_dword v90, v[90:91], off
.LBB76_159:                             ;   in Loop: Header=BB76_144 Depth=1
	s_andn2_b64 vcc, exec, s[56:57]
	s_waitcnt vmcnt(0)
	ds_write_b32 v84, v90 offset:856
	s_cbranch_vccnz .LBB76_164
.LBB76_160:                             ;   in Loop: Header=BB76_144 Depth=1
	ds_read_b32 v89, v83 offset:16
	s_waitcnt lgkmcnt(0)
	v_cmp_gt_i32_e32 vcc, 0, v89
	s_cbranch_vccnz .LBB76_163
; %bb.161:                              ;   in Loop: Header=BB76_144 Depth=1
	v_mul_lo_u32 v89, v89, s49
	v_readlane_b32 vcc_lo, v97, 37
	v_add_u32_e32 v89, vcc_lo, v89
	v_add_u32_e32 v90, v89, v81
	v_ashrrev_i32_e32 v91, 31, v90
	v_lshlrev_b64 v[90:91], 2, v[90:91]
	v_mov_b32_e32 v89, s51
	v_add_co_u32_e32 v90, vcc, s48, v90
	v_addc_co_u32_e32 v91, vcc, v89, v91, vcc
	global_load_dword v89, v[90:91], off
	s_branch .LBB76_164
.LBB76_162:                             ;   in Loop: Header=BB76_144 Depth=1
	v_mov_b32_e32 v90, 0
	s_andn2_b64 vcc, exec, s[56:57]
	ds_write_b32 v84, v90 offset:856
	s_cbranch_vccz .LBB76_160
	s_branch .LBB76_164
.LBB76_163:                             ;   in Loop: Header=BB76_144 Depth=1
	v_mov_b32_e32 v89, 0
.LBB76_164:                             ;   in Loop: Header=BB76_144 Depth=1
	s_waitcnt vmcnt(0)
	ds_write_b32 v84, v89 offset:1120
	s_andn2_b64 vcc, exec, s[58:59]
	v_mov_b32_e32 v89, 0
	v_mov_b32_e32 v90, 0
	s_cbranch_vccnz .LBB76_167
; %bb.165:                              ;   in Loop: Header=BB76_144 Depth=1
	ds_read_b32 v90, v83 offset:20
	s_waitcnt lgkmcnt(0)
	v_cmp_gt_i32_e32 vcc, 0, v90
	s_cbranch_vccnz .LBB76_170
; %bb.166:                              ;   in Loop: Header=BB76_144 Depth=1
	v_mul_lo_u32 v90, v90, s49
	s_mul_i32 vcc_lo, s44, 5
	v_add_u32_e32 v90, vcc_lo, v90
	v_add_u32_e32 v90, v90, v81
	v_ashrrev_i32_e32 v91, 31, v90
	v_lshlrev_b64 v[90:91], 2, v[90:91]
	v_mov_b32_e32 v92, s51
	v_add_co_u32_e32 v90, vcc, s48, v90
	v_addc_co_u32_e32 v91, vcc, v92, v91, vcc
	global_load_dword v90, v[90:91], off
.LBB76_167:                             ;   in Loop: Header=BB76_144 Depth=1
	s_andn2_b64 vcc, exec, s[60:61]
	s_waitcnt vmcnt(0)
	ds_write_b32 v84, v90 offset:1384
	s_cbranch_vccnz .LBB76_172
.LBB76_168:                             ;   in Loop: Header=BB76_144 Depth=1
	ds_read_b32 v89, v83 offset:24
	s_waitcnt lgkmcnt(0)
	v_cmp_gt_i32_e32 vcc, 0, v89
	s_cbranch_vccnz .LBB76_171
; %bb.169:                              ;   in Loop: Header=BB76_144 Depth=1
	v_mul_lo_u32 v89, v89, s49
	s_mul_i32 vcc_lo, s44, 6
	v_add_u32_e32 v89, vcc_lo, v89
	v_add_u32_e32 v90, v89, v81
	v_ashrrev_i32_e32 v91, 31, v90
	v_lshlrev_b64 v[90:91], 2, v[90:91]
	v_mov_b32_e32 v89, s51
	v_add_co_u32_e32 v90, vcc, s48, v90
	v_addc_co_u32_e32 v91, vcc, v89, v91, vcc
	global_load_dword v89, v[90:91], off
	s_branch .LBB76_172
.LBB76_170:                             ;   in Loop: Header=BB76_144 Depth=1
	v_mov_b32_e32 v90, 0
	s_andn2_b64 vcc, exec, s[60:61]
	ds_write_b32 v84, v90 offset:1384
	s_cbranch_vccz .LBB76_168
	s_branch .LBB76_172
.LBB76_171:                             ;   in Loop: Header=BB76_144 Depth=1
	v_mov_b32_e32 v89, 0
.LBB76_172:                             ;   in Loop: Header=BB76_144 Depth=1
	s_waitcnt vmcnt(0)
	ds_write_b32 v84, v89 offset:1648
	s_andn2_b64 vcc, exec, s[62:63]
	v_mov_b32_e32 v89, 0
	v_mov_b32_e32 v90, 0
	s_cbranch_vccnz .LBB76_175
; %bb.173:                              ;   in Loop: Header=BB76_144 Depth=1
	ds_read_b32 v90, v83 offset:28
	s_waitcnt lgkmcnt(0)
	v_cmp_gt_i32_e32 vcc, 0, v90
	s_cbranch_vccnz .LBB76_178
; %bb.174:                              ;   in Loop: Header=BB76_144 Depth=1
	v_mul_lo_u32 v90, v90, s49
	s_mul_i32 vcc_lo, s44, 7
	v_add_u32_e32 v90, vcc_lo, v90
	v_add_u32_e32 v90, v90, v81
	v_ashrrev_i32_e32 v91, 31, v90
	v_lshlrev_b64 v[90:91], 2, v[90:91]
	v_mov_b32_e32 v92, s51
	v_add_co_u32_e32 v90, vcc, s48, v90
	v_addc_co_u32_e32 v91, vcc, v92, v91, vcc
	global_load_dword v90, v[90:91], off
.LBB76_175:                             ;   in Loop: Header=BB76_144 Depth=1
	s_andn2_b64 vcc, exec, s[64:65]
	s_waitcnt vmcnt(0)
	ds_write_b32 v84, v90 offset:1912
	s_cbranch_vccnz .LBB76_180
.LBB76_176:                             ;   in Loop: Header=BB76_144 Depth=1
	ds_read_b32 v89, v83 offset:32
	s_waitcnt lgkmcnt(0)
	v_cmp_gt_i32_e32 vcc, 0, v89
	s_cbranch_vccnz .LBB76_179
; %bb.177:                              ;   in Loop: Header=BB76_144 Depth=1
	v_mul_lo_u32 v89, v89, s49
	v_readlane_b32 vcc_lo, v97, 38
	v_add_u32_e32 v89, vcc_lo, v89
	v_add_u32_e32 v90, v89, v81
	v_ashrrev_i32_e32 v91, 31, v90
	v_lshlrev_b64 v[90:91], 2, v[90:91]
	v_mov_b32_e32 v89, s51
	v_add_co_u32_e32 v90, vcc, s48, v90
	v_addc_co_u32_e32 v91, vcc, v89, v91, vcc
	global_load_dword v89, v[90:91], off
	s_branch .LBB76_180
.LBB76_178:                             ;   in Loop: Header=BB76_144 Depth=1
	v_mov_b32_e32 v90, 0
	s_andn2_b64 vcc, exec, s[64:65]
	ds_write_b32 v84, v90 offset:1912
	s_cbranch_vccz .LBB76_176
	s_branch .LBB76_180
.LBB76_179:                             ;   in Loop: Header=BB76_144 Depth=1
	v_mov_b32_e32 v89, 0
.LBB76_180:                             ;   in Loop: Header=BB76_144 Depth=1
	s_waitcnt vmcnt(0)
	ds_write_b32 v84, v89 offset:2176
	s_andn2_b64 vcc, exec, s[66:67]
	v_mov_b32_e32 v89, 0
	v_mov_b32_e32 v90, 0
	s_cbranch_vccnz .LBB76_183
; %bb.181:                              ;   in Loop: Header=BB76_144 Depth=1
	ds_read_b32 v90, v83 offset:36
	s_waitcnt lgkmcnt(0)
	v_cmp_gt_i32_e32 vcc, 0, v90
	s_cbranch_vccnz .LBB76_186
; %bb.182:                              ;   in Loop: Header=BB76_144 Depth=1
	v_mul_lo_u32 v90, v90, s49
	s_mul_i32 vcc_lo, s44, 9
	v_add_u32_e32 v90, vcc_lo, v90
	v_add_u32_e32 v90, v90, v81
	v_ashrrev_i32_e32 v91, 31, v90
	v_lshlrev_b64 v[90:91], 2, v[90:91]
	v_mov_b32_e32 v92, s51
	v_add_co_u32_e32 v90, vcc, s48, v90
	v_addc_co_u32_e32 v91, vcc, v92, v91, vcc
	global_load_dword v90, v[90:91], off
.LBB76_183:                             ;   in Loop: Header=BB76_144 Depth=1
	s_andn2_b64 vcc, exec, s[68:69]
	s_waitcnt vmcnt(0)
	ds_write_b32 v84, v90 offset:2440
	s_cbranch_vccnz .LBB76_188
.LBB76_184:                             ;   in Loop: Header=BB76_144 Depth=1
	ds_read_b32 v89, v83 offset:40
	s_waitcnt lgkmcnt(0)
	v_cmp_gt_i32_e32 vcc, 0, v89
	s_cbranch_vccnz .LBB76_187
; %bb.185:                              ;   in Loop: Header=BB76_144 Depth=1
	v_mul_lo_u32 v89, v89, s49
	s_mul_i32 vcc_lo, s44, 10
	v_add_u32_e32 v89, vcc_lo, v89
	v_add_u32_e32 v90, v89, v81
	v_ashrrev_i32_e32 v91, 31, v90
	v_lshlrev_b64 v[90:91], 2, v[90:91]
	v_mov_b32_e32 v89, s51
	v_add_co_u32_e32 v90, vcc, s48, v90
	v_addc_co_u32_e32 v91, vcc, v89, v91, vcc
	global_load_dword v89, v[90:91], off
	s_branch .LBB76_188
.LBB76_186:                             ;   in Loop: Header=BB76_144 Depth=1
	v_mov_b32_e32 v90, 0
	s_andn2_b64 vcc, exec, s[68:69]
	ds_write_b32 v84, v90 offset:2440
	s_cbranch_vccz .LBB76_184
	s_branch .LBB76_188
.LBB76_187:                             ;   in Loop: Header=BB76_144 Depth=1
	v_mov_b32_e32 v89, 0
.LBB76_188:                             ;   in Loop: Header=BB76_144 Depth=1
	s_waitcnt vmcnt(0)
	ds_write_b32 v84, v89 offset:2704
	s_andn2_b64 vcc, exec, s[70:71]
	v_mov_b32_e32 v89, 0
	v_mov_b32_e32 v90, 0
	s_cbranch_vccnz .LBB76_191
; %bb.189:                              ;   in Loop: Header=BB76_144 Depth=1
	ds_read_b32 v90, v83 offset:44
	s_waitcnt lgkmcnt(0)
	v_cmp_gt_i32_e32 vcc, 0, v90
	s_cbranch_vccnz .LBB76_194
; %bb.190:                              ;   in Loop: Header=BB76_144 Depth=1
	v_mul_lo_u32 v90, v90, s49
	s_mul_i32 vcc_lo, s44, 11
	v_add_u32_e32 v90, vcc_lo, v90
	v_add_u32_e32 v90, v90, v81
	v_ashrrev_i32_e32 v91, 31, v90
	v_lshlrev_b64 v[90:91], 2, v[90:91]
	v_mov_b32_e32 v92, s51
	v_add_co_u32_e32 v90, vcc, s48, v90
	v_addc_co_u32_e32 v91, vcc, v92, v91, vcc
	global_load_dword v90, v[90:91], off
.LBB76_191:                             ;   in Loop: Header=BB76_144 Depth=1
	s_andn2_b64 vcc, exec, s[72:73]
	s_waitcnt vmcnt(0)
	ds_write_b32 v84, v90 offset:2968
	s_cbranch_vccnz .LBB76_143
.LBB76_192:                             ;   in Loop: Header=BB76_144 Depth=1
	ds_read_b32 v89, v83 offset:48
	s_waitcnt lgkmcnt(0)
	v_cmp_gt_i32_e32 vcc, 0, v89
	s_cbranch_vccz .LBB76_142
; %bb.193:                              ;   in Loop: Header=BB76_144 Depth=1
	v_mov_b32_e32 v89, 0
	s_branch .LBB76_143
.LBB76_194:                             ;   in Loop: Header=BB76_144 Depth=1
	v_mov_b32_e32 v90, 0
	s_andn2_b64 vcc, exec, s[72:73]
	ds_write_b32 v84, v90 offset:2968
	s_cbranch_vccnz .LBB76_143
	s_branch .LBB76_192
.LBB76_195:
	s_or_b64 exec, exec, s[42:43]
	v_readlane_b32 s30, v97, 28
	v_readlane_b32 s12, v97, 32
	;; [unrolled: 1-line block ×8, first 2 shown]
.LBB76_196:
	v_readlane_b32 s0, v97, 26
	v_readlane_b32 s1, v97, 27
	s_or_b64 exec, exec, s[0:1]
	s_movk_i32 s0, 0x100
	v_lshlrev_b32_e32 v0, 2, v80
	v_add3_u32 v0, s0, v82, v0
	v_and_b32_e32 v4, 0x3f0, v2
	v_add_u32_e32 v5, v0, v4
	ds_write2_b32 v5, a12, a13 offset0:16 offset1:17
	v_or_b32_e32 v5, 12, v2
	v_add_u32_e32 v1, 64, v0
	v_and_b32_e32 v5, 0x3fc, v5
	v_add_u32_e32 v4, v1, v4
	v_add_u32_e32 v0, v0, v5
	ds_write_b32 v4, a14 offset:8
	ds_write_b32 v0, a15 offset:64
	ds_write2_b32 v4, a8, a9 offset0:16 offset1:17
	ds_write_b32 v4, a10 offset:72
	v_add_u32_e32 v0, v1, v5
	ds_write_b32 v0, a11 offset:64
	ds_write2_b32 v4, a4, a5 offset0:32 offset1:33
	ds_write_b32 v4, a6 offset:136
	ds_write_b32 v0, a7 offset:128
	ds_write2_b32 v4, a0, a1 offset0:48 offset1:49
	ds_write_b32 v4, a2 offset:200
	ds_write_b32 v0, a3 offset:192
	v_mov_b32_e32 v0, 0x100
	v_lshl_add_u32 v1, v2, 2, v0
	s_movk_i32 s0, 0x108
	v_mad_u32_u24 v4, v3, s0, v1
	ds_read_b32 v5, v4 offset:64
	v_cmp_gt_u32_e32 vcc, 13, v3
	v_mov_b32_e32 v6, -1
	s_and_saveexec_b64 s[4:5], vcc
	s_cbranch_execz .LBB76_198
; %bb.197:
	v_lshl_add_u32 v0, v3, 2, v0
	ds_read_b32 v6, v0
.LBB76_198:
	s_or_b64 exec, exec, s[4:5]
	s_mul_hi_i32 s1, s14, s27
	s_mul_i32 s0, s14, s27
	s_lshl_b64 s[0:1], s[0:1], 2
	v_readlane_b32 s4, v97, 24
	s_mul_hi_i32 s3, s9, s45
	s_mul_i32 s2, s9, s45
	v_readlane_b32 s5, v97, 25
	s_add_u32 s4, s4, s0
	s_addc_u32 s5, s5, s1
	s_lshl_b64 s[0:1], s[2:3], 2
	s_add_u32 s2, s4, s0
	s_waitcnt lgkmcnt(0)
	v_cmp_lt_i32_e32 vcc, -1, v6
	v_mul_u32_u24_e32 v4, 0x108, v3
	v_add_u32_e32 v0, s6, v2
	s_addc_u32 s3, s5, s1
	s_and_b64 s[4:5], vcc, s[30:31]
	s_and_saveexec_b64 s[0:1], s[4:5]
	s_cbranch_execz .LBB76_200
; %bb.199:
	v_add_f32_e32 v2, 0, v5
	v_mul_lo_u32 v5, v6, s50
	v_mul_lo_u32 v6, v3, s45
	v_add3_u32 v6, v0, v6, v5
	v_mov_b32_e32 v7, 0
	v_lshlrev_b64 v[6:7], 2, v[6:7]
	v_mov_b32_e32 v5, s3
	v_add_co_u32_e32 v6, vcc, s2, v6
	v_addc_co_u32_e32 v7, vcc, v5, v7, vcc
	global_store_dword v[6:7], v2, off
.LBB76_200:
	s_or_b64 exec, exec, s[0:1]
	v_add_u32_e32 v1, v4, v1
	ds_read_b32 v2, v1 offset:328
	v_cmp_gt_u32_e32 vcc, 12, v3
	v_mov_b32_e32 v4, -1
	s_and_saveexec_b64 s[0:1], vcc
	s_cbranch_execz .LBB76_202
; %bb.201:
	v_mov_b32_e32 v4, 0x100
	v_lshl_add_u32 v4, v3, 2, v4
	ds_read_b32 v4, v4 offset:4
.LBB76_202:
	s_or_b64 exec, exec, s[0:1]
	v_readlane_b32 s0, v97, 0
	s_waitcnt lgkmcnt(0)
	v_cmp_lt_i32_e32 vcc, -1, v4
	v_readlane_b32 s1, v97, 1
	s_and_b64 s[4:5], vcc, s[0:1]
	s_and_saveexec_b64 s[0:1], s[4:5]
	s_cbranch_execz .LBB76_204
; %bb.203:
	v_mul_lo_u32 v4, v4, s50
	v_mul_lo_u32 v5, v68, s45
	v_add3_u32 v4, v0, v5, v4
	v_mov_b32_e32 v5, 0
	v_lshlrev_b64 v[4:5], 2, v[4:5]
	v_mov_b32_e32 v6, s3
	v_add_co_u32_e32 v4, vcc, s2, v4
	v_add_f32_e32 v2, 0, v2
	v_addc_co_u32_e32 v5, vcc, v6, v5, vcc
	global_store_dword v[4:5], v2, off
.LBB76_204:
	s_or_b64 exec, exec, s[0:1]
	ds_read_b32 v2, v1 offset:592
	v_cmp_gt_u32_e32 vcc, 11, v3
	v_mov_b32_e32 v4, -1
	s_and_saveexec_b64 s[0:1], vcc
	s_cbranch_execz .LBB76_206
; %bb.205:
	v_mov_b32_e32 v4, 0x100
	v_lshl_add_u32 v4, v3, 2, v4
	ds_read_b32 v4, v4 offset:8
.LBB76_206:
	s_or_b64 exec, exec, s[0:1]
	v_readlane_b32 s0, v97, 2
	s_waitcnt lgkmcnt(0)
	v_cmp_lt_i32_e32 vcc, -1, v4
	v_readlane_b32 s1, v97, 3
	s_and_b64 s[4:5], vcc, s[0:1]
	s_and_saveexec_b64 s[0:1], s[4:5]
	s_cbranch_execz .LBB76_208
; %bb.207:
	v_mul_lo_u32 v4, v4, s50
	v_mul_lo_u32 v5, v69, s45
	v_add3_u32 v4, v0, v5, v4
	v_mov_b32_e32 v5, 0
	v_lshlrev_b64 v[4:5], 2, v[4:5]
	v_mov_b32_e32 v6, s3
	v_add_co_u32_e32 v4, vcc, s2, v4
	v_add_f32_e32 v2, 0, v2
	v_addc_co_u32_e32 v5, vcc, v6, v5, vcc
	global_store_dword v[4:5], v2, off
.LBB76_208:
	s_or_b64 exec, exec, s[0:1]
	;; [unrolled: 31-line block ×11, first 2 shown]
	ds_read_b32 v1, v1 offset:3232
	v_cmp_eq_u32_e32 vcc, 0, v3
	v_mov_b32_e32 v2, -1
	s_and_saveexec_b64 s[0:1], vcc
	s_cbranch_execz .LBB76_246
; %bb.245:
	v_mov_b32_e32 v2, 0x100
	ds_read_b32 v2, v2 offset:48
.LBB76_246:
	s_or_b64 exec, exec, s[0:1]
	v_readlane_b32 s0, v97, 22
	s_waitcnt lgkmcnt(0)
	v_cmp_lt_i32_e32 vcc, -1, v2
	v_readlane_b32 s1, v97, 23
	s_and_b64 s[0:1], vcc, s[0:1]
	s_and_saveexec_b64 s[4:5], s[0:1]
	s_cbranch_execz .LBB76_248
; %bb.247:
	v_add_f32_e32 v3, 0, v1
	v_mul_lo_u32 v1, v2, s50
	v_mul_lo_u32 v2, v79, s45
	v_add3_u32 v0, v0, v2, v1
	v_mov_b32_e32 v1, 0
	v_lshlrev_b64 v[0:1], 2, v[0:1]
	v_mov_b32_e32 v2, s3
	v_add_co_u32_e32 v0, vcc, s2, v0
	v_addc_co_u32_e32 v1, vcc, v2, v1, vcc
	global_store_dword v[0:1], v3, off
.LBB76_248:
	s_endpgm
	.section	.rodata,"a",@progbits
	.p2align	6, 0x0
	.amdhsa_kernel _ZL9mul_mat_fIfLi64ELi13ELi1ELb1EEvPKT_PKfPKiPfiiiiiiiiiiiiiiii
		.amdhsa_group_segment_fixed_size 256
		.amdhsa_private_segment_fixed_size 0
		.amdhsa_kernarg_size 352
		.amdhsa_user_sgpr_count 6
		.amdhsa_user_sgpr_private_segment_buffer 1
		.amdhsa_user_sgpr_dispatch_ptr 0
		.amdhsa_user_sgpr_queue_ptr 0
		.amdhsa_user_sgpr_kernarg_segment_ptr 1
		.amdhsa_user_sgpr_dispatch_id 0
		.amdhsa_user_sgpr_flat_scratch_init 0
		.amdhsa_user_sgpr_kernarg_preload_length 0
		.amdhsa_user_sgpr_kernarg_preload_offset 0
		.amdhsa_user_sgpr_private_segment_size 0
		.amdhsa_uses_dynamic_stack 0
		.amdhsa_system_sgpr_private_segment_wavefront_offset 0
		.amdhsa_system_sgpr_workgroup_id_x 1
		.amdhsa_system_sgpr_workgroup_id_y 1
		.amdhsa_system_sgpr_workgroup_id_z 1
		.amdhsa_system_sgpr_workgroup_info 0
		.amdhsa_system_vgpr_workitem_id 2
		.amdhsa_next_free_vgpr 116
		.amdhsa_next_free_sgpr 96
		.amdhsa_accum_offset 100
		.amdhsa_reserve_vcc 1
		.amdhsa_reserve_flat_scratch 0
		.amdhsa_float_round_mode_32 0
		.amdhsa_float_round_mode_16_64 0
		.amdhsa_float_denorm_mode_32 3
		.amdhsa_float_denorm_mode_16_64 3
		.amdhsa_dx10_clamp 1
		.amdhsa_ieee_mode 1
		.amdhsa_fp16_overflow 0
		.amdhsa_tg_split 0
		.amdhsa_exception_fp_ieee_invalid_op 0
		.amdhsa_exception_fp_denorm_src 0
		.amdhsa_exception_fp_ieee_div_zero 0
		.amdhsa_exception_fp_ieee_overflow 0
		.amdhsa_exception_fp_ieee_underflow 0
		.amdhsa_exception_fp_ieee_inexact 0
		.amdhsa_exception_int_div_zero 0
	.end_amdhsa_kernel
	.section	.text._ZL9mul_mat_fIfLi64ELi13ELi1ELb1EEvPKT_PKfPKiPfiiiiiiiiiiiiiiii,"axG",@progbits,_ZL9mul_mat_fIfLi64ELi13ELi1ELb1EEvPKT_PKfPKiPfiiiiiiiiiiiiiiii,comdat
.Lfunc_end76:
	.size	_ZL9mul_mat_fIfLi64ELi13ELi1ELb1EEvPKT_PKfPKiPfiiiiiiiiiiiiiiii, .Lfunc_end76-_ZL9mul_mat_fIfLi64ELi13ELi1ELb1EEvPKT_PKfPKiPfiiiiiiiiiiiiiiii
                                        ; -- End function
	.section	.AMDGPU.csdata,"",@progbits
; Kernel info:
; codeLenInByte = 13372
; NumSgprs: 100
; NumVgprs: 98
; NumAgprs: 16
; TotalNumVgprs: 116
; ScratchSize: 0
; MemoryBound: 0
; FloatMode: 240
; IeeeMode: 1
; LDSByteSize: 256 bytes/workgroup (compile time only)
; SGPRBlocks: 12
; VGPRBlocks: 14
; NumSGPRsForWavesPerEU: 100
; NumVGPRsForWavesPerEU: 116
; AccumOffset: 100
; Occupancy: 4
; WaveLimiterHint : 0
; COMPUTE_PGM_RSRC2:SCRATCH_EN: 0
; COMPUTE_PGM_RSRC2:USER_SGPR: 6
; COMPUTE_PGM_RSRC2:TRAP_HANDLER: 0
; COMPUTE_PGM_RSRC2:TGID_X_EN: 1
; COMPUTE_PGM_RSRC2:TGID_Y_EN: 1
; COMPUTE_PGM_RSRC2:TGID_Z_EN: 1
; COMPUTE_PGM_RSRC2:TIDIG_COMP_CNT: 2
; COMPUTE_PGM_RSRC3_GFX90A:ACCUM_OFFSET: 24
; COMPUTE_PGM_RSRC3_GFX90A:TG_SPLIT: 0
	.section	.text._ZL9mul_mat_fIfLi64ELi13ELi1ELb0EEvPKT_PKfPKiPfiiiiiiiiiiiiiiii,"axG",@progbits,_ZL9mul_mat_fIfLi64ELi13ELi1ELb0EEvPKT_PKfPKiPfiiiiiiiiiiiiiiii,comdat
	.globl	_ZL9mul_mat_fIfLi64ELi13ELi1ELb0EEvPKT_PKfPKiPfiiiiiiiiiiiiiiii ; -- Begin function _ZL9mul_mat_fIfLi64ELi13ELi1ELb0EEvPKT_PKfPKiPfiiiiiiiiiiiiiiii
	.p2align	8
	.type	_ZL9mul_mat_fIfLi64ELi13ELi1ELb0EEvPKT_PKfPKiPfiiiiiiiiiiiiiiii,@function
_ZL9mul_mat_fIfLi64ELi13ELi1ELb0EEvPKT_PKfPKiPfiiiiiiiiiiiiiiii: ; @_ZL9mul_mat_fIfLi64ELi13ELi1ELb0EEvPKT_PKfPKiPfiiiiiiiiiiiiiiii
; %bb.0:
	s_load_dwordx8 s[12:19], s[4:5], 0x40
	s_load_dword s9, s[4:5], 0x20
	s_load_dwordx4 s[0:3], s[4:5], 0x2c
	v_bfe_u32 v25, v0, 10, 10
	v_lshlrev_b32_e32 v95, 6, v25
	v_and_b32_e32 v94, 0x3ff, v0
	s_waitcnt lgkmcnt(0)
	s_abs_i32 s27, s12
	s_abs_i32 s26, s16
	v_cvt_f32_u32_e32 v1, s27
	v_cvt_f32_u32_e32 v2, s26
	v_or_b32_e32 v96, v95, v94
	s_mov_b32 s22, 0
	v_rcp_iflag_f32_e32 v1, v1
	v_rcp_iflag_f32_e32 v2, v2
	s_ashr_i32 s28, s8, 31
	v_cmp_le_i32_e32 vcc, s9, v96
	v_mul_f32_e32 v1, 0x4f7ffffe, v1
	v_mul_f32_e32 v2, 0x4f7ffffe, v2
	v_cvt_u32_f32_e32 v1, v1
	v_cvt_u32_f32_e32 v2, v2
	v_and_b32_e32 v0, 15, v94
                                        ; implicit-def: $vgpr97
	v_readfirstlane_b32 s21, v1
	v_readfirstlane_b32 s20, v2
	s_and_saveexec_b64 s[10:11], vcc
	s_xor_b64 s[10:11], exec, s[10:11]
; %bb.1:
	v_mul_u32_u24_e32 v97, 0x108, v0
                                        ; implicit-def: $vgpr96
                                        ; implicit-def: $vgpr0
; %bb.2:
	s_or_saveexec_b64 s[24:25], s[10:11]
	s_load_dwordx2 s[10:11], s[4:5], 0x18
	s_lshl_b32 s3, s6, 6
	v_accvgpr_write_b32 a0, s22
	v_accvgpr_write_b32 a1, s22
	;; [unrolled: 1-line block ×16, first 2 shown]
	v_lshlrev_b32_e32 v16, 2, v94
	s_xor_b64 exec, exec, s[24:25]
	s_cbranch_execz .LBB77_6
; %bb.3:
	s_sub_i32 s6, 0, s27
	s_sub_i32 s22, 0, s26
	s_mul_i32 s6, s6, s21
	s_mul_i32 s22, s22, s20
	s_mul_hi_u32 s6, s21, s6
	s_mul_hi_u32 s22, s20, s22
	s_abs_i32 s29, s7
	s_add_i32 s6, s21, s6
	s_add_i32 s31, s20, s22
	s_load_dwordx4 s[20:23], s[4:5], 0x0
	s_mul_hi_u32 s4, s29, s6
	s_ashr_i32 s6, s7, 31
	s_ashr_i32 s12, s12, 31
	s_xor_b32 s6, s6, s12
	s_mul_i32 s12, s4, s27
	s_abs_i32 s30, s8
	s_sub_i32 s12, s29, s12
	s_mul_hi_u32 s5, s30, s31
	s_ashr_i32 s16, s16, 31
	s_add_i32 s29, s4, 1
	s_sub_i32 s31, s12, s27
	s_cmp_ge_u32 s12, s27
	s_cselect_b32 s4, s29, s4
	s_cselect_b32 s12, s31, s12
	s_add_i32 s29, s4, 1
	s_cmp_ge_u32 s12, s27
	s_cselect_b32 s4, s29, s4
	s_mul_i32 s12, s5, s26
	s_xor_b32 s4, s4, s6
	s_sub_i32 s12, s30, s12
	s_sub_i32 s6, s4, s6
	s_xor_b32 s4, s28, s16
	s_add_i32 s16, s5, 1
	s_sub_i32 s27, s12, s26
	s_cmp_ge_u32 s12, s26
	s_cselect_b32 s5, s16, s5
	s_cselect_b32 s12, s27, s12
	s_add_i32 s16, s5, 1
	s_cmp_ge_u32 s12, s26
	s_cselect_b32 s5, s16, s5
	s_xor_b32 s5, s5, s4
	s_sub_i32 s4, s5, s4
	s_mul_i32 s12, s6, s13
	s_mul_i32 s16, s3, s0
	s_mul_hi_i32 s5, s4, s17
	s_mul_i32 s4, s4, s17
	s_ashr_i32 s13, s12, 31
	s_ashr_i32 s17, s16, 31
	s_lshl_b64 s[30:31], s[4:5], 2
	s_lshl_b64 s[4:5], s[16:17], 2
	;; [unrolled: 1-line block ×3, first 2 shown]
	s_waitcnt lgkmcnt(0)
	s_add_u32 s6, s20, s12
	s_addc_u32 s12, s21, s13
	s_add_u32 s6, s6, s4
	s_mul_i32 s28, s7, s14
	s_addc_u32 s14, s12, s5
	s_add_u32 s4, s6, s30
	s_mul_hi_i32 s27, s18, s8
	s_mul_i32 s26, s18, s8
	s_addc_u32 s73, s14, s31
	s_ashr_i32 s29, s28, 31
	s_lshl_b64 s[12:13], s[26:27], 2
	s_lshl_b64 s[16:17], s[28:29], 2
	s_add_u32 s18, s22, s16
	s_addc_u32 s22, s23, s17
	s_add_u32 s5, s18, s12
	s_movk_i32 s16, 0x1080
	v_mul_u32_u24_e32 v97, 0x108, v0
	v_lshrrev_b32_e32 v0, 1, v94
	s_addc_u32 s74, s22, s13
	v_mad_u32_u24 v1, v25, s16, 0
	v_and_b32_e32 v0, 0x1f8, v0
	s_ashr_i32 s17, s0, 31
	s_mov_b32 s16, s0
	v_add3_u32 v99, v1, v97, v0
	s_ashr_i32 s21, s1, 31
	v_lshlrev_b32_e32 v0, 8, v25
	s_lshl_b64 s[16:17], s[16:17], 2
	v_add_u32_e32 v98, v1, v16
	v_mov_b32_e32 v1, s31
	v_add_co_u32_e32 v2, vcc, s30, v0
	s_add_u32 s16, s6, s16
	v_addc_co_u32_e32 v1, vcc, 0, v1, vcc
	s_addc_u32 s17, s14, s17
	v_mov_b32_e32 v3, s17
	v_add_co_u32_e32 v18, vcc, s16, v2
	v_addc_co_u32_e32 v17, vcc, v3, v1, vcc
	v_mov_b32_e32 v3, s14
	v_add_co_u32_e32 v20, vcc, s6, v2
	s_mov_b32 s20, s1
	v_addc_co_u32_e32 v19, vcc, v3, v1, vcc
	v_mov_b32_e32 v1, s13
	v_add_co_u32_e32 v0, vcc, s12, v0
	s_lshl_b64 s[12:13], s[20:21], 2
	s_add_u32 s6, s18, s12
	v_addc_co_u32_e32 v1, vcc, 0, v1, vcc
	s_addc_u32 s12, s22, s13
	v_mov_b32_e32 v2, s12
	v_add_co_u32_e32 v22, vcc, s6, v0
	v_addc_co_u32_e32 v21, vcc, v2, v1, vcc
	v_mov_b32_e32 v2, s22
	v_add_co_u32_e32 v24, vcc, s18, v0
	v_addc_co_u32_e32 v23, vcc, v2, v1, vcc
	s_lshl_b32 s6, s1, 1
	s_mul_i32 s12, s1, 3
	s_lshl_b32 s13, s1, 2
	s_mul_i32 s14, s1, 5
	s_mul_i32 s16, s1, 6
	;; [unrolled: 1-line block ×3, first 2 shown]
	s_lshl_b32 s18, s1, 3
	s_mul_i32 s20, s1, 9
	s_mul_i32 s21, s1, 10
	;; [unrolled: 1-line block ×4, first 2 shown]
	s_lshl_b32 s26, s0, 1
	s_mul_i32 s27, s0, 3
	s_lshl_b32 s28, s0, 2
	s_mul_i32 s29, s0, 5
	s_mul_i32 s30, s0, 6
	;; [unrolled: 1-line block ×3, first 2 shown]
	s_lshl_b32 s33, s0, 3
	s_mul_i32 s34, s0, 9
	s_mul_i32 s35, s0, 10
	s_mul_i32 s36, s0, 11
	s_mul_i32 s37, s0, 12
	s_mul_i32 s38, s0, 13
	s_mul_i32 s39, s0, 14
	s_mul_i32 s40, s0, 15
	s_lshl_b32 s41, s0, 4
	s_mul_i32 s42, s0, 17
	s_mul_i32 s43, s0, 18
	;; [unrolled: 1-line block ×15, first 2 shown]
	s_lshl_b32 s57, s0, 5
	s_mul_i32 s58, s0, 33
	s_mul_i32 s59, s0, 34
	;; [unrolled: 1-line block ×15, first 2 shown]
	v_mov_b32_e32 v100, s73
	s_mul_i32 s73, s0, 48
	v_mov_b32_e32 v101, s74
	s_mul_i32 s74, s0, 49
	v_mov_b32_e32 v102, 0
	v_accvgpr_write_b32 a15, 0
	v_accvgpr_write_b32 a14, 0
	;; [unrolled: 1-line block ×16, first 2 shown]
	s_mul_i32 s75, s0, 50
	s_mul_i32 s76, s0, 51
	;; [unrolled: 1-line block ×14, first 2 shown]
	s_movk_i32 s89, 0x100
	s_mov_b64 s[0:1], 0
.LBB77_4:                               ; =>This Inner Loop Header: Depth=1
	v_add_co_u32_e32 v26, vcc, v20, v16
	v_addc_co_u32_e32 v27, vcc, 0, v19, vcc
	global_load_dword v26, v[26:27], off
	v_add_u32_e32 v42, s41, v96
	v_ashrrev_i32_e32 v43, 31, v42
	v_lshlrev_b64 v[42:43], 2, v[42:43]
	v_add_u32_e32 v54, s57, v96
	v_ashrrev_i32_e32 v55, 31, v54
	v_lshlrev_b64 v[54:55], 2, v[54:55]
	;; [unrolled: 3-line block ×3, first 2 shown]
	v_accvgpr_read_b32 v8, a4
	v_accvgpr_read_b32 v7, a11
	;; [unrolled: 1-line block ×8, first 2 shown]
	v_accvgpr_write_b32 a8, v8
	v_accvgpr_write_b32 a9, v9
	;; [unrolled: 1-line block ×4, first 2 shown]
	v_accvgpr_read_b32 v0, a12
	v_accvgpr_read_b32 v12, a0
	;; [unrolled: 1-line block ×8, first 2 shown]
	v_accvgpr_write_b32 a0, v0
	v_accvgpr_write_b32 a4, v4
	;; [unrolled: 1-line block ×12, first 2 shown]
	s_waitcnt vmcnt(0)
	ds_write_b32 v98, v26
	v_add_co_u32_e32 v26, vcc, v18, v16
	v_addc_co_u32_e32 v27, vcc, 0, v17, vcc
	global_load_dword v26, v[26:27], off
	s_waitcnt vmcnt(0)
	ds_write_b32 v98, v26 offset:264
	v_add_u32_e32 v26, s26, v96
	v_ashrrev_i32_e32 v27, 31, v26
	v_lshlrev_b64 v[26:27], 2, v[26:27]
	v_add_co_u32_e32 v26, vcc, s4, v26
	v_addc_co_u32_e32 v27, vcc, v100, v27, vcc
	global_load_dword v26, v[26:27], off
	s_waitcnt vmcnt(0)
	ds_write_b32 v98, v26 offset:528
	v_add_u32_e32 v26, s27, v96
	v_ashrrev_i32_e32 v27, 31, v26
	v_lshlrev_b64 v[26:27], 2, v[26:27]
	;; [unrolled: 8-line block ×14, first 2 shown]
	v_add_co_u32_e32 v26, vcc, s4, v26
	v_addc_co_u32_e32 v27, vcc, v100, v27, vcc
	global_load_dword v26, v[26:27], off
	v_add_co_u32_e32 v42, vcc, s4, v42
	v_addc_co_u32_e32 v43, vcc, v100, v43, vcc
	s_waitcnt vmcnt(0)
	ds_write_b32 v98, v26 offset:3960
	ds_read_b64 v[40:41], v99
	ds_read_b64 v[38:39], v99 offset:32
	ds_read_b64 v[36:37], v99 offset:64
	;; [unrolled: 1-line block ×7, first 2 shown]
	global_load_dword v42, v[42:43], off
	s_waitcnt vmcnt(0)
	ds_write_b32 v98, v42
	v_add_u32_e32 v42, s42, v96
	v_ashrrev_i32_e32 v43, 31, v42
	v_lshlrev_b64 v[42:43], 2, v[42:43]
	v_add_co_u32_e32 v42, vcc, s4, v42
	v_addc_co_u32_e32 v43, vcc, v100, v43, vcc
	global_load_dword v42, v[42:43], off
	s_waitcnt vmcnt(0)
	ds_write_b32 v98, v42 offset:264
	v_add_u32_e32 v42, s43, v96
	v_ashrrev_i32_e32 v43, 31, v42
	v_lshlrev_b64 v[42:43], 2, v[42:43]
	v_add_co_u32_e32 v42, vcc, s4, v42
	v_addc_co_u32_e32 v43, vcc, v100, v43, vcc
	global_load_dword v42, v[42:43], off
	s_waitcnt vmcnt(0)
	ds_write_b32 v98, v42 offset:528
	;; [unrolled: 8-line block ×14, first 2 shown]
	v_add_u32_e32 v42, s56, v96
	v_ashrrev_i32_e32 v43, 31, v42
	v_lshlrev_b64 v[42:43], 2, v[42:43]
	v_add_co_u32_e32 v42, vcc, s4, v42
	v_addc_co_u32_e32 v43, vcc, v100, v43, vcc
	global_load_dword v42, v[42:43], off
	v_add_co_u32_e32 v54, vcc, s4, v54
	v_addc_co_u32_e32 v55, vcc, v100, v55, vcc
	s_waitcnt vmcnt(0)
	ds_write_b32 v98, v42 offset:3960
	ds_read_b64 v[62:63], v99
	ds_read_b64 v[60:61], v99 offset:32
	ds_read_b64 v[52:53], v99 offset:64
	;; [unrolled: 1-line block ×7, first 2 shown]
	global_load_dword v54, v[54:55], off
	s_waitcnt vmcnt(0)
	ds_write_b32 v98, v54
	v_add_u32_e32 v54, s58, v96
	v_ashrrev_i32_e32 v55, 31, v54
	v_lshlrev_b64 v[54:55], 2, v[54:55]
	v_add_co_u32_e32 v54, vcc, s4, v54
	v_addc_co_u32_e32 v55, vcc, v100, v55, vcc
	global_load_dword v54, v[54:55], off
	s_waitcnt vmcnt(0)
	ds_write_b32 v98, v54 offset:264
	v_add_u32_e32 v54, s59, v96
	v_ashrrev_i32_e32 v55, 31, v54
	v_lshlrev_b64 v[54:55], 2, v[54:55]
	v_add_co_u32_e32 v54, vcc, s4, v54
	v_addc_co_u32_e32 v55, vcc, v100, v55, vcc
	global_load_dword v54, v[54:55], off
	s_waitcnt vmcnt(0)
	ds_write_b32 v98, v54 offset:528
	;; [unrolled: 8-line block ×14, first 2 shown]
	v_add_u32_e32 v54, s72, v96
	v_ashrrev_i32_e32 v55, 31, v54
	v_lshlrev_b64 v[54:55], 2, v[54:55]
	v_add_co_u32_e32 v54, vcc, s4, v54
	v_addc_co_u32_e32 v55, vcc, v100, v55, vcc
	global_load_dword v54, v[54:55], off
	v_add_co_u32_e32 v74, vcc, s4, v74
	v_addc_co_u32_e32 v75, vcc, v100, v75, vcc
	s_waitcnt vmcnt(0)
	ds_write_b32 v98, v54 offset:3960
	ds_read_b64 v[72:73], v99
	ds_read_b64 v[70:71], v99 offset:32
	ds_read_b64 v[68:69], v99 offset:64
	;; [unrolled: 1-line block ×7, first 2 shown]
	global_load_dword v74, v[74:75], off
	s_waitcnt vmcnt(0)
	ds_write_b32 v98, v74
	v_add_u32_e32 v74, s74, v96
	v_ashrrev_i32_e32 v75, 31, v74
	v_lshlrev_b64 v[74:75], 2, v[74:75]
	v_add_co_u32_e32 v74, vcc, s4, v74
	v_addc_co_u32_e32 v75, vcc, v100, v75, vcc
	global_load_dword v74, v[74:75], off
	s_waitcnt vmcnt(0)
	ds_write_b32 v98, v74 offset:264
	v_add_u32_e32 v74, s75, v96
	v_ashrrev_i32_e32 v75, 31, v74
	v_lshlrev_b64 v[74:75], 2, v[74:75]
	v_add_co_u32_e32 v74, vcc, s4, v74
	v_addc_co_u32_e32 v75, vcc, v100, v75, vcc
	global_load_dword v74, v[74:75], off
	s_waitcnt vmcnt(0)
	ds_write_b32 v98, v74 offset:528
	;; [unrolled: 8-line block ×14, first 2 shown]
	v_add_u32_e32 v74, s88, v96
	v_ashrrev_i32_e32 v75, 31, v74
	v_lshlrev_b64 v[74:75], 2, v[74:75]
	v_add_co_u32_e32 v74, vcc, s4, v74
	v_addc_co_u32_e32 v75, vcc, v100, v75, vcc
	global_load_dword v74, v[74:75], off
	v_add_co_u32_e32 v90, vcc, v24, v16
	v_addc_co_u32_e32 v91, vcc, 0, v23, vcc
	s_waitcnt vmcnt(0)
	ds_write_b32 v98, v74 offset:3960
	ds_read_b64 v[88:89], v99
	ds_read_b64 v[86:87], v99 offset:32
	ds_read_b64 v[84:85], v99 offset:64
	;; [unrolled: 1-line block ×7, first 2 shown]
	global_load_dword v90, v[90:91], off
	s_waitcnt vmcnt(0)
	ds_write_b32 v98, v90
	v_add_co_u32_e32 v90, vcc, v22, v16
	v_addc_co_u32_e32 v91, vcc, 0, v21, vcc
	global_load_dword v90, v[90:91], off
	s_waitcnt vmcnt(0)
	ds_write_b32 v98, v90 offset:264
	v_add_u32_e32 v90, s6, v96
	v_ashrrev_i32_e32 v91, 31, v90
	v_lshlrev_b64 v[90:91], 2, v[90:91]
	v_add_co_u32_e32 v90, vcc, s5, v90
	v_addc_co_u32_e32 v91, vcc, v101, v91, vcc
	global_load_dword v90, v[90:91], off
	s_waitcnt vmcnt(0)
	ds_write_b32 v98, v90 offset:528
	v_add_u32_e32 v90, s12, v96
	v_ashrrev_i32_e32 v91, 31, v90
	v_lshlrev_b64 v[90:91], 2, v[90:91]
	;; [unrolled: 8-line block ×11, first 2 shown]
	v_add_co_u32_e32 v90, vcc, s5, v90
	v_addc_co_u32_e32 v91, vcc, v101, v91, vcc
	global_load_dword v90, v[90:91], off
	s_waitcnt vmcnt(0)
	ds_write_b32 v98, v90 offset:3168
	ds_write_b32 v98, v102 offset:3432
	;; [unrolled: 1-line block ×4, first 2 shown]
	ds_read_b64 v[92:93], v99
	ds_read_b64 v[90:91], v99 offset:32
	s_waitcnt lgkmcnt(1)
	v_mfma_f32_16x16x4f32 a[8:11], v72, v92, a[8:11]
	ds_read_b64 v[0:1], v99 offset:64
	v_add_co_u32_e32 v18, vcc, s89, v18
	v_addc_co_u32_e32 v17, vcc, 0, v17, vcc
	v_add_co_u32_e32 v20, vcc, 0x100, v20
	v_mfma_f32_16x16x4f32 a[0:3], v40, v92, a[0:3]
	v_addc_co_u32_e32 v19, vcc, 0, v19, vcc
	v_add_co_u32_e32 v22, vcc, 0x100, v22
	v_addc_co_u32_e32 v21, vcc, 0, v21, vcc
	v_add_co_u32_e32 v24, vcc, 0x100, v24
	v_mfma_f32_16x16x4f32 a[4:7], v62, v92, a[4:7]
	v_add_u32_e32 v96, 64, v96
	v_addc_co_u32_e32 v23, vcc, 0, v23, vcc
	v_cmp_le_i32_e32 vcc, s9, v96
	s_or_b64 s[0:1], vcc, s[0:1]
	v_mfma_f32_16x16x4f32 a[12:15], v88, v92, a[12:15]
	v_mfma_f32_16x16x4f32 a[8:11], v73, v93, a[8:11]
	;; [unrolled: 1-line block ×5, first 2 shown]
	s_waitcnt lgkmcnt(1)
	v_mfma_f32_16x16x4f32 a[8:11], v70, v90, a[8:11]
	v_mfma_f32_16x16x4f32 a[0:3], v38, v90, a[0:3]
	;; [unrolled: 1-line block ×8, first 2 shown]
	s_waitcnt lgkmcnt(0)
	v_mfma_f32_16x16x4f32 a[8:11], v68, v0, a[8:11]
	v_mfma_f32_16x16x4f32 a[0:3], v36, v0, a[0:3]
	v_mfma_f32_16x16x4f32 a[4:7], v52, v0, a[4:7]
	v_mfma_f32_16x16x4f32 a[12:15], v84, v0, a[12:15]
	v_mfma_f32_16x16x4f32 a[8:11], v69, v1, a[8:11]
	v_mfma_f32_16x16x4f32 a[0:3], v37, v1, a[0:3]
	v_mfma_f32_16x16x4f32 a[4:7], v53, v1, a[4:7]
	v_mfma_f32_16x16x4f32 a[12:15], v85, v1, a[12:15]
	ds_read_b64 v[0:1], v99 offset:96
	s_waitcnt lgkmcnt(0)
	v_mfma_f32_16x16x4f32 a[8:11], v66, v0, a[8:11]
	v_mfma_f32_16x16x4f32 a[0:3], v34, v0, a[0:3]
	v_mfma_f32_16x16x4f32 a[4:7], v50, v0, a[4:7]
	v_mfma_f32_16x16x4f32 a[12:15], v82, v0, a[12:15]
	v_mfma_f32_16x16x4f32 a[8:11], v67, v1, a[8:11]
	v_mfma_f32_16x16x4f32 a[0:3], v35, v1, a[0:3]
	v_mfma_f32_16x16x4f32 a[4:7], v51, v1, a[4:7]
	v_mfma_f32_16x16x4f32 a[12:15], v83, v1, a[12:15]
	ds_read_b64 v[0:1], v99 offset:128
	;; [unrolled: 10-line block ×5, first 2 shown]
	s_waitcnt lgkmcnt(0)
	v_mfma_f32_16x16x4f32 a[0:3], v26, v0, a[0:3]
	v_mfma_f32_16x16x4f32 a[12:15], v27, v1, a[0:3]
	;; [unrolled: 1-line block ×8, first 2 shown]
	s_andn2_b64 exec, exec, s[0:1]
	s_cbranch_execnz .LBB77_4
; %bb.5:
	s_or_b64 exec, exec, s[0:1]
.LBB77_6:
	s_or_b64 exec, exec, s[24:25]
	v_lshlrev_b32_e32 v0, 2, v95
	v_or_b32_e32 v2, 12, v94
	v_add3_u32 v0, 0, v97, v0
	v_and_b32_e32 v1, 0x3f0, v94
	v_and_b32_e32 v2, 0x3fc, v2
	s_mul_hi_i32 s1, s19, s8
	s_mul_i32 s0, s19, s8
	v_add_u32_e32 v1, v0, v1
	v_add_u32_e32 v0, v0, v2
	s_lshl_b64 s[0:1], s[0:1], 2
	ds_write2_b32 v1, a12, a13 offset1:1
	ds_write_b32 v1, a14 offset:8
	ds_write_b32 v0, a15
	ds_write2_b32 v1, a8, a9 offset0:16 offset1:17
	ds_write_b32 v1, a10 offset:72
	ds_write_b32 v0, a11 offset:64
	ds_write2_b32 v1, a4, a5 offset0:32 offset1:33
	ds_write_b32 v1, a6 offset:136
	ds_write_b32 v0, a7 offset:128
	;; [unrolled: 3-line block ×3, first 2 shown]
	v_mul_u32_u24_e32 v0, 0x108, v25
	s_waitcnt lgkmcnt(0)
	s_add_u32 s4, s10, s0
	s_mul_i32 s0, s7, s15
	v_add3_u32 v6, 0, v16, v0
	s_addc_u32 s5, s11, s1
	ds_read2_b32 v[0:1], v6 offset1:66
	s_ashr_i32 s1, s0, 31
	s_lshl_b64 s[0:1], s[0:1], 2
	v_mul_lo_u32 v2, v25, s2
	s_add_u32 s0, s4, s0
	v_add3_u32 v2, s3, v94, v2
	v_mov_b32_e32 v3, 0
	s_addc_u32 s1, s5, s1
	v_lshlrev_b64 v[4:5], 2, v[2:3]
	v_mov_b32_e32 v7, s1
	v_add_co_u32_e32 v4, vcc, s0, v4
	s_waitcnt lgkmcnt(0)
	v_add_f32_e32 v0, 0, v0
	v_addc_co_u32_e32 v5, vcc, v7, v5, vcc
	v_add_u32_e32 v2, s2, v2
	global_store_dword v[4:5], v0, off
	v_add_f32_e32 v7, 0, v1
	v_lshlrev_b64 v[0:1], 2, v[2:3]
	ds_read2_b32 v[4:5], v6 offset0:132 offset1:198
	v_mov_b32_e32 v8, s1
	v_add_co_u32_e32 v0, vcc, s0, v0
	v_addc_co_u32_e32 v1, vcc, v8, v1, vcc
	v_add_u32_e32 v2, s2, v2
	global_store_dword v[0:1], v7, off
	v_lshlrev_b64 v[0:1], 2, v[2:3]
	v_mov_b32_e32 v7, s1
	v_add_co_u32_e32 v0, vcc, s0, v0
	s_waitcnt lgkmcnt(0)
	v_add_f32_e32 v4, 0, v4
	v_addc_co_u32_e32 v1, vcc, v7, v1, vcc
	v_add_u32_e32 v2, s2, v2
	v_add_u32_e32 v9, 0x400, v6
	global_store_dword v[0:1], v4, off
	v_add_f32_e32 v7, 0, v5
	v_lshlrev_b64 v[0:1], 2, v[2:3]
	ds_read2_b32 v[4:5], v9 offset0:8 offset1:74
	v_add_co_u32_e32 v0, vcc, s0, v0
	v_addc_co_u32_e32 v1, vcc, v8, v1, vcc
	v_add_u32_e32 v2, s2, v2
	global_store_dword v[0:1], v7, off
	v_lshlrev_b64 v[0:1], 2, v[2:3]
	v_mov_b32_e32 v7, s1
	v_add_co_u32_e32 v0, vcc, s0, v0
	s_waitcnt lgkmcnt(0)
	v_add_f32_e32 v4, 0, v4
	v_addc_co_u32_e32 v1, vcc, v7, v1, vcc
	v_add_u32_e32 v2, s2, v2
	global_store_dword v[0:1], v4, off
	v_add_f32_e32 v7, 0, v5
	v_lshlrev_b64 v[0:1], 2, v[2:3]
	ds_read2_b32 v[4:5], v9 offset0:140 offset1:206
	v_add_co_u32_e32 v0, vcc, s0, v0
	v_addc_co_u32_e32 v1, vcc, v8, v1, vcc
	v_add_u32_e32 v2, s2, v2
	global_store_dword v[0:1], v7, off
	v_lshlrev_b64 v[0:1], 2, v[2:3]
	v_mov_b32_e32 v7, s1
	v_add_co_u32_e32 v0, vcc, s0, v0
	s_waitcnt lgkmcnt(0)
	v_add_f32_e32 v4, 0, v4
	v_addc_co_u32_e32 v1, vcc, v7, v1, vcc
	v_add_u32_e32 v2, s2, v2
	v_add_u32_e32 v9, 0x800, v6
	global_store_dword v[0:1], v4, off
	v_add_f32_e32 v7, 0, v5
	v_lshlrev_b64 v[0:1], 2, v[2:3]
	ds_read2_b32 v[4:5], v9 offset0:16 offset1:82
	v_add_co_u32_e32 v0, vcc, s0, v0
	v_addc_co_u32_e32 v1, vcc, v8, v1, vcc
	v_add_u32_e32 v2, s2, v2
	global_store_dword v[0:1], v7, off
	v_lshlrev_b64 v[0:1], 2, v[2:3]
	v_mov_b32_e32 v7, s1
	v_add_co_u32_e32 v0, vcc, s0, v0
	s_waitcnt lgkmcnt(0)
	v_add_f32_e32 v4, 0, v4
	v_addc_co_u32_e32 v1, vcc, v7, v1, vcc
	v_add_u32_e32 v2, s2, v2
	global_store_dword v[0:1], v4, off
	v_add_f32_e32 v7, 0, v5
	v_lshlrev_b64 v[0:1], 2, v[2:3]
	ds_read2_b32 v[4:5], v9 offset0:148 offset1:214
	v_add_co_u32_e32 v0, vcc, s0, v0
	v_addc_co_u32_e32 v1, vcc, v8, v1, vcc
	v_add_u32_e32 v2, s2, v2
	global_store_dword v[0:1], v7, off
	v_lshlrev_b64 v[0:1], 2, v[2:3]
	v_mov_b32_e32 v7, s1
	v_add_co_u32_e32 v0, vcc, s0, v0
	s_waitcnt lgkmcnt(0)
	v_add_f32_e32 v4, 0, v4
	v_addc_co_u32_e32 v1, vcc, v7, v1, vcc
	v_add_u32_e32 v2, s2, v2
	global_store_dword v[0:1], v4, off
	v_lshlrev_b64 v[0:1], 2, v[2:3]
	ds_read_b32 v6, v6 offset:3168
	v_add_f32_e32 v4, 0, v5
	v_mov_b32_e32 v5, s1
	v_add_co_u32_e32 v0, vcc, s0, v0
	v_addc_co_u32_e32 v1, vcc, v5, v1, vcc
	v_add_u32_e32 v2, s2, v2
	global_store_dword v[0:1], v4, off
	v_lshlrev_b64 v[0:1], 2, v[2:3]
	v_mov_b32_e32 v2, s1
	v_add_co_u32_e32 v0, vcc, s0, v0
	s_waitcnt lgkmcnt(0)
	v_add_f32_e32 v4, 0, v6
	v_addc_co_u32_e32 v1, vcc, v2, v1, vcc
	global_store_dword v[0:1], v4, off
	s_endpgm
	.section	.rodata,"a",@progbits
	.p2align	6, 0x0
	.amdhsa_kernel _ZL9mul_mat_fIfLi64ELi13ELi1ELb0EEvPKT_PKfPKiPfiiiiiiiiiiiiiiii
		.amdhsa_group_segment_fixed_size 0
		.amdhsa_private_segment_fixed_size 0
		.amdhsa_kernarg_size 96
		.amdhsa_user_sgpr_count 6
		.amdhsa_user_sgpr_private_segment_buffer 1
		.amdhsa_user_sgpr_dispatch_ptr 0
		.amdhsa_user_sgpr_queue_ptr 0
		.amdhsa_user_sgpr_kernarg_segment_ptr 1
		.amdhsa_user_sgpr_dispatch_id 0
		.amdhsa_user_sgpr_flat_scratch_init 0
		.amdhsa_user_sgpr_kernarg_preload_length 0
		.amdhsa_user_sgpr_kernarg_preload_offset 0
		.amdhsa_user_sgpr_private_segment_size 0
		.amdhsa_uses_dynamic_stack 0
		.amdhsa_system_sgpr_private_segment_wavefront_offset 0
		.amdhsa_system_sgpr_workgroup_id_x 1
		.amdhsa_system_sgpr_workgroup_id_y 1
		.amdhsa_system_sgpr_workgroup_id_z 1
		.amdhsa_system_sgpr_workgroup_info 0
		.amdhsa_system_vgpr_workitem_id 1
		.amdhsa_next_free_vgpr 128
		.amdhsa_next_free_sgpr 90
		.amdhsa_accum_offset 104
		.amdhsa_reserve_vcc 1
		.amdhsa_reserve_flat_scratch 0
		.amdhsa_float_round_mode_32 0
		.amdhsa_float_round_mode_16_64 0
		.amdhsa_float_denorm_mode_32 3
		.amdhsa_float_denorm_mode_16_64 3
		.amdhsa_dx10_clamp 1
		.amdhsa_ieee_mode 1
		.amdhsa_fp16_overflow 0
		.amdhsa_tg_split 0
		.amdhsa_exception_fp_ieee_invalid_op 0
		.amdhsa_exception_fp_denorm_src 0
		.amdhsa_exception_fp_ieee_div_zero 0
		.amdhsa_exception_fp_ieee_overflow 0
		.amdhsa_exception_fp_ieee_underflow 0
		.amdhsa_exception_fp_ieee_inexact 0
		.amdhsa_exception_int_div_zero 0
	.end_amdhsa_kernel
	.section	.text._ZL9mul_mat_fIfLi64ELi13ELi1ELb0EEvPKT_PKfPKiPfiiiiiiiiiiiiiiii,"axG",@progbits,_ZL9mul_mat_fIfLi64ELi13ELi1ELb0EEvPKT_PKfPKiPfiiiiiiiiiiiiiiii,comdat
.Lfunc_end77:
	.size	_ZL9mul_mat_fIfLi64ELi13ELi1ELb0EEvPKT_PKfPKiPfiiiiiiiiiiiiiiii, .Lfunc_end77-_ZL9mul_mat_fIfLi64ELi13ELi1ELb0EEvPKT_PKfPKiPfiiiiiiiiiiiiiiii
                                        ; -- End function
	.section	.AMDGPU.csdata,"",@progbits
; Kernel info:
; codeLenInByte = 6480
; NumSgprs: 94
; NumVgprs: 103
; NumAgprs: 24
; TotalNumVgprs: 128
; ScratchSize: 0
; MemoryBound: 0
; FloatMode: 240
; IeeeMode: 1
; LDSByteSize: 0 bytes/workgroup (compile time only)
; SGPRBlocks: 11
; VGPRBlocks: 15
; NumSGPRsForWavesPerEU: 94
; NumVGPRsForWavesPerEU: 128
; AccumOffset: 104
; Occupancy: 4
; WaveLimiterHint : 0
; COMPUTE_PGM_RSRC2:SCRATCH_EN: 0
; COMPUTE_PGM_RSRC2:USER_SGPR: 6
; COMPUTE_PGM_RSRC2:TRAP_HANDLER: 0
; COMPUTE_PGM_RSRC2:TGID_X_EN: 1
; COMPUTE_PGM_RSRC2:TGID_Y_EN: 1
; COMPUTE_PGM_RSRC2:TGID_Z_EN: 1
; COMPUTE_PGM_RSRC2:TIDIG_COMP_CNT: 1
; COMPUTE_PGM_RSRC3_GFX90A:ACCUM_OFFSET: 25
; COMPUTE_PGM_RSRC3_GFX90A:TG_SPLIT: 0
	.section	.text._ZL13mul_mat_f_idsIfLi64ELi13ELi2EEvPKT_PKfPKiS6_S6_Pfiiiiiiiiiiiiii15HIP_vector_typeIjLj3EES9_,"axG",@progbits,_ZL13mul_mat_f_idsIfLi64ELi13ELi2EEvPKT_PKfPKiS6_S6_Pfiiiiiiiiiiiiii15HIP_vector_typeIjLj3EES9_,comdat
	.globl	_ZL13mul_mat_f_idsIfLi64ELi13ELi2EEvPKT_PKfPKiS6_S6_Pfiiiiiiiiiiiiii15HIP_vector_typeIjLj3EES9_ ; -- Begin function _ZL13mul_mat_f_idsIfLi64ELi13ELi2EEvPKT_PKfPKiS6_S6_Pfiiiiiiiiiiiiii15HIP_vector_typeIjLj3EES9_
	.p2align	8
	.type	_ZL13mul_mat_f_idsIfLi64ELi13ELi2EEvPKT_PKfPKiS6_S6_Pfiiiiiiiiiiiiii15HIP_vector_typeIjLj3EES9_,@function
_ZL13mul_mat_f_idsIfLi64ELi13ELi2EEvPKT_PKfPKiS6_S6_Pfiiiiiiiiiiiiii15HIP_vector_typeIjLj3EES9_: ; @_ZL13mul_mat_f_idsIfLi64ELi13ELi2EEvPKT_PKfPKiS6_S6_Pfiiiiiiiiiiiiii15HIP_vector_typeIjLj3EES9_
; %bb.0:
	s_load_dwordx2 s[0:1], s[4:5], 0x20
	s_mov_b32 s34, s7
	s_ashr_i32 s35, s7, 31
	s_lshl_b64 s[2:3], s[34:35], 2
	s_waitcnt lgkmcnt(0)
	s_add_u32 s0, s0, s2
	s_addc_u32 s1, s1, s3
	s_load_dwordx2 s[26:27], s[0:1], 0x0
	s_waitcnt lgkmcnt(0)
	s_sub_i32 s33, s27, s26
	s_add_i32 s0, s33, 12
	s_mul_hi_i32 s0, s0, 0x4ec4ec4f
	s_lshr_b32 s1, s0, 31
	s_ashr_i32 s0, s0, 2
	s_add_i32 s0, s0, s1
	s_cmp_ge_i32 s8, s0
	s_cbranch_scc1 .LBB78_68
; %bb.1:
	v_bfe_u32 v66, v0, 10, 10
	v_lshlrev_b32_e32 v68, 6, v66
	v_and_b32_e32 v67, 0x3ff, v0
	s_load_dwordx4 s[12:15], s[4:5], 0x30
	s_load_dwordx2 s[20:21], s[4:5], 0x40
	s_load_dwordx4 s[0:3], s[4:5], 0x4c
	s_load_dwordx4 s[16:19], s[4:5], 0x68
	s_load_dwordx2 s[24:25], s[4:5], 0x78
	v_add_u32_e32 v70, v68, v67
	s_ashr_i32 s27, s26, 31
	s_waitcnt lgkmcnt(0)
	v_cmp_le_i32_e32 vcc, s12, v70
	v_and_b32_e32 v69, 15, v67
                                        ; implicit-def: $sgpr3
	s_and_saveexec_b64 s[10:11], vcc
	s_xor_b64 s[10:11], exec, s[10:11]
; %bb.2:
	v_and_b32_e32 v69, 15, v67
	s_mov_b32 s3, 0
                                        ; implicit-def: $vgpr70
; %bb.3:
	s_or_saveexec_b64 s[22:23], s[10:11]
	s_load_dwordx2 s[10:11], s[4:5], 0x18
                                        ; implicit-def: $vgpr92 : SGPR spill to VGPR lane
	s_lshl_b32 s7, s6, 6
	s_mul_i32 s6, s8, 13
	v_accvgpr_write_b32 a0, s3
	v_accvgpr_write_b32 a1, s3
	s_waitcnt lgkmcnt(0)
	v_writelane_b32 v92, s10, 0
	v_writelane_b32 v92, s11, 1
	s_load_dwordx2 s[10:11], s[4:5], 0x28
	v_accvgpr_write_b32 a2, s3
	v_accvgpr_write_b32 a3, s3
	;; [unrolled: 1-line block ×4, first 2 shown]
	s_waitcnt lgkmcnt(0)
	v_writelane_b32 v92, s10, 2
	v_writelane_b32 v92, s11, 3
	v_accvgpr_write_b32 a6, s3
	v_accvgpr_write_b32 a7, s3
	;; [unrolled: 1-line block ×10, first 2 shown]
	v_writelane_b32 v92, s22, 4
	v_writelane_b32 v92, s23, 5
	s_xor_b64 exec, exec, s[22:23]
	s_cbranch_execz .LBB78_46
; %bb.4:
	v_writelane_b32 v92, s24, 6
	v_writelane_b32 v92, s25, 7
	s_load_dwordx4 s[8:11], s[4:5], 0x0
	s_load_dwordx2 s[22:23], s[4:5], 0x10
	s_mul_i32 s4, s34, s0
	s_mul_i32 s24, s7, s15
	s_ashr_i32 s5, s4, 31
	s_ashr_i32 s25, s24, 31
	s_lshl_b64 s[24:25], s[24:25], 2
	s_lshl_b64 s[4:5], s[4:5], 2
	s_add_u32 s3, s4, s24
	s_addc_u32 s24, s5, s25
	v_writelane_b32 v92, s7, 8
	s_waitcnt lgkmcnt(0)
	s_add_u32 s0, s3, s8
	s_addc_u32 s25, s24, s9
	v_writelane_b32 v92, s26, 9
	s_lshl_b64 s[4:5], s[26:27], 2
	v_writelane_b32 v92, s27, 10
	s_add_u32 s26, s22, s4
	s_addc_u32 s27, s23, s5
	s_movk_i32 s4, 0x1080
	s_cmp_lt_i32 s6, s33
	v_mad_u32_u24 v0, v66, s4, 0
	s_cselect_b64 s[4:5], -1, 0
	s_ashr_i32 s7, s6, 31
	s_lshl_b64 s[22:23], s[6:7], 2
	s_add_u32 s34, s26, s22
	s_addc_u32 s35, s27, s23
	s_add_i32 s7, s6, 1
	s_cmp_lt_i32 s7, s33
	s_cselect_b64 s[36:37], -1, 0
	s_add_i32 s7, s6, 2
	s_cmp_lt_i32 s7, s33
	s_cselect_b64 s[38:39], -1, 0
	;; [unrolled: 3-line block ×3, first 2 shown]
	s_add_i32 s7, s6, 4
	s_cmp_lt_i32 s7, s33
	v_lshrrev_b32_e32 v3, 1, v67
	s_cselect_b64 s[42:43], -1, 0
	s_add_i32 s7, s6, 5
	v_lshlrev_b32_e32 v1, 2, v67
	v_mul_u32_u24_e32 v2, 0x108, v69
	v_and_b32_e32 v3, 0x1f8, v3
	s_cmp_lt_i32 s7, s33
	v_add_u32_e32 v71, v0, v1
	v_add3_u32 v72, v0, v2, v3
	s_cselect_b64 s[44:45], -1, 0
	s_add_i32 s7, s6, 6
	v_lshlrev_b32_e32 v0, 8, v66
	s_cmp_lt_i32 s7, s33
	v_add_co_u32_e32 v0, vcc, s3, v0
	s_mul_i32 s3, s15, 3
	s_cselect_b64 s[46:47], -1, 0
	s_add_i32 s7, s6, 7
	v_writelane_b32 v92, s3, 11
	s_mul_i32 s3, s15, 5
	s_cmp_lt_i32 s7, s33
	v_writelane_b32 v92, s3, 12
	s_mul_i32 s3, s15, 6
	s_cselect_b64 s[48:49], -1, 0
	s_add_i32 s7, s6, 8
	v_writelane_b32 v92, s3, 13
	s_mul_i32 s3, s15, 7
	s_cmp_lt_i32 s7, s33
	v_writelane_b32 v92, s3, 14
	;; [unrolled: 7-line block ×4, first 2 shown]
	s_mul_i32 s3, s15, 13
	s_cselect_b64 s[54:55], -1, 0
	s_add_i32 s7, s6, 11
	v_writelane_b32 v92, s3, 19
	s_mul_i32 s3, s15, 14
	s_cmp_lt_i32 s7, s33
	v_mov_b32_e32 v2, s24
	v_writelane_b32 v92, s3, 20
	s_mul_i32 s3, s15, 15
	s_cselect_b64 s[56:57], -1, 0
	s_add_i32 s7, s6, 12
	v_addc_co_u32_e32 v2, vcc, 0, v2, vcc
	v_writelane_b32 v92, s3, 21
	s_mul_i32 s3, s15, 17
	s_cmp_lt_i32 s7, s33
	v_add_co_u32_e32 v0, vcc, v0, v1
	v_writelane_b32 v92, s3, 22
	s_mul_i32 s3, s15, 18
	s_cselect_b64 s[58:59], -1, 0
	s_ashr_i32 s23, s15, 31
	s_mov_b32 s22, s15
	v_addc_co_u32_e32 v1, vcc, 0, v2, vcc
	v_writelane_b32 v92, s3, 23
	s_mul_i32 s3, s15, 19
	s_lshl_b64 s[60:61], s[22:23], 2
	v_mov_b32_e32 v2, s9
	v_add_co_u32_e32 v0, vcc, s8, v0
	v_writelane_b32 v92, s3, 24
	s_mul_i32 s3, s15, 20
	v_addc_co_u32_e32 v1, vcc, v2, v1, vcc
	s_lshl_b32 s7, s15, 1
	s_lshl_b32 s63, s15, 2
	;; [unrolled: 1-line block ×4, first 2 shown]
	v_writelane_b32 v92, s3, 25
	s_mul_i32 s80, s15, 21
	s_mul_i32 s81, s15, 22
	;; [unrolled: 1-line block ×9, first 2 shown]
	v_mov_b32_e32 v73, s25
	s_mul_i32 s89, s15, 30
	v_mov_b32_e32 v74, 0
	v_accvgpr_write_b32 a15, 0
	v_accvgpr_write_b32 a14, 0
	;; [unrolled: 1-line block ×16, first 2 shown]
	v_mov_b32_e32 v75, s61
	s_mul_i32 s61, s15, 31
	s_lshl_b32 s90, s15, 5
	s_mul_i32 s91, s15, 33
	s_mul_i32 s92, s15, 34
	;; [unrolled: 1-line block ×31, first 2 shown]
	s_mov_b64 s[8:9], 0
	s_branch .LBB78_6
.LBB78_5:                               ;   in Loop: Header=BB78_6 Depth=1
	s_waitcnt vmcnt(0)
	ds_write2_b32 v71, v76, v78 offset1:66
	ds_write2_b32 v71, v77, v80 offset0:132 offset1:198
	v_add_u32_e32 v76, 0x400, v71
	ds_write2_b32 v76, v79, v82 offset0:8 offset1:74
	ds_write2_b32 v76, v81, v84 offset0:140 offset1:206
	v_add_u32_e32 v76, 0x800, v71
	ds_write2_b32 v76, v83, v86 offset0:16 offset1:82
	;; [unrolled: 3-line block ×3, first 2 shown]
	ds_write2_b32 v76, v74, v74 offset0:156 offset1:222
	ds_read2_b64 v[76:79], v72 offset1:4
	v_add_co_u32_e32 v0, vcc, 0x200, v0
	s_waitcnt lgkmcnt(0)
	v_mfma_f32_16x16x4f32 a[0:3], v28, v76, a[0:3]
	v_add_u32_e32 v70, 0x80, v70
	v_addc_co_u32_e32 v1, vcc, 0, v1, vcc
	v_cmp_le_i32_e32 vcc, s12, v70
	s_or_b64 s[8:9], vcc, s[8:9]
	v_mfma_f32_16x16x4f32 a[4:7], v44, v76, a[4:7]
	v_mfma_f32_16x16x4f32 a[8:11], v52, v76, a[8:11]
	;; [unrolled: 1-line block ×15, first 2 shown]
	ds_read2_b64 v[62:65], v72 offset0:8 offset1:12
	s_waitcnt lgkmcnt(0)
	v_mfma_f32_16x16x4f32 a[0:3], v16, v62, a[0:3]
	v_mfma_f32_16x16x4f32 a[4:7], v34, v62, a[4:7]
	;; [unrolled: 1-line block ×14, first 2 shown]
	ds_read2_b64 v[28:31], v72 offset0:16 offset1:20
	v_mfma_f32_16x16x4f32 a[8:11], v43, v65, a[8:11]
	v_mfma_f32_16x16x4f32 a[12:15], v59, v65, a[12:15]
	s_waitcnt lgkmcnt(0)
	v_mfma_f32_16x16x4f32 a[0:3], v10, v28, a[0:3]
	v_mfma_f32_16x16x4f32 a[4:7], v24, v28, a[4:7]
	;; [unrolled: 1-line block ×5, first 2 shown]
	ds_read2_b64 v[10:13], v72 offset0:24 offset1:28
	v_mfma_f32_16x16x4f32 a[4:7], v25, v29, a[4:7]
	v_mfma_f32_16x16x4f32 a[8:11], v37, v29, a[8:11]
	;; [unrolled: 1-line block ×11, first 2 shown]
	s_waitcnt lgkmcnt(0)
	v_mfma_f32_16x16x4f32 a[0:3], v4, v10, a[0:3]
	v_mfma_f32_16x16x4f32 a[4:7], v14, v10, a[4:7]
	;; [unrolled: 1-line block ×16, first 2 shown]
	s_andn2_b64 exec, exec, s[8:9]
	s_cbranch_execz .LBB78_45
.LBB78_6:                               ; =>This Inner Loop Header: Depth=1
	v_add_co_u32_e32 v2, vcc, s60, v0
	v_addc_co_u32_e32 v3, vcc, v1, v75, vcc
	global_load_dword v18, v[0:1], off
	global_load_dword v19, v[2:3], off
	v_add_u32_e32 v2, s7, v70
	v_ashrrev_i32_e32 v3, 31, v2
	v_readlane_b32 s79, v92, 11
	v_lshlrev_b64 v[2:3], 2, v[2:3]
	v_add_u32_e32 v4, s79, v70
	v_add_co_u32_e32 v2, vcc, s0, v2
	v_ashrrev_i32_e32 v5, 31, v4
	v_addc_co_u32_e32 v3, vcc, v73, v3, vcc
	v_lshlrev_b64 v[4:5], 2, v[4:5]
	v_add_u32_e32 v6, s63, v70
	v_add_co_u32_e32 v4, vcc, s0, v4
	v_ashrrev_i32_e32 v7, 31, v6
	v_readlane_b32 s79, v92, 12
	v_addc_co_u32_e32 v5, vcc, v73, v5, vcc
	v_lshlrev_b64 v[6:7], 2, v[6:7]
	v_add_u32_e32 v8, s79, v70
	v_add_co_u32_e32 v6, vcc, s0, v6
	v_ashrrev_i32_e32 v9, 31, v8
	v_readlane_b32 s79, v92, 13
	v_addc_co_u32_e32 v7, vcc, v73, v7, vcc
	v_lshlrev_b64 v[8:9], 2, v[8:9]
	v_add_u32_e32 v10, s79, v70
	v_add_co_u32_e32 v8, vcc, s0, v8
	v_ashrrev_i32_e32 v11, 31, v10
	v_readlane_b32 s79, v92, 14
	v_addc_co_u32_e32 v9, vcc, v73, v9, vcc
	v_lshlrev_b64 v[10:11], 2, v[10:11]
	v_add_u32_e32 v12, s79, v70
	v_add_co_u32_e32 v10, vcc, s0, v10
	v_ashrrev_i32_e32 v13, 31, v12
	v_addc_co_u32_e32 v11, vcc, v73, v11, vcc
	v_lshlrev_b64 v[12:13], 2, v[12:13]
	v_add_u32_e32 v14, s67, v70
	v_add_co_u32_e32 v12, vcc, s0, v12
	v_ashrrev_i32_e32 v15, 31, v14
	v_readlane_b32 s79, v92, 15
	v_addc_co_u32_e32 v13, vcc, v73, v13, vcc
	v_lshlrev_b64 v[14:15], 2, v[14:15]
	v_add_u32_e32 v16, s79, v70
	v_add_co_u32_e32 v14, vcc, s0, v14
	v_ashrrev_i32_e32 v17, 31, v16
	v_addc_co_u32_e32 v15, vcc, v73, v15, vcc
	v_lshlrev_b64 v[16:17], 2, v[16:17]
	v_add_co_u32_e32 v16, vcc, s0, v16
	v_readlane_b32 s79, v92, 16
	v_addc_co_u32_e32 v17, vcc, v73, v17, vcc
	global_load_dword v20, v[2:3], off
	global_load_dword v21, v[4:5], off
	;; [unrolled: 1-line block ×6, first 2 shown]
	s_nop 0
	global_load_dword v14, v[14:15], off
	s_nop 0
	global_load_dword v15, v[16:17], off
	v_add_u32_e32 v2, s79, v70
	v_ashrrev_i32_e32 v3, 31, v2
	v_readlane_b32 s79, v92, 17
	v_lshlrev_b64 v[2:3], 2, v[2:3]
	v_add_u32_e32 v4, s79, v70
	v_add_co_u32_e32 v2, vcc, s0, v2
	v_ashrrev_i32_e32 v5, 31, v4
	v_readlane_b32 s79, v92, 18
	v_addc_co_u32_e32 v3, vcc, v73, v3, vcc
	v_lshlrev_b64 v[4:5], 2, v[4:5]
	v_add_u32_e32 v6, s79, v70
	v_add_co_u32_e32 v4, vcc, s0, v4
	v_ashrrev_i32_e32 v7, 31, v6
	v_readlane_b32 s79, v92, 19
	v_addc_co_u32_e32 v5, vcc, v73, v5, vcc
	;; [unrolled: 6-line block ×4, first 2 shown]
	v_lshlrev_b64 v[10:11], 2, v[10:11]
	v_add_u32_e32 v12, s79, v70
	v_add_co_u32_e32 v10, vcc, s0, v10
	v_ashrrev_i32_e32 v13, 31, v12
	v_addc_co_u32_e32 v11, vcc, v73, v11, vcc
	v_lshlrev_b64 v[12:13], 2, v[12:13]
	v_add_co_u32_e32 v12, vcc, s0, v12
	v_addc_co_u32_e32 v13, vcc, v73, v13, vcc
	global_load_dword v16, v[2:3], off
	global_load_dword v17, v[4:5], off
	s_nop 0
	global_load_dword v6, v[6:7], off
	s_nop 0
	;; [unrolled: 2-line block ×4, first 2 shown]
	global_load_dword v11, v[12:13], off
	v_add_u32_e32 v2, s75, v70
	v_ashrrev_i32_e32 v3, 31, v2
	v_readlane_b32 s79, v92, 22
	v_lshlrev_b64 v[2:3], 2, v[2:3]
	v_add_u32_e32 v4, s79, v70
	v_add_co_u32_e32 v2, vcc, s0, v2
	v_ashrrev_i32_e32 v5, 31, v4
	v_addc_co_u32_e32 v3, vcc, v73, v3, vcc
	v_lshlrev_b64 v[4:5], 2, v[4:5]
	s_waitcnt vmcnt(15)
	ds_write_b32 v71, v18
	s_waitcnt vmcnt(14)
	ds_write_b32 v71, v19 offset:264
	s_waitcnt vmcnt(13)
	ds_write_b32 v71, v20 offset:528
	;; [unrolled: 2-line block ×9, first 2 shown]
	v_add_co_u32_e32 v4, vcc, s0, v4
	v_readlane_b32 s79, v92, 23
	v_addc_co_u32_e32 v5, vcc, v73, v5, vcc
	global_load_dword v8, v[2:3], off
	global_load_dword v9, v[4:5], off
	v_add_u32_e32 v2, s79, v70
	v_ashrrev_i32_e32 v3, 31, v2
	v_readlane_b32 s79, v92, 24
	v_lshlrev_b64 v[2:3], 2, v[2:3]
	v_add_u32_e32 v4, s79, v70
	v_add_co_u32_e32 v2, vcc, s0, v2
	v_ashrrev_i32_e32 v5, 31, v4
	v_readlane_b32 s79, v92, 25
	s_waitcnt vmcnt(7)
	ds_write_b32 v71, v16 offset:2640
	s_waitcnt vmcnt(6)
	ds_write_b32 v71, v17 offset:2904
	;; [unrolled: 2-line block ×6, first 2 shown]
	v_addc_co_u32_e32 v3, vcc, v73, v3, vcc
	v_lshlrev_b64 v[4:5], 2, v[4:5]
	v_add_u32_e32 v6, s79, v70
	v_add_co_u32_e32 v4, vcc, s0, v4
	v_ashrrev_i32_e32 v7, 31, v6
	v_addc_co_u32_e32 v5, vcc, v73, v5, vcc
	v_lshlrev_b64 v[6:7], 2, v[6:7]
	v_add_u32_e32 v10, s80, v70
	v_add_co_u32_e32 v6, vcc, s0, v6
	v_ashrrev_i32_e32 v11, 31, v10
	v_addc_co_u32_e32 v7, vcc, v73, v7, vcc
	v_lshlrev_b64 v[10:11], 2, v[10:11]
	v_add_u32_e32 v12, s81, v70
	v_add_co_u32_e32 v10, vcc, s0, v10
	v_ashrrev_i32_e32 v13, 31, v12
	v_addc_co_u32_e32 v11, vcc, v73, v11, vcc
	v_lshlrev_b64 v[12:13], 2, v[12:13]
	v_add_u32_e32 v14, s82, v70
	v_add_co_u32_e32 v12, vcc, s0, v12
	v_ashrrev_i32_e32 v15, 31, v14
	v_addc_co_u32_e32 v13, vcc, v73, v13, vcc
	v_lshlrev_b64 v[14:15], 2, v[14:15]
	v_add_u32_e32 v16, s83, v70
	v_add_co_u32_e32 v14, vcc, s0, v14
	v_ashrrev_i32_e32 v17, 31, v16
	v_addc_co_u32_e32 v15, vcc, v73, v15, vcc
	v_lshlrev_b64 v[16:17], 2, v[16:17]
	v_add_u32_e32 v18, s84, v70
	v_add_co_u32_e32 v16, vcc, s0, v16
	v_ashrrev_i32_e32 v19, 31, v18
	v_addc_co_u32_e32 v17, vcc, v73, v17, vcc
	v_lshlrev_b64 v[18:19], 2, v[18:19]
	v_add_co_u32_e32 v18, vcc, s0, v18
	v_addc_co_u32_e32 v19, vcc, v73, v19, vcc
	global_load_dword v22, v[2:3], off
	global_load_dword v23, v[4:5], off
	global_load_dword v24, v[6:7], off
	global_load_dword v25, v[10:11], off
	global_load_dword v26, v[12:13], off
	global_load_dword v27, v[14:15], off
	global_load_dword v30, v[16:17], off
	global_load_dword v31, v[18:19], off
	v_add_u32_e32 v2, s85, v70
	v_ashrrev_i32_e32 v3, 31, v2
	v_lshlrev_b64 v[2:3], 2, v[2:3]
	v_add_u32_e32 v4, s86, v70
	v_add_co_u32_e32 v2, vcc, s0, v2
	v_ashrrev_i32_e32 v5, 31, v4
	v_addc_co_u32_e32 v3, vcc, v73, v3, vcc
	v_lshlrev_b64 v[4:5], 2, v[4:5]
	v_add_u32_e32 v6, s87, v70
	v_add_co_u32_e32 v4, vcc, s0, v4
	v_ashrrev_i32_e32 v7, 31, v6
	v_addc_co_u32_e32 v5, vcc, v73, v5, vcc
	v_lshlrev_b64 v[6:7], 2, v[6:7]
	v_add_u32_e32 v10, s88, v70
	v_add_co_u32_e32 v6, vcc, s0, v6
	v_ashrrev_i32_e32 v11, 31, v10
	v_addc_co_u32_e32 v7, vcc, v73, v7, vcc
	v_lshlrev_b64 v[10:11], 2, v[10:11]
	v_add_u32_e32 v12, s89, v70
	v_add_co_u32_e32 v10, vcc, s0, v10
	v_ashrrev_i32_e32 v13, 31, v12
	v_addc_co_u32_e32 v11, vcc, v73, v11, vcc
	v_lshlrev_b64 v[12:13], 2, v[12:13]
	v_add_u32_e32 v14, s61, v70
	v_add_co_u32_e32 v12, vcc, s0, v12
	v_ashrrev_i32_e32 v15, 31, v14
	v_addc_co_u32_e32 v13, vcc, v73, v13, vcc
	v_lshlrev_b64 v[14:15], 2, v[14:15]
	v_add_u32_e32 v16, s90, v70
	v_add_co_u32_e32 v14, vcc, s0, v14
	v_ashrrev_i32_e32 v17, 31, v16
	v_addc_co_u32_e32 v15, vcc, v73, v15, vcc
	v_lshlrev_b64 v[16:17], 2, v[16:17]
	v_add_u32_e32 v18, s91, v70
	v_add_co_u32_e32 v16, vcc, s0, v16
	v_ashrrev_i32_e32 v19, 31, v18
	v_addc_co_u32_e32 v17, vcc, v73, v17, vcc
	v_lshlrev_b64 v[18:19], 2, v[18:19]
	v_add_co_u32_e32 v18, vcc, s0, v18
	v_addc_co_u32_e32 v19, vcc, v73, v19, vcc
	global_load_dword v32, v[2:3], off
	global_load_dword v33, v[4:5], off
	global_load_dword v34, v[6:7], off
	global_load_dword v35, v[10:11], off
	global_load_dword v36, v[12:13], off
	global_load_dword v37, v[14:15], off
	global_load_dword v40, v[16:17], off
	global_load_dword v41, v[18:19], off
	v_add_u32_e32 v2, s92, v70
	v_ashrrev_i32_e32 v3, 31, v2
	v_lshlrev_b64 v[2:3], 2, v[2:3]
	v_add_u32_e32 v4, s93, v70
	v_add_co_u32_e32 v2, vcc, s0, v2
	v_ashrrev_i32_e32 v5, 31, v4
	;; [unrolled: 48-line block ×5, first 2 shown]
	v_addc_co_u32_e32 v3, vcc, v73, v3, vcc
	v_lshlrev_b64 v[4:5], 2, v[4:5]
	v_add_u32_e32 v6, s76, v70
	v_add_co_u32_e32 v4, vcc, s0, v4
	v_ashrrev_i32_e32 v7, 31, v6
	v_addc_co_u32_e32 v5, vcc, v73, v5, vcc
	v_lshlrev_b64 v[6:7], 2, v[6:7]
	v_add_u32_e32 v10, s77, v70
	v_add_co_u32_e32 v6, vcc, s0, v6
	v_ashrrev_i32_e32 v11, 31, v10
	;; [unrolled: 5-line block ×3, first 2 shown]
	v_addc_co_u32_e32 v11, vcc, v73, v11, vcc
	v_lshlrev_b64 v[12:13], 2, v[12:13]
	v_add_co_u32_e32 v14, vcc, s0, v12
	v_add_u32_e32 v12, s15, v70
	v_addc_co_u32_e32 v15, vcc, v73, v13, vcc
	v_ashrrev_i32_e32 v13, 31, v12
	v_lshlrev_b64 v[12:13], 2, v[12:13]
	v_add_co_u32_e32 v18, vcc, s0, v12
	v_addc_co_u32_e32 v19, vcc, v73, v13, vcc
	ds_read_b64 v[28:29], v72
	ds_read_b64 v[20:21], v72 offset:32
	ds_read_b64 v[16:17], v72 offset:64
	;; [unrolled: 1-line block ×3, first 2 shown]
	global_load_dword v78, v[2:3], off
	global_load_dword v79, v[4:5], off
	;; [unrolled: 1-line block ×6, first 2 shown]
	ds_read_b64 v[10:11], v72 offset:128
	ds_read_b64 v[6:7], v72 offset:160
	ds_read_b64 v[4:5], v72 offset:192
	ds_read_b64 v[2:3], v72 offset:224
	s_waitcnt vmcnt(47)
	ds_write_b32 v71, v8
	s_waitcnt vmcnt(46)
	ds_write_b32 v71, v9 offset:264
	s_waitcnt vmcnt(45)
	ds_write_b32 v71, v22 offset:528
	s_waitcnt vmcnt(44)
	ds_write_b32 v71, v23 offset:792
	s_waitcnt vmcnt(43)
	ds_write_b32 v71, v24 offset:1056
	s_waitcnt vmcnt(42)
	ds_write_b32 v71, v25 offset:1320
	s_waitcnt vmcnt(41)
	ds_write_b32 v71, v26 offset:1584
	s_waitcnt vmcnt(40)
	ds_write_b32 v71, v27 offset:1848
	s_waitcnt vmcnt(39)
	ds_write_b32 v71, v30 offset:2112
	s_waitcnt vmcnt(38)
	ds_write_b32 v71, v31 offset:2376
	s_waitcnt vmcnt(37)
	ds_write_b32 v71, v32 offset:2640
	s_waitcnt vmcnt(36)
	ds_write_b32 v71, v33 offset:2904
	s_waitcnt vmcnt(35)
	ds_write_b32 v71, v34 offset:3168
	s_waitcnt vmcnt(34)
	ds_write_b32 v71, v35 offset:3432
	s_waitcnt vmcnt(33)
	ds_write_b32 v71, v36 offset:3696
	s_waitcnt vmcnt(32)
	ds_write_b32 v71, v37 offset:3960
	ds_read_b64 v[44:45], v72
	ds_read_b64 v[38:39], v72 offset:32
	ds_read_b64 v[34:35], v72 offset:64
	ds_read_b64 v[30:31], v72 offset:96
	ds_read_b64 v[24:25], v72 offset:128
	ds_read_b64 v[18:19], v72 offset:160
	ds_read_b64 v[14:15], v72 offset:192
	ds_read_b64 v[8:9], v72 offset:224
	s_waitcnt vmcnt(31)
	ds_write_b32 v71, v40
	s_waitcnt vmcnt(30)
	ds_write_b32 v71, v41 offset:264
	s_waitcnt vmcnt(29)
	ds_write_b32 v71, v42 offset:528
	s_waitcnt vmcnt(28)
	ds_write_b32 v71, v43 offset:792
	s_waitcnt vmcnt(27)
	ds_write_b32 v71, v46 offset:1056
	s_waitcnt vmcnt(26)
	ds_write_b32 v71, v47 offset:1320
	s_waitcnt vmcnt(25)
	ds_write_b32 v71, v48 offset:1584
	s_waitcnt vmcnt(24)
	ds_write_b32 v71, v49 offset:1848
	s_waitcnt vmcnt(23)
	ds_write_b32 v71, v50 offset:2112
	s_waitcnt vmcnt(22)
	ds_write_b32 v71, v51 offset:2376
	s_waitcnt vmcnt(21)
	ds_write_b32 v71, v52 offset:2640
	s_waitcnt vmcnt(20)
	ds_write_b32 v71, v53 offset:2904
	s_waitcnt vmcnt(19)
	ds_write_b32 v71, v54 offset:3168
	s_waitcnt vmcnt(18)
	ds_write_b32 v71, v55 offset:3432
	s_waitcnt vmcnt(17)
	ds_write_b32 v71, v56 offset:3696
	s_waitcnt vmcnt(16)
	ds_write_b32 v71, v57 offset:3960
	ds_read_b64 v[52:53], v72
	ds_read_b64 v[48:49], v72 offset:32
	ds_read_b64 v[46:47], v72 offset:64
	ds_read_b64 v[42:43], v72 offset:96
	;; [unrolled: 40-line block ×3, first 2 shown]
	ds_read_b64 v[56:57], v72 offset:128
	ds_read_b64 v[54:55], v72 offset:160
	;; [unrolled: 1-line block ×4, first 2 shown]
	s_andn2_b64 vcc, exec, s[4:5]
	v_mov_b32_e32 v76, 0
	s_cbranch_vccnz .LBB78_9
; %bb.7:                                ;   in Loop: Header=BB78_6 Depth=1
	s_load_dword vcc_lo, s[34:35], 0x0
	v_mov_b32_e32 v76, 0
	s_waitcnt lgkmcnt(0)
	s_mul_hi_u32 vcc_hi, vcc_lo, s16
	s_add_i32 vcc_hi, vcc_lo, vcc_hi
	s_lshr_b32 s79, vcc_hi, s17
	s_cmp_ge_i32 s79, s13
	s_cbranch_scc1 .LBB78_9
; %bb.8:                                ;   in Loop: Header=BB78_6 Depth=1
	s_mul_i32 vcc_hi, s79, s18
	s_sub_i32 vcc_lo, vcc_lo, vcc_hi
	s_mul_i32 vcc_lo, vcc_lo, s1
	s_mul_i32 s79, s79, s20
	s_add_i32 s79, s79, vcc_lo
	v_add_u32_e32 v76, s79, v70
	v_ashrrev_i32_e32 v77, 31, v76
	v_lshlrev_b64 v[76:77], 2, v[76:77]
	v_mov_b32_e32 v78, s11
	v_add_co_u32_e32 v76, vcc, s10, v76
	v_addc_co_u32_e32 v77, vcc, v78, v77, vcc
	global_load_dword v76, v[76:77], off
.LBB78_9:                               ;   in Loop: Header=BB78_6 Depth=1
	s_andn2_b64 vcc, exec, s[36:37]
	v_mov_b32_e32 v77, 0
	v_mov_b32_e32 v78, 0
	s_cbranch_vccnz .LBB78_12
; %bb.10:                               ;   in Loop: Header=BB78_6 Depth=1
	s_load_dword vcc_lo, s[34:35], 0x4
	v_mov_b32_e32 v78, 0
	s_waitcnt lgkmcnt(0)
	s_mul_hi_u32 s79, vcc_lo, s16
	s_add_i32 s79, vcc_lo, s79
	s_lshr_b32 vcc_hi, s79, s17
	s_cmp_ge_i32 vcc_hi, s13
	s_cbranch_scc1 .LBB78_12
; %bb.11:                               ;   in Loop: Header=BB78_6 Depth=1
	s_mul_i32 s79, vcc_hi, s18
	s_sub_i32 s79, vcc_lo, s79
	s_mul_i32 s79, s79, s1
	s_mul_i32 vcc_lo, vcc_hi, s20
	s_add_i32 vcc_lo, vcc_lo, s79
	v_add_u32_e32 v78, vcc_lo, v70
	v_ashrrev_i32_e32 v79, 31, v78
	v_lshlrev_b64 v[78:79], 2, v[78:79]
	v_mov_b32_e32 v80, s11
	v_add_co_u32_e32 v78, vcc, s10, v78
	v_addc_co_u32_e32 v79, vcc, v80, v79, vcc
	global_load_dword v78, v[78:79], off
.LBB78_12:                              ;   in Loop: Header=BB78_6 Depth=1
	s_andn2_b64 vcc, exec, s[38:39]
	s_cbranch_vccnz .LBB78_15
; %bb.13:                               ;   in Loop: Header=BB78_6 Depth=1
	s_load_dword vcc_lo, s[34:35], 0x8
	v_mov_b32_e32 v77, 0
	s_waitcnt lgkmcnt(0)
	s_mul_hi_u32 s79, vcc_lo, s16
	s_add_i32 s79, vcc_lo, s79
	s_lshr_b32 vcc_hi, s79, s17
	s_cmp_ge_i32 vcc_hi, s13
	s_cbranch_scc1 .LBB78_15
; %bb.14:                               ;   in Loop: Header=BB78_6 Depth=1
	s_mul_i32 s79, vcc_hi, s18
	s_sub_i32 s79, vcc_lo, s79
	s_mul_i32 s79, s79, s1
	s_mul_i32 vcc_lo, vcc_hi, s20
	s_add_i32 vcc_lo, vcc_lo, s79
	v_add_u32_e32 v80, vcc_lo, v70
	v_ashrrev_i32_e32 v81, 31, v80
	v_lshlrev_b64 v[80:81], 2, v[80:81]
	v_mov_b32_e32 v77, s11
	v_add_co_u32_e32 v80, vcc, s10, v80
	v_addc_co_u32_e32 v81, vcc, v77, v81, vcc
	global_load_dword v77, v[80:81], off
.LBB78_15:                              ;   in Loop: Header=BB78_6 Depth=1
	s_andn2_b64 vcc, exec, s[40:41]
	v_mov_b32_e32 v79, 0
	v_mov_b32_e32 v80, 0
	s_cbranch_vccnz .LBB78_18
; %bb.16:                               ;   in Loop: Header=BB78_6 Depth=1
	s_load_dword vcc_lo, s[34:35], 0xc
	v_mov_b32_e32 v80, 0
	s_waitcnt lgkmcnt(0)
	s_mul_hi_u32 s79, vcc_lo, s16
	s_add_i32 s79, vcc_lo, s79
	s_lshr_b32 vcc_hi, s79, s17
	s_cmp_ge_i32 vcc_hi, s13
	s_cbranch_scc1 .LBB78_18
; %bb.17:                               ;   in Loop: Header=BB78_6 Depth=1
	s_mul_i32 s79, vcc_hi, s18
	s_sub_i32 s79, vcc_lo, s79
	s_mul_i32 s79, s79, s1
	s_mul_i32 vcc_lo, vcc_hi, s20
	s_add_i32 vcc_lo, vcc_lo, s79
	v_add_u32_e32 v80, vcc_lo, v70
	v_ashrrev_i32_e32 v81, 31, v80
	v_lshlrev_b64 v[80:81], 2, v[80:81]
	v_mov_b32_e32 v82, s11
	v_add_co_u32_e32 v80, vcc, s10, v80
	v_addc_co_u32_e32 v81, vcc, v82, v81, vcc
	global_load_dword v80, v[80:81], off
.LBB78_18:                              ;   in Loop: Header=BB78_6 Depth=1
	s_andn2_b64 vcc, exec, s[42:43]
	s_cbranch_vccnz .LBB78_21
; %bb.19:                               ;   in Loop: Header=BB78_6 Depth=1
	s_load_dword vcc_lo, s[34:35], 0x10
	v_mov_b32_e32 v79, 0
	s_waitcnt lgkmcnt(0)
	s_mul_hi_u32 s79, vcc_lo, s16
	s_add_i32 s79, vcc_lo, s79
	s_lshr_b32 vcc_hi, s79, s17
	s_cmp_ge_i32 vcc_hi, s13
	s_cbranch_scc1 .LBB78_21
; %bb.20:                               ;   in Loop: Header=BB78_6 Depth=1
	s_mul_i32 s79, vcc_hi, s18
	s_sub_i32 s79, vcc_lo, s79
	s_mul_i32 s79, s79, s1
	s_mul_i32 vcc_lo, vcc_hi, s20
	s_add_i32 vcc_lo, vcc_lo, s79
	v_add_u32_e32 v82, vcc_lo, v70
	v_ashrrev_i32_e32 v83, 31, v82
	v_lshlrev_b64 v[82:83], 2, v[82:83]
	v_mov_b32_e32 v79, s11
	v_add_co_u32_e32 v82, vcc, s10, v82
	v_addc_co_u32_e32 v83, vcc, v79, v83, vcc
	global_load_dword v79, v[82:83], off
.LBB78_21:                              ;   in Loop: Header=BB78_6 Depth=1
	;; [unrolled: 52-line block ×5, first 2 shown]
	s_andn2_b64 vcc, exec, s[56:57]
	v_mov_b32_e32 v87, 0
	v_mov_b32_e32 v88, 0
	s_cbranch_vccnz .LBB78_42
; %bb.40:                               ;   in Loop: Header=BB78_6 Depth=1
	s_load_dword vcc_lo, s[34:35], 0x2c
	v_mov_b32_e32 v88, 0
	s_waitcnt lgkmcnt(0)
	s_mul_hi_u32 s79, vcc_lo, s16
	s_add_i32 s79, vcc_lo, s79
	s_lshr_b32 vcc_hi, s79, s17
	s_cmp_ge_i32 vcc_hi, s13
	s_cbranch_scc1 .LBB78_42
; %bb.41:                               ;   in Loop: Header=BB78_6 Depth=1
	s_mul_i32 s79, vcc_hi, s18
	s_sub_i32 s79, vcc_lo, s79
	s_mul_i32 s79, s79, s1
	s_mul_i32 vcc_lo, vcc_hi, s20
	s_add_i32 vcc_lo, vcc_lo, s79
	v_add_u32_e32 v88, vcc_lo, v70
	v_ashrrev_i32_e32 v89, 31, v88
	v_lshlrev_b64 v[88:89], 2, v[88:89]
	v_mov_b32_e32 v90, s11
	v_add_co_u32_e32 v88, vcc, s10, v88
	v_addc_co_u32_e32 v89, vcc, v90, v89, vcc
	global_load_dword v88, v[88:89], off
.LBB78_42:                              ;   in Loop: Header=BB78_6 Depth=1
	s_andn2_b64 vcc, exec, s[58:59]
	s_cbranch_vccnz .LBB78_5
; %bb.43:                               ;   in Loop: Header=BB78_6 Depth=1
	s_load_dword vcc_lo, s[34:35], 0x30
	v_mov_b32_e32 v87, 0
	s_waitcnt lgkmcnt(0)
	s_mul_hi_u32 s79, vcc_lo, s16
	s_add_i32 s79, vcc_lo, s79
	s_lshr_b32 vcc_hi, s79, s17
	s_cmp_ge_i32 vcc_hi, s13
	s_cbranch_scc1 .LBB78_5
; %bb.44:                               ;   in Loop: Header=BB78_6 Depth=1
	s_mul_i32 s79, vcc_hi, s18
	s_sub_i32 s79, vcc_lo, s79
	s_mul_i32 s79, s79, s1
	s_mul_i32 vcc_lo, vcc_hi, s20
	s_add_i32 vcc_lo, vcc_lo, s79
	v_add_u32_e32 v90, vcc_lo, v70
	v_ashrrev_i32_e32 v91, 31, v90
	v_lshlrev_b64 v[90:91], 2, v[90:91]
	v_mov_b32_e32 v87, s11
	v_add_co_u32_e32 v90, vcc, s10, v90
	v_addc_co_u32_e32 v91, vcc, v87, v91, vcc
	global_load_dword v87, v[90:91], off
	s_branch .LBB78_5
.LBB78_45:
	s_or_b64 exec, exec, s[8:9]
	v_readlane_b32 s24, v92, 6
	v_readlane_b32 s26, v92, 9
	;; [unrolled: 1-line block ×5, first 2 shown]
.LBB78_46:
	v_readlane_b32 s0, v92, 4
	v_readlane_b32 s1, v92, 5
	s_or_b64 exec, exec, s[0:1]
	s_lshl_b64 s[0:1], s[26:27], 2
	v_readlane_b32 s4, v92, 0
	v_mul_u32_u24_e32 v0, 0x208, v69
	v_lshlrev_b32_e32 v1, 2, v68
	v_or_b32_e32 v2, 12, v67
	v_readlane_b32 s5, v92, 1
	s_add_u32 s3, s4, s0
	v_add3_u32 v0, 0, v0, v1
	v_and_b32_e32 v1, 0x3f0, v67
	v_and_b32_e32 v2, 0x3fc, v2
	s_addc_u32 s8, s5, s1
	v_add_u32_e32 v1, v0, v1
	v_add_u32_e32 v0, v0, v2
	s_barrier
	ds_write2_b32 v1, a0, a1 offset1:1
	ds_write_b32 v1, a2 offset:8
	ds_write_b32 v0, a3
	ds_write2_b32 v1, a4, a5 offset0:16 offset1:17
	ds_write_b32 v1, a6 offset:72
	ds_write_b32 v0, a7 offset:64
	ds_write2_b32 v1, a8, a9 offset0:32 offset1:33
	ds_write_b32 v1, a10 offset:136
	ds_write_b32 v0, a11 offset:128
	;; [unrolled: 3-line block ×3, first 2 shown]
	s_cmp_gt_i32 s14, 0
	v_add_u32_e32 v0, s6, v66
	s_cselect_b64 s[4:5], -1, 0
	v_cmp_gt_i32_e64 s[0:1], s33, v0
	v_cmp_gt_u32_e32 vcc, 13, v66
	s_and_b64 s[0:1], s[4:5], s[0:1]
	v_lshl_add_u32 v5, v67, 2, 0
	v_add_u32_e32 v4, s7, v67
	v_mul_u32_u24_e32 v6, 0x208, v66
	s_and_b64 s[10:11], vcc, s[0:1]
	s_waitcnt lgkmcnt(0)
	s_barrier
	s_and_saveexec_b64 s[0:1], s[10:11]
	v_readlane_b32 s14, v92, 2
	v_readlane_b32 s15, v92, 3
	s_cbranch_execz .LBB78_49
; %bb.47:
	v_ashrrev_i32_e32 v1, 31, v0
	v_lshlrev_b64 v[2:3], 2, v[0:1]
	v_mov_b32_e32 v1, s8
	v_add_co_u32_e32 v2, vcc, s3, v2
	v_addc_co_u32_e32 v3, vcc, v1, v3, vcc
	global_load_dword v1, v[2:3], off
	s_waitcnt vmcnt(0)
	v_mul_hi_u32 v2, v1, s19
	v_add_u32_e32 v2, v1, v2
	v_lshrrev_b32_e32 v2, s24, v2
	v_cmp_gt_i32_e32 vcc, s13, v2
	s_and_b64 exec, exec, vcc
	s_cbranch_execz .LBB78_49
; %bb.48:
	v_add_u32_e32 v3, v5, v6
	ds_read2st64_b32 v[8:9], v3 offset1:1
	v_mul_lo_u32 v3, v2, s25
	v_sub_u32_e32 v1, v1, v3
	v_mul_lo_u32 v2, v2, s21
	v_mul_lo_u32 v1, v1, s2
	s_waitcnt lgkmcnt(0)
	v_add_f32_e32 v3, 0, v8
	v_add_f32_e32 v7, v3, v9
	v_add3_u32 v2, v4, v2, v1
	v_mov_b32_e32 v3, 0
	v_lshlrev_b64 v[2:3], 2, v[2:3]
	v_mov_b32_e32 v1, s15
	v_add_co_u32_e32 v2, vcc, s14, v2
	v_addc_co_u32_e32 v3, vcc, v1, v3, vcc
	global_store_dword v[2:3], v7, off
.LBB78_49:
	s_or_b64 exec, exec, s[0:1]
	v_add_u32_e32 v1, 2, v0
	v_cmp_gt_i32_e64 s[0:1], s33, v1
	v_cmp_gt_u32_e32 vcc, 11, v66
	s_and_b64 s[0:1], s[4:5], s[0:1]
	s_and_b64 s[10:11], vcc, s[0:1]
	s_and_saveexec_b64 s[0:1], s[10:11]
	s_cbranch_execz .LBB78_52
; %bb.50:
	s_ashr_i32 s7, s6, 31
	v_mov_b32_e32 v1, s7
	v_add_co_u32_e32 v2, vcc, s6, v66
	v_addc_co_u32_e32 v3, vcc, 0, v1, vcc
	v_lshlrev_b64 v[2:3], 2, v[2:3]
	v_mov_b32_e32 v1, s8
	v_add_co_u32_e32 v2, vcc, s3, v2
	v_addc_co_u32_e32 v3, vcc, v1, v3, vcc
	global_load_dword v1, v[2:3], off offset:8
	v_mov_b32_e32 v3, 0
	s_waitcnt vmcnt(0)
	v_mul_hi_u32 v2, v1, s19
	v_add_u32_e32 v2, v1, v2
	v_lshrrev_b32_e32 v2, s24, v2
	v_cmp_gt_i32_e32 vcc, s13, v2
	s_and_b64 exec, exec, vcc
	s_cbranch_execz .LBB78_52
; %bb.51:
	v_add_u32_e32 v7, v6, v5
	v_add_u32_e32 v7, 16, v7
	ds_read2st64_b32 v[8:9], v7 offset0:4 offset1:5
	v_mul_lo_u32 v7, v2, s25
	v_sub_u32_e32 v1, v1, v7
	v_mul_lo_u32 v2, v2, s21
	v_mul_lo_u32 v1, v1, s2
	v_add3_u32 v2, v4, v2, v1
	v_lshlrev_b64 v[2:3], 2, v[2:3]
	s_waitcnt lgkmcnt(0)
	v_add_f32_e32 v7, 0, v8
	v_mov_b32_e32 v1, s15
	v_add_co_u32_e32 v2, vcc, s14, v2
	v_add_f32_e32 v7, v7, v9
	v_addc_co_u32_e32 v3, vcc, v1, v3, vcc
	global_store_dword v[2:3], v7, off
.LBB78_52:
	s_or_b64 exec, exec, s[0:1]
	v_add_u32_e32 v1, 4, v0
	v_cmp_gt_i32_e64 s[0:1], s33, v1
	v_cmp_gt_u32_e32 vcc, 9, v66
	s_and_b64 s[0:1], s[4:5], s[0:1]
	s_and_b64 s[10:11], vcc, s[0:1]
	s_and_saveexec_b64 s[0:1], s[10:11]
	s_cbranch_execz .LBB78_55
; %bb.53:
	s_ashr_i32 s7, s6, 31
	v_mov_b32_e32 v1, s7
	v_add_co_u32_e32 v2, vcc, s6, v66
	v_addc_co_u32_e32 v3, vcc, 0, v1, vcc
	v_lshlrev_b64 v[2:3], 2, v[2:3]
	v_mov_b32_e32 v1, s8
	v_add_co_u32_e32 v2, vcc, s3, v2
	v_addc_co_u32_e32 v3, vcc, v1, v3, vcc
	global_load_dword v1, v[2:3], off offset:16
	v_mov_b32_e32 v3, 0
	s_waitcnt vmcnt(0)
	v_mul_hi_u32 v2, v1, s19
	v_add_u32_e32 v2, v1, v2
	v_lshrrev_b32_e32 v2, s24, v2
	v_cmp_gt_i32_e32 vcc, s13, v2
	s_and_b64 exec, exec, vcc
	s_cbranch_execz .LBB78_55
; %bb.54:
	v_add_u32_e32 v7, v5, v6
	v_add_u32_e32 v7, 32, v7
	ds_read2st64_b32 v[8:9], v7 offset0:8 offset1:9
	v_mul_lo_u32 v7, v2, s25
	v_sub_u32_e32 v1, v1, v7
	v_mul_lo_u32 v2, v2, s21
	v_mul_lo_u32 v1, v1, s2
	v_add3_u32 v2, v4, v2, v1
	v_lshlrev_b64 v[2:3], 2, v[2:3]
	s_waitcnt lgkmcnt(0)
	v_add_f32_e32 v7, 0, v8
	v_mov_b32_e32 v1, s15
	v_add_co_u32_e32 v2, vcc, s14, v2
	v_add_f32_e32 v7, v7, v9
	v_addc_co_u32_e32 v3, vcc, v1, v3, vcc
	global_store_dword v[2:3], v7, off
.LBB78_55:
	;; [unrolled: 44-line block ×5, first 2 shown]
	s_or_b64 exec, exec, s[0:1]
	v_cmp_eq_u32_e32 vcc, 0, v66
	s_and_saveexec_b64 s[0:1], vcc
	s_cbranch_execz .LBB78_68
; %bb.65:
	s_add_i32 s0, s6, 12
	s_cmp_ge_i32 s0, s33
	s_cselect_b64 s[0:1], -1, 0
	s_xor_b64 s[4:5], s[4:5], -1
	s_or_b64 s[0:1], s[4:5], s[0:1]
	s_and_b64 vcc, exec, s[0:1]
	s_cbranch_vccnz .LBB78_68
; %bb.66:
	s_ashr_i32 s7, s6, 31
	s_lshl_b64 s[0:1], s[6:7], 2
	s_add_u32 s0, s3, s0
	s_addc_u32 s1, s8, s1
	s_load_dword s0, s[0:1], 0x30
	s_waitcnt lgkmcnt(0)
	s_mul_hi_u32 s1, s0, s19
	s_add_i32 s1, s0, s1
	s_lshr_b32 s1, s1, s24
	s_cmp_ge_i32 s1, s13
	s_cbranch_scc1 .LBB78_68
; %bb.67:
	v_add_u32_e32 v0, 0x60, v5
	ds_read2st64_b32 v[0:1], v0 offset0:24 offset1:25
	s_mul_i32 s3, s1, s25
	s_sub_i32 s0, s0, s3
	s_mul_i32 s1, s1, s21
	s_mul_i32 s0, s0, s2
	s_waitcnt lgkmcnt(0)
	v_add_f32_e32 v0, 0, v0
	s_add_i32 s0, s0, s1
	v_add_f32_e32 v2, v0, v1
	v_add_u32_e32 v0, s0, v4
	v_mov_b32_e32 v1, 0
	v_lshlrev_b64 v[0:1], 2, v[0:1]
	v_mov_b32_e32 v3, s15
	v_add_co_u32_e32 v0, vcc, s14, v0
	v_addc_co_u32_e32 v1, vcc, v3, v1, vcc
	global_store_dword v[0:1], v2, off
.LBB78_68:
	s_endpgm
	.section	.rodata,"a",@progbits
	.p2align	6, 0x0
	.amdhsa_kernel _ZL13mul_mat_f_idsIfLi64ELi13ELi2EEvPKT_PKfPKiS6_S6_Pfiiiiiiiiiiiiii15HIP_vector_typeIjLj3EES9_
		.amdhsa_group_segment_fixed_size 0
		.amdhsa_private_segment_fixed_size 0
		.amdhsa_kernarg_size 128
		.amdhsa_user_sgpr_count 6
		.amdhsa_user_sgpr_private_segment_buffer 1
		.amdhsa_user_sgpr_dispatch_ptr 0
		.amdhsa_user_sgpr_queue_ptr 0
		.amdhsa_user_sgpr_kernarg_segment_ptr 1
		.amdhsa_user_sgpr_dispatch_id 0
		.amdhsa_user_sgpr_flat_scratch_init 0
		.amdhsa_user_sgpr_kernarg_preload_length 0
		.amdhsa_user_sgpr_kernarg_preload_offset 0
		.amdhsa_user_sgpr_private_segment_size 0
		.amdhsa_uses_dynamic_stack 0
		.amdhsa_system_sgpr_private_segment_wavefront_offset 0
		.amdhsa_system_sgpr_workgroup_id_x 1
		.amdhsa_system_sgpr_workgroup_id_y 1
		.amdhsa_system_sgpr_workgroup_id_z 1
		.amdhsa_system_sgpr_workgroup_info 0
		.amdhsa_system_vgpr_workitem_id 1
		.amdhsa_next_free_vgpr 112
		.amdhsa_next_free_sgpr 96
		.amdhsa_accum_offset 96
		.amdhsa_reserve_vcc 1
		.amdhsa_reserve_flat_scratch 0
		.amdhsa_float_round_mode_32 0
		.amdhsa_float_round_mode_16_64 0
		.amdhsa_float_denorm_mode_32 3
		.amdhsa_float_denorm_mode_16_64 3
		.amdhsa_dx10_clamp 1
		.amdhsa_ieee_mode 1
		.amdhsa_fp16_overflow 0
		.amdhsa_tg_split 0
		.amdhsa_exception_fp_ieee_invalid_op 0
		.amdhsa_exception_fp_denorm_src 0
		.amdhsa_exception_fp_ieee_div_zero 0
		.amdhsa_exception_fp_ieee_overflow 0
		.amdhsa_exception_fp_ieee_underflow 0
		.amdhsa_exception_fp_ieee_inexact 0
		.amdhsa_exception_int_div_zero 0
	.end_amdhsa_kernel
	.section	.text._ZL13mul_mat_f_idsIfLi64ELi13ELi2EEvPKT_PKfPKiS6_S6_Pfiiiiiiiiiiiiii15HIP_vector_typeIjLj3EES9_,"axG",@progbits,_ZL13mul_mat_f_idsIfLi64ELi13ELi2EEvPKT_PKfPKiS6_S6_Pfiiiiiiiiiiiiii15HIP_vector_typeIjLj3EES9_,comdat
.Lfunc_end78:
	.size	_ZL13mul_mat_f_idsIfLi64ELi13ELi2EEvPKT_PKfPKiS6_S6_Pfiiiiiiiiiiiiii15HIP_vector_typeIjLj3EES9_, .Lfunc_end78-_ZL13mul_mat_f_idsIfLi64ELi13ELi2EEvPKT_PKfPKiS6_S6_Pfiiiiiiiiiiiiii15HIP_vector_typeIjLj3EES9_
                                        ; -- End function
	.section	.AMDGPU.csdata,"",@progbits
; Kernel info:
; codeLenInByte = 8212
; NumSgprs: 100
; NumVgprs: 93
; NumAgprs: 16
; TotalNumVgprs: 112
; ScratchSize: 0
; MemoryBound: 0
; FloatMode: 240
; IeeeMode: 1
; LDSByteSize: 0 bytes/workgroup (compile time only)
; SGPRBlocks: 12
; VGPRBlocks: 13
; NumSGPRsForWavesPerEU: 100
; NumVGPRsForWavesPerEU: 112
; AccumOffset: 96
; Occupancy: 4
; WaveLimiterHint : 1
; COMPUTE_PGM_RSRC2:SCRATCH_EN: 0
; COMPUTE_PGM_RSRC2:USER_SGPR: 6
; COMPUTE_PGM_RSRC2:TRAP_HANDLER: 0
; COMPUTE_PGM_RSRC2:TGID_X_EN: 1
; COMPUTE_PGM_RSRC2:TGID_Y_EN: 1
; COMPUTE_PGM_RSRC2:TGID_Z_EN: 1
; COMPUTE_PGM_RSRC2:TIDIG_COMP_CNT: 1
; COMPUTE_PGM_RSRC3_GFX90A:ACCUM_OFFSET: 23
; COMPUTE_PGM_RSRC3_GFX90A:TG_SPLIT: 0
	.section	.text._ZL9mul_mat_fIfLi64ELi13ELi2ELb1EEvPKT_PKfPKiPfiiiiiiiiiiiiiiii,"axG",@progbits,_ZL9mul_mat_fIfLi64ELi13ELi2ELb1EEvPKT_PKfPKiPfiiiiiiiiiiiiiiii,comdat
	.globl	_ZL9mul_mat_fIfLi64ELi13ELi2ELb1EEvPKT_PKfPKiPfiiiiiiiiiiiiiiii ; -- Begin function _ZL9mul_mat_fIfLi64ELi13ELi2ELb1EEvPKT_PKfPKiPfiiiiiiiiiiiiiiii
	.p2align	8
	.type	_ZL9mul_mat_fIfLi64ELi13ELi2ELb1EEvPKT_PKfPKiPfiiiiiiiiiiiiiiii,@function
_ZL9mul_mat_fIfLi64ELi13ELi2ELb1EEvPKT_PKfPKiPfiiiiiiiiiiiiiiii: ; @_ZL9mul_mat_fIfLi64ELi13ELi2ELb1EEvPKT_PKfPKiPfiiiiiiiiiiiiiiii
; %bb.0:
	s_load_dwordx8 s[24:31], s[4:5], 0x20
	v_bfe_u32 v3, v0, 10, 10
	s_waitcnt lgkmcnt(0)
	s_add_i32 s0, s25, 12
	s_mul_hi_i32 s0, s0, 0x4ec4ec4f
	s_lshr_b32 s1, s0, 31
	s_ashr_i32 s0, s0, 2
	s_add_i32 s0, s0, s1
	v_cvt_f32_u32_e32 v1, s0
	s_load_dwordx4 s[36:39], s[4:5], 0x44
	s_load_dword s1, s[4:5], 0x64
	s_add_u32 s34, s4, 0x60
	s_addc_u32 s35, s5, 0
	v_rcp_iflag_f32_e32 v1, v1
	s_sub_i32 s2, 0, s0
	v_mul_f32_e32 v1, 0x4f7ffffe, v1
	v_cvt_u32_f32_e32 v1, v1
	v_readfirstlane_b32 s3, v1
	s_mul_i32 s2, s2, s3
	s_mul_hi_u32 s2, s3, s2
	s_add_i32 s3, s3, s2
	s_waitcnt lgkmcnt(0)
	s_mul_hi_u32 s2, s1, s3
	s_mul_i32 s3, s2, s0
	s_sub_i32 s1, s1, s3
	s_add_i32 s9, s2, 1
	s_sub_i32 s3, s1, s0
	s_cmp_ge_u32 s1, s0
	s_cselect_b32 s2, s9, s2
	s_cselect_b32 s1, s3, s1
	s_add_i32 s3, s2, 1
	s_cmp_ge_u32 s1, s0
	s_cselect_b32 s10, s3, s2
	v_cvt_f32_u32_e32 v1, s10
	s_abs_i32 s33, s39
	v_cvt_f32_u32_e32 v2, s33
	s_load_dwordx2 s[0:1], s[4:5], 0x10
	v_rcp_iflag_f32_e32 v1, v1
	s_sub_i32 s2, 0, s10
	v_rcp_iflag_f32_e32 v2, v2
	v_mul_f32_e32 v1, 0x4f7ffffe, v1
	v_cvt_u32_f32_e32 v1, v1
	v_mul_f32_e32 v2, 0x4f7ffffe, v2
	v_cvt_u32_f32_e32 v4, v2
	v_and_b32_e32 v2, 0x3ff, v0
	v_readfirstlane_b32 s3, v1
	s_mul_i32 s2, s2, s3
	s_mul_hi_u32 s2, s3, s2
	s_add_i32 s3, s3, s2
	v_readfirstlane_b32 s9, v4
	s_mul_hi_u32 s11, s7, s3
	v_cmp_eq_u32_e32 vcc, 0, v2
	s_and_saveexec_b64 s[2:3], vcc
	s_cbranch_execz .LBB79_2
; %bb.1:
	v_mov_b32_e32 v1, 0x100
	v_lshl_add_u32 v1, v3, 2, v1
	v_mov_b32_e32 v4, -1
	ds_write_b32 v1, v4
.LBB79_2:
	s_or_b64 exec, exec, s[2:3]
	s_mul_i32 s2, s11, s10
	s_sub_i32 s2, s7, s2
	s_add_i32 s3, s11, 1
	s_sub_i32 s12, s2, s10
	s_cmp_ge_u32 s2, s10
	s_cselect_b32 s3, s3, s11
	s_cselect_b32 s2, s12, s2
	s_add_i32 s11, s3, 1
	s_cmp_ge_u32 s2, s10
	s_cselect_b32 s2, s11, s3
	s_mul_i32 s3, s2, s10
	s_mul_i32 s60, s2, 13
	s_sub_i32 s7, s7, s3
	s_mul_hi_i32 s3, s60, s31
	s_mul_i32 s2, s60, s31
	s_lshl_b64 s[2:3], s[2:3], 2
	s_waitcnt lgkmcnt(0)
	s_add_u32 s0, s0, s2
	v_add_u32_e32 v1, s60, v3
	s_addc_u32 s1, s1, s3
	v_cmp_gt_i32_e64 s[16:17], s26, v2
	v_cmp_gt_i32_e64 s[48:49], s25, v1
	v_mov_b32_e32 v1, 0
	s_and_saveexec_b64 s[12:13], s[48:49]
	s_cbranch_execz .LBB79_10
; %bb.3:
	v_mov_b32_e32 v1, 0
	s_and_saveexec_b64 s[14:15], s[16:17]
	s_cbranch_execz .LBB79_9
; %bb.4:
	v_mul_lo_u32 v4, v3, s31
	v_ashrrev_i32_e32 v5, 31, v4
	v_lshlrev_b64 v[4:5], 2, v[4:5]
	v_mov_b32_e32 v1, s1
	v_add_co_u32_e64 v6, s[2:3], s0, v4
	v_addc_co_u32_e64 v7, s[2:3], v1, v5, s[2:3]
	v_mov_b32_e32 v1, 0x100
	v_lshl_add_u32 v8, v3, 2, v1
	v_mul_lo_u32 v4, v2, s30
	s_lshl_b32 s22, s30, 6
	s_mov_b64 s[18:19], 0
	v_mov_b32_e32 v1, 0
	v_mov_b32_e32 v9, v2
	s_branch .LBB79_6
.LBB79_5:                               ;   in Loop: Header=BB79_6 Depth=1
	s_or_b64 exec, exec, s[20:21]
	v_add_u32_e32 v9, 64, v9
	v_cmp_le_i32_e64 s[10:11], s26, v9
	s_xor_b64 s[2:3], s[2:3], -1
	s_or_b64 s[2:3], s[2:3], s[10:11]
	s_and_b64 s[2:3], exec, s[2:3]
	s_or_b64 s[18:19], s[2:3], s[18:19]
	v_add_u32_e32 v4, s22, v4
	s_andn2_b64 exec, exec, s[18:19]
	s_cbranch_execz .LBB79_8
.LBB79_6:                               ; =>This Inner Loop Header: Depth=1
	v_ashrrev_i32_e32 v5, 31, v4
	v_lshlrev_b64 v[10:11], 2, v[4:5]
	v_add_co_u32_e64 v10, s[2:3], v6, v10
	v_addc_co_u32_e64 v11, s[2:3], v7, v11, s[2:3]
	global_load_dword v5, v[10:11], off
	s_waitcnt vmcnt(0)
	v_cmp_ne_u32_e64 s[2:3], s7, v5
	v_cmp_eq_u32_e64 s[10:11], s7, v5
	s_and_saveexec_b64 s[20:21], s[10:11]
	s_cbranch_execz .LBB79_5
; %bb.7:                                ;   in Loop: Header=BB79_6 Depth=1
	v_mov_b32_e32 v1, 1
	ds_write_b32 v8, v9
	s_branch .LBB79_5
.LBB79_8:
	s_or_b64 exec, exec, s[18:19]
.LBB79_9:
	s_or_b64 exec, exec, s[14:15]
.LBB79_10:
	s_or_b64 exec, exec, s[12:13]
	s_and_saveexec_b64 s[2:3], vcc
	s_cbranch_execz .LBB79_12
; %bb.11:
	v_mov_b32_e32 v4, 0x100
	v_lshl_add_u32 v4, v3, 2, v4
	v_mov_b32_e32 v5, -1
	ds_write_b32 v4, v5 offset:8
.LBB79_12:
	s_or_b64 exec, exec, s[2:3]
	v_add_u32_e32 v68, 2, v3
	v_add_u32_e32 v4, s60, v68
	v_cmp_gt_i32_e64 s[2:3], s25, v4
	s_mov_b64 s[14:15], exec
                                        ; implicit-def: $vgpr91 : SGPR spill to VGPR lane
	v_writelane_b32 v91, s2, 0
	v_writelane_b32 v91, s3, 1
	s_and_b64 s[2:3], s[14:15], s[2:3]
	s_mov_b64 exec, s[2:3]
	s_cbranch_execz .LBB79_20
; %bb.13:
	s_and_saveexec_b64 s[18:19], s[16:17]
	s_cbranch_execz .LBB79_19
; %bb.14:
	v_mul_lo_u32 v4, v68, s31
	v_ashrrev_i32_e32 v5, 31, v4
	v_lshlrev_b64 v[4:5], 2, v[4:5]
	v_mov_b32_e32 v7, s1
	v_add_co_u32_e64 v6, s[10:11], s0, v4
	v_mov_b32_e32 v4, 0x100
	v_addc_co_u32_e64 v7, s[10:11], v7, v5, s[10:11]
	v_lshl_add_u32 v8, v3, 2, v4
	v_mul_lo_u32 v4, v2, s30
	s_lshl_b32 s2, s30, 6
	s_mov_b64 s[20:21], 0
	v_mov_b32_e32 v9, v2
	s_branch .LBB79_16
.LBB79_15:                              ;   in Loop: Header=BB79_16 Depth=1
	s_or_b64 exec, exec, s[22:23]
	v_add_u32_e32 v9, 64, v9
	v_cmp_le_i32_e64 s[12:13], s26, v9
	s_xor_b64 s[10:11], s[10:11], -1
	s_or_b64 s[10:11], s[10:11], s[12:13]
	s_and_b64 s[10:11], exec, s[10:11]
	s_or_b64 s[20:21], s[10:11], s[20:21]
	v_add_u32_e32 v4, s2, v4
	s_andn2_b64 exec, exec, s[20:21]
	s_cbranch_execz .LBB79_18
.LBB79_16:                              ; =>This Inner Loop Header: Depth=1
	v_ashrrev_i32_e32 v5, 31, v4
	v_lshlrev_b64 v[10:11], 2, v[4:5]
	v_add_co_u32_e64 v10, s[10:11], v6, v10
	v_addc_co_u32_e64 v11, s[10:11], v7, v11, s[10:11]
	global_load_dword v5, v[10:11], off
	s_waitcnt vmcnt(0)
	v_cmp_ne_u32_e64 s[10:11], s7, v5
	v_cmp_eq_u32_e64 s[12:13], s7, v5
	s_and_saveexec_b64 s[22:23], s[12:13]
	s_cbranch_execz .LBB79_15
; %bb.17:                               ;   in Loop: Header=BB79_16 Depth=1
	v_mov_b32_e32 v1, 1
	ds_write_b32 v8, v9 offset:8
	s_branch .LBB79_15
.LBB79_18:
	s_or_b64 exec, exec, s[20:21]
.LBB79_19:
	s_or_b64 exec, exec, s[18:19]
.LBB79_20:
	s_or_b64 exec, exec, s[14:15]
	s_and_saveexec_b64 s[10:11], vcc
	s_cbranch_execz .LBB79_22
; %bb.21:
	v_mov_b32_e32 v4, 0x100
	v_lshl_add_u32 v4, v3, 2, v4
	v_mov_b32_e32 v5, -1
	ds_write_b32 v4, v5 offset:16
.LBB79_22:
	s_or_b64 exec, exec, s[10:11]
	v_add_u32_e32 v69, 4, v3
	v_add_u32_e32 v4, s60, v69
	v_cmp_gt_i32_e64 s[2:3], s25, v4
	s_mov_b64 s[18:19], exec
	v_writelane_b32 v91, s2, 2
	v_writelane_b32 v91, s3, 3
	s_and_b64 s[2:3], s[18:19], s[2:3]
	s_mov_b64 exec, s[2:3]
	s_cbranch_execz .LBB79_30
; %bb.23:
	s_and_saveexec_b64 s[20:21], s[16:17]
	s_cbranch_execz .LBB79_29
; %bb.24:
	v_mul_lo_u32 v4, v69, s31
	v_ashrrev_i32_e32 v5, 31, v4
	v_lshlrev_b64 v[4:5], 2, v[4:5]
	v_mov_b32_e32 v7, s1
	v_add_co_u32_e64 v6, s[10:11], s0, v4
	v_mov_b32_e32 v4, 0x100
	v_addc_co_u32_e64 v7, s[10:11], v7, v5, s[10:11]
	v_lshl_add_u32 v8, v3, 2, v4
	v_mul_lo_u32 v4, v2, s30
	s_lshl_b32 s2, s30, 6
	s_mov_b64 s[22:23], 0
	v_mov_b32_e32 v9, v2
	s_branch .LBB79_26
.LBB79_25:                              ;   in Loop: Header=BB79_26 Depth=1
	s_or_b64 exec, exec, s[40:41]
	v_add_u32_e32 v9, 64, v9
	v_cmp_le_i32_e64 s[12:13], s26, v9
	s_xor_b64 s[10:11], s[10:11], -1
	s_or_b64 s[10:11], s[10:11], s[12:13]
	s_and_b64 s[10:11], exec, s[10:11]
	s_or_b64 s[22:23], s[10:11], s[22:23]
	v_add_u32_e32 v4, s2, v4
	s_andn2_b64 exec, exec, s[22:23]
	s_cbranch_execz .LBB79_28
.LBB79_26:                              ; =>This Inner Loop Header: Depth=1
	v_ashrrev_i32_e32 v5, 31, v4
	v_lshlrev_b64 v[10:11], 2, v[4:5]
	v_add_co_u32_e64 v10, s[10:11], v6, v10
	v_addc_co_u32_e64 v11, s[10:11], v7, v11, s[10:11]
	global_load_dword v5, v[10:11], off
	s_waitcnt vmcnt(0)
	v_cmp_ne_u32_e64 s[10:11], s7, v5
	v_cmp_eq_u32_e64 s[12:13], s7, v5
	s_and_saveexec_b64 s[40:41], s[12:13]
	s_cbranch_execz .LBB79_25
; %bb.27:                               ;   in Loop: Header=BB79_26 Depth=1
	v_mov_b32_e32 v1, 1
	ds_write_b32 v8, v9 offset:16
	s_branch .LBB79_25
.LBB79_28:
	s_or_b64 exec, exec, s[22:23]
.LBB79_29:
	s_or_b64 exec, exec, s[20:21]
.LBB79_30:
	s_or_b64 exec, exec, s[18:19]
	s_and_saveexec_b64 s[10:11], vcc
	s_cbranch_execz .LBB79_32
; %bb.31:
	v_mov_b32_e32 v4, 0x100
	v_lshl_add_u32 v4, v3, 2, v4
	v_mov_b32_e32 v5, -1
	ds_write_b32 v4, v5 offset:24
.LBB79_32:
	s_or_b64 exec, exec, s[10:11]
	v_add_u32_e32 v70, 6, v3
	v_add_u32_e32 v4, s60, v70
	v_cmp_gt_i32_e64 s[2:3], s25, v4
	s_mov_b64 s[18:19], exec
	v_writelane_b32 v91, s2, 4
	v_writelane_b32 v91, s3, 5
	s_and_b64 s[2:3], s[18:19], s[2:3]
	s_mov_b64 exec, s[2:3]
	s_cbranch_execz .LBB79_40
; %bb.33:
	s_and_saveexec_b64 s[22:23], s[16:17]
	s_cbranch_execz .LBB79_39
; %bb.34:
	v_mul_lo_u32 v4, v70, s31
	v_ashrrev_i32_e32 v5, 31, v4
	v_lshlrev_b64 v[4:5], 2, v[4:5]
	v_mov_b32_e32 v7, s1
	v_add_co_u32_e64 v6, s[10:11], s0, v4
	v_mov_b32_e32 v4, 0x100
	v_addc_co_u32_e64 v7, s[10:11], v7, v5, s[10:11]
	v_lshl_add_u32 v8, v3, 2, v4
	v_mul_lo_u32 v4, v2, s30
	s_lshl_b32 s2, s30, 6
	s_mov_b64 s[40:41], 0
	v_mov_b32_e32 v9, v2
	s_branch .LBB79_36
.LBB79_35:                              ;   in Loop: Header=BB79_36 Depth=1
	s_or_b64 exec, exec, s[42:43]
	v_add_u32_e32 v9, 64, v9
	v_cmp_le_i32_e64 s[12:13], s26, v9
	s_xor_b64 s[10:11], s[10:11], -1
	s_or_b64 s[10:11], s[10:11], s[12:13]
	s_and_b64 s[10:11], exec, s[10:11]
	s_or_b64 s[40:41], s[10:11], s[40:41]
	v_add_u32_e32 v4, s2, v4
	s_andn2_b64 exec, exec, s[40:41]
	s_cbranch_execz .LBB79_38
.LBB79_36:                              ; =>This Inner Loop Header: Depth=1
	v_ashrrev_i32_e32 v5, 31, v4
	v_lshlrev_b64 v[10:11], 2, v[4:5]
	v_add_co_u32_e64 v10, s[10:11], v6, v10
	v_addc_co_u32_e64 v11, s[10:11], v7, v11, s[10:11]
	global_load_dword v5, v[10:11], off
	s_waitcnt vmcnt(0)
	v_cmp_ne_u32_e64 s[10:11], s7, v5
	v_cmp_eq_u32_e64 s[12:13], s7, v5
	s_and_saveexec_b64 s[42:43], s[12:13]
	s_cbranch_execz .LBB79_35
; %bb.37:                               ;   in Loop: Header=BB79_36 Depth=1
	v_mov_b32_e32 v1, 1
	ds_write_b32 v8, v9 offset:24
	s_branch .LBB79_35
.LBB79_38:
	s_or_b64 exec, exec, s[40:41]
.LBB79_39:
	s_or_b64 exec, exec, s[22:23]
.LBB79_40:
	s_or_b64 exec, exec, s[18:19]
	s_and_saveexec_b64 s[10:11], vcc
	s_cbranch_execz .LBB79_42
; %bb.41:
	v_mov_b32_e32 v4, 0x100
	v_lshl_add_u32 v4, v3, 2, v4
	v_mov_b32_e32 v5, -1
	ds_write_b32 v4, v5 offset:32
.LBB79_42:
	s_or_b64 exec, exec, s[10:11]
	v_add_u32_e32 v71, 8, v3
	v_add_u32_e32 v4, s60, v71
	v_cmp_gt_i32_e64 s[2:3], s25, v4
	s_mov_b64 s[22:23], exec
	v_writelane_b32 v91, s2, 6
	v_writelane_b32 v91, s3, 7
	s_and_b64 s[2:3], s[22:23], s[2:3]
	s_mov_b64 exec, s[2:3]
	s_cbranch_execz .LBB79_50
; %bb.43:
	s_and_saveexec_b64 s[40:41], s[16:17]
	s_cbranch_execz .LBB79_49
; %bb.44:
	v_mul_lo_u32 v4, v71, s31
	v_ashrrev_i32_e32 v5, 31, v4
	v_lshlrev_b64 v[4:5], 2, v[4:5]
	v_mov_b32_e32 v7, s1
	v_add_co_u32_e64 v6, s[10:11], s0, v4
	v_mov_b32_e32 v4, 0x100
	v_addc_co_u32_e64 v7, s[10:11], v7, v5, s[10:11]
	v_lshl_add_u32 v8, v3, 2, v4
	v_mul_lo_u32 v4, v2, s30
	s_lshl_b32 s2, s30, 6
	s_mov_b64 s[42:43], 0
	v_mov_b32_e32 v9, v2
	s_branch .LBB79_46
.LBB79_45:                              ;   in Loop: Header=BB79_46 Depth=1
	s_or_b64 exec, exec, s[44:45]
	v_add_u32_e32 v9, 64, v9
	v_cmp_le_i32_e64 s[12:13], s26, v9
	s_xor_b64 s[10:11], s[10:11], -1
	s_or_b64 s[10:11], s[10:11], s[12:13]
	s_and_b64 s[10:11], exec, s[10:11]
	s_or_b64 s[42:43], s[10:11], s[42:43]
	v_add_u32_e32 v4, s2, v4
	s_andn2_b64 exec, exec, s[42:43]
	s_cbranch_execz .LBB79_48
.LBB79_46:                              ; =>This Inner Loop Header: Depth=1
	v_ashrrev_i32_e32 v5, 31, v4
	v_lshlrev_b64 v[10:11], 2, v[4:5]
	v_add_co_u32_e64 v10, s[10:11], v6, v10
	v_addc_co_u32_e64 v11, s[10:11], v7, v11, s[10:11]
	global_load_dword v5, v[10:11], off
	s_waitcnt vmcnt(0)
	v_cmp_ne_u32_e64 s[10:11], s7, v5
	v_cmp_eq_u32_e64 s[12:13], s7, v5
	s_and_saveexec_b64 s[44:45], s[12:13]
	s_cbranch_execz .LBB79_45
; %bb.47:                               ;   in Loop: Header=BB79_46 Depth=1
	v_mov_b32_e32 v1, 1
	ds_write_b32 v8, v9 offset:32
	s_branch .LBB79_45
.LBB79_48:
	s_or_b64 exec, exec, s[42:43]
.LBB79_49:
	s_or_b64 exec, exec, s[40:41]
.LBB79_50:
	s_or_b64 exec, exec, s[22:23]
	s_sub_i32 s2, 0, s33
	s_and_saveexec_b64 s[10:11], vcc
	s_cbranch_execz .LBB79_52
; %bb.51:
	v_mov_b32_e32 v4, 0x100
	v_lshl_add_u32 v4, v3, 2, v4
	v_mov_b32_e32 v5, -1
	ds_write_b32 v4, v5 offset:40
.LBB79_52:
	s_or_b64 exec, exec, s[10:11]
	v_add_u32_e32 v72, 10, v3
	s_mul_i32 s2, s2, s9
	v_add_u32_e32 v4, s60, v72
	v_cmp_gt_i32_e64 s[10:11], s25, v4
	s_mov_b64 s[40:41], exec
	v_writelane_b32 v91, s10, 8
	v_writelane_b32 v91, s11, 9
	s_and_b64 s[10:11], s[40:41], s[10:11]
	s_mov_b64 exec, s[10:11]
	s_cbranch_execz .LBB79_60
; %bb.53:
	s_and_saveexec_b64 s[42:43], s[16:17]
	s_cbranch_execz .LBB79_59
; %bb.54:
	v_mul_lo_u32 v4, v72, s31
	v_ashrrev_i32_e32 v5, 31, v4
	v_lshlrev_b64 v[4:5], 2, v[4:5]
	v_mov_b32_e32 v7, s1
	v_add_co_u32_e64 v6, s[12:13], s0, v4
	v_mov_b32_e32 v4, 0x100
	v_addc_co_u32_e64 v7, s[12:13], v7, v5, s[12:13]
	v_lshl_add_u32 v8, v3, 2, v4
	v_mul_lo_u32 v4, v2, s30
	s_lshl_b32 s3, s30, 6
	s_mov_b64 s[44:45], 0
	v_mov_b32_e32 v9, v2
	s_branch .LBB79_56
.LBB79_55:                              ;   in Loop: Header=BB79_56 Depth=1
	s_or_b64 exec, exec, s[46:47]
	v_add_u32_e32 v9, 64, v9
	v_cmp_le_i32_e64 s[22:23], s26, v9
	s_xor_b64 s[10:11], s[12:13], -1
	s_or_b64 s[10:11], s[10:11], s[22:23]
	s_and_b64 s[10:11], exec, s[10:11]
	s_or_b64 s[44:45], s[10:11], s[44:45]
	v_add_u32_e32 v4, s3, v4
	s_andn2_b64 exec, exec, s[44:45]
	s_cbranch_execz .LBB79_58
.LBB79_56:                              ; =>This Inner Loop Header: Depth=1
	v_ashrrev_i32_e32 v5, 31, v4
	v_lshlrev_b64 v[10:11], 2, v[4:5]
	v_add_co_u32_e64 v10, s[12:13], v6, v10
	v_addc_co_u32_e64 v11, s[12:13], v7, v11, s[12:13]
	global_load_dword v5, v[10:11], off
	s_waitcnt vmcnt(0)
	v_cmp_ne_u32_e64 s[12:13], s7, v5
	v_cmp_eq_u32_e64 s[22:23], s7, v5
	s_and_saveexec_b64 s[46:47], s[22:23]
	s_cbranch_execz .LBB79_55
; %bb.57:                               ;   in Loop: Header=BB79_56 Depth=1
	v_mov_b32_e32 v1, 1
	ds_write_b32 v8, v9 offset:40
	s_branch .LBB79_55
.LBB79_58:
	s_or_b64 exec, exec, s[44:45]
.LBB79_59:
	s_or_b64 exec, exec, s[42:43]
.LBB79_60:
	s_or_b64 exec, exec, s[40:41]
	s_mul_hi_u32 s3, s9, s2
	s_and_saveexec_b64 s[12:13], vcc
	s_cbranch_execz .LBB79_62
; %bb.61:
	v_mov_b32_e32 v4, 0x100
	v_lshl_add_u32 v4, v3, 2, v4
	v_mov_b32_e32 v5, -1
	ds_write_b32 v4, v5 offset:48
.LBB79_62:
	s_or_b64 exec, exec, s[12:13]
	s_load_dwordx4 s[12:15], s[4:5], 0x54
	v_add_u32_e32 v73, 12, v3
	s_abs_i32 s2, s8
	s_add_i32 s9, s9, s3
	v_add_u32_e32 v4, s60, v73
	v_cmp_gt_i32_e64 s[10:11], s25, v4
	s_mov_b64 s[22:23], exec
	v_writelane_b32 v91, s10, 10
	v_writelane_b32 v91, s11, 11
	s_and_b64 s[10:11], s[22:23], s[10:11]
	s_mov_b64 exec, s[10:11]
	s_cbranch_execz .LBB79_70
; %bb.63:
	s_and_saveexec_b64 s[44:45], s[16:17]
	s_cbranch_execz .LBB79_69
; %bb.64:
	v_mul_lo_u32 v4, v73, s31
	v_ashrrev_i32_e32 v5, 31, v4
	v_lshlrev_b64 v[4:5], 2, v[4:5]
	v_mov_b32_e32 v7, s1
	v_add_co_u32_e32 v6, vcc, s0, v4
	v_mov_b32_e32 v4, 0x100
	v_addc_co_u32_e32 v7, vcc, v7, v5, vcc
	v_lshl_add_u32 v8, v3, 2, v4
	v_mul_lo_u32 v4, v2, s30
	s_lshl_b32 s0, s30, 6
	s_mov_b64 s[30:31], 0
	v_mov_b32_e32 v9, v2
	s_branch .LBB79_66
.LBB79_65:                              ;   in Loop: Header=BB79_66 Depth=1
	s_or_b64 exec, exec, s[46:47]
	v_add_u32_e32 v9, 64, v9
	v_cmp_le_i32_e64 s[16:17], s26, v9
	s_xor_b64 s[10:11], vcc, -1
	s_or_b64 s[10:11], s[10:11], s[16:17]
	s_and_b64 s[10:11], exec, s[10:11]
	s_or_b64 s[30:31], s[10:11], s[30:31]
	v_add_u32_e32 v4, s0, v4
	s_andn2_b64 exec, exec, s[30:31]
	s_cbranch_execz .LBB79_68
.LBB79_66:                              ; =>This Inner Loop Header: Depth=1
	v_ashrrev_i32_e32 v5, 31, v4
	v_lshlrev_b64 v[10:11], 2, v[4:5]
	v_add_co_u32_e32 v10, vcc, v6, v10
	v_addc_co_u32_e32 v11, vcc, v7, v11, vcc
	global_load_dword v5, v[10:11], off
	s_waitcnt vmcnt(0)
	v_cmp_ne_u32_e32 vcc, s7, v5
	v_cmp_eq_u32_e64 s[16:17], s7, v5
	s_and_saveexec_b64 s[46:47], s[16:17]
	s_cbranch_execz .LBB79_65
; %bb.67:                               ;   in Loop: Header=BB79_66 Depth=1
	v_mov_b32_e32 v1, 1
	ds_write_b32 v8, v9 offset:48
	s_branch .LBB79_65
.LBB79_68:
	s_or_b64 exec, exec, s[30:31]
.LBB79_69:
	s_or_b64 exec, exec, s[44:45]
.LBB79_70:
	s_or_b64 exec, exec, s[22:23]
	s_load_dwordx2 s[10:11], s[34:35], 0xc
	s_load_dwordx4 s[44:47], s[4:5], 0x0
	s_load_dwordx2 s[0:1], s[4:5], 0x18
	v_cmp_ne_u32_e32 vcc, 0, v1
	v_cndmask_b32_e64 v1, 0, 1, vcc
                                        ; kill: killed $sgpr4 killed $sgpr5
	s_waitcnt lgkmcnt(0)
	s_lshr_b32 s4, s10, 16
	s_and_b32 s3, s10, 0xffff
	v_or_b32_dpp v1, v1, v1 row_shl:1 row_mask:0xf bank_mask:0xf bound_ctrl:1
	v_writelane_b32 v91, s0, 12
	s_mul_i32 s5, s4, s3
	v_or_b32_dpp v1, v1, v1 row_shl:2 row_mask:0xf bank_mask:0xf bound_ctrl:1
	v_writelane_b32 v91, s1, 13
	s_and_b32 s1, s11, 0xffff
	v_or_b32_dpp v1, v1, v1 row_shl:4 row_mask:0xf bank_mask:0xf bound_ctrl:1
	s_bfe_i32 s5, s5, 0x180000
	s_mul_i32 s1, s5, s1
	v_or_b32_dpp v1, v1, v1 row_shl:8 row_mask:0xf bank_mask:0xf bound_ctrl:1
	s_add_i32 s5, s1, 63
	s_bitcmp1_b32 exec_hi, 0
	v_mov_b32_dpp v4, v1 wave_shl:1 row_mask:0xf bank_mask:0xf bound_ctrl:1
	s_mul_hi_u32 s0, s2, s9
                                        ; kill: killed $sgpr34 killed $sgpr35
	s_nop 0
	v_or_b32_dpp v1, v4, v1 row_mirror row_mask:0xf bank_mask:0xf bound_ctrl:1
	v_readlane_b32 s1, v1, 32
	s_cselect_b32 s1, s1, 0
	v_readlane_b32 s9, v1, 0
	s_or_b32 s1, s1, s9
	s_andn2_b32 s5, s5, 63
	s_cmp_lg_u32 s5, 64
	v_mov_b32_e32 v1, s1
	s_cbranch_scc0 .LBB79_77
; %bb.71:
	v_bfe_u32 v0, v0, 20, 10
	v_mbcnt_lo_u32_b32 v1, -1, 0
	v_mad_u32_u24 v0, v0, s4, v3
	v_mbcnt_hi_u32_b32 v4, -1, v1
	v_mad_u64_u32 v[0:1], s[4:5], v0, s3, v[2:3]
	v_lshrrev_b32_e32 v1, 6, v0
	v_or_b32_e32 v1, v4, v1
	v_cmp_eq_u32_e32 vcc, 0, v1
	s_and_saveexec_b64 s[4:5], vcc
	s_cbranch_execz .LBB79_73
; %bb.72:
	v_mov_b32_e32 v1, 0
	v_mov_b32_e32 v5, s1
	ds_write_b32 v1, v5
.LBB79_73:
	s_or_b64 exec, exec, s[4:5]
	v_cmp_eq_u32_e32 vcc, 0, v4
	v_cmp_lt_u32_e64 s[4:5], 63, v0
	s_and_b64 s[10:11], s[4:5], vcc
	s_waitcnt lgkmcnt(0)
	s_barrier
	s_and_saveexec_b64 s[4:5], s[10:11]
	s_cbranch_execz .LBB79_76
; %bb.74:
	v_mbcnt_lo_u32_b32 v0, exec_lo, 0
	v_mbcnt_hi_u32_b32 v0, exec_hi, v0
	v_cmp_eq_u32_e32 vcc, 0, v0
	s_and_b64 exec, exec, vcc
	s_cbranch_execz .LBB79_76
; %bb.75:
	v_mov_b32_e32 v0, 0
	v_mov_b32_e32 v1, s1
	ds_or_b32 v0, v1
.LBB79_76:
	s_or_b64 exec, exec, s[4:5]
	v_mov_b32_e32 v0, 0
	s_waitcnt lgkmcnt(0)
	s_barrier
	ds_read_b32 v1, v0
	s_waitcnt lgkmcnt(0)
	s_barrier
.LBB79_77:
	v_cmp_ne_u32_e32 vcc, 0, v1
	s_ashr_i32 s1, s8, 31
	s_ashr_i32 s3, s39, 31
	s_cbranch_vccz .LBB79_163
; %bb.78:
	v_lshlrev_b32_e32 v74, 6, v3
	v_add_u32_e32 v76, v74, v2
	v_cmp_le_i32_e32 vcc, s24, v76
	v_and_b32_e32 v75, 15, v2
                                        ; implicit-def: $sgpr9
	s_and_saveexec_b64 s[4:5], vcc
	s_xor_b64 s[4:5], exec, s[4:5]
; %bb.79:
	v_and_b32_e32 v75, 15, v2
	s_mov_b32 s9, 0
                                        ; implicit-def: $vgpr76
; %bb.80:
	s_or_saveexec_b64 s[4:5], s[4:5]
	s_lshl_b32 s6, s6, 6
	v_accvgpr_write_b32 a0, s9
	v_accvgpr_write_b32 a1, s9
	;; [unrolled: 1-line block ×16, first 2 shown]
	v_writelane_b32 v91, s4, 14
	v_writelane_b32 v91, s5, 15
	s_xor_b64 exec, exec, s[4:5]
	s_cbranch_execz .LBB79_136
; %bb.81:
	s_xor_b32 s1, s1, s3
	s_mul_i32 s3, s0, s33
	s_sub_i32 s2, s2, s3
	s_add_i32 s3, s0, 1
	s_sub_i32 s4, s2, s33
	s_cmp_ge_u32 s2, s33
	s_cselect_b32 s0, s3, s0
	s_cselect_b32 s2, s4, s2
	s_add_i32 s3, s0, 1
	s_cmp_ge_u32 s2, s33
	s_cselect_b32 s0, s3, s0
	s_xor_b32 s0, s0, s1
	s_sub_i32 s0, s0, s1
	s_mul_hi_i32 s1, s0, s12
	s_mul_i32 s0, s0, s12
	s_mul_i32 s2, s7, s36
	v_writelane_b32 v91, s48, 16
	s_ashr_i32 s3, s2, 31
	s_lshl_b64 s[0:1], s[0:1], 2
	v_writelane_b32 v91, s49, 17
	s_add_u32 s5, s44, s0
	v_writelane_b32 v91, s6, 18
	s_mul_i32 s4, s6, s27
	s_addc_u32 s6, s45, s1
	s_lshl_b64 s[2:3], s[2:3], 2
	s_add_u32 s7, s5, s2
	s_addc_u32 s6, s6, s3
	s_ashr_i32 s5, s4, 31
	s_lshl_b64 s[4:5], s[4:5], 2
	s_add_u32 s36, s7, s4
	s_addc_u32 s10, s6, s5
	s_movk_i32 s6, 0x1080
	v_mov_b32_e32 v77, 0x100
	v_writelane_b32 v91, s8, 19
	v_mad_u32_u24 v0, v3, s6, v77
	s_mul_hi_i32 s7, s13, s8
	v_writelane_b32 v91, s12, 20
	s_mul_i32 s6, s13, s8
	v_writelane_b32 v91, s13, 21
	s_lshl_b64 s[6:7], s[6:7], 2
	v_writelane_b32 v91, s14, 22
	s_mul_hi_i32 s9, s60, s28
	s_mul_i32 s8, s60, s28
	s_add_u32 s11, s46, s6
	v_writelane_b32 v91, s15, 23
	s_addc_u32 s12, s47, s7
	s_lshl_b64 s[6:7], s[8:9], 2
	s_add_u32 s39, s11, s6
	s_addc_u32 s43, s12, s7
	s_cmp_lt_i32 s60, s25
	s_cselect_b64 s[6:7], -1, 0
	s_add_i32 s8, s60, 1
	s_cmp_lt_i32 s8, s25
	s_cselect_b64 s[22:23], -1, 0
	s_add_i32 s8, s60, 2
	s_cmp_lt_i32 s8, s25
	s_cselect_b64 s[30:31], -1, 0
	s_lshl_b32 s8, s28, 1
	v_writelane_b32 v91, s8, 24
	s_add_i32 s8, s60, 3
	s_cmp_lt_i32 s8, s25
	s_cselect_b64 s[34:35], -1, 0
	s_add_i32 s8, s60, 4
	s_cmp_lt_i32 s8, s25
	s_cselect_b64 s[40:41], -1, 0
	s_lshl_b32 s8, s28, 2
	v_writelane_b32 v91, s8, 25
	s_add_i32 s8, s60, 5
	s_cmp_lt_i32 s8, s25
	s_cselect_b64 s[46:47], -1, 0
	s_add_i32 s8, s60, 6
	s_cmp_lt_i32 s8, s25
	s_cselect_b64 s[48:49], -1, 0
	;; [unrolled: 3-line block ×4, first 2 shown]
	s_lshl_b32 s8, s28, 3
	v_writelane_b32 v91, s8, 26
	s_add_i32 s8, s60, 9
	s_cmp_lt_i32 s8, s25
	s_cselect_b64 s[54:55], -1, 0
	s_add_i32 s8, s60, 10
	s_cmp_lt_i32 s8, s25
	s_cselect_b64 s[56:57], -1, 0
	;; [unrolled: 3-line block ×3, first 2 shown]
	s_add_i32 s8, s60, 12
	s_cmp_lt_i32 s8, s25
	v_writelane_b32 v91, s60, 27
	s_cselect_b64 s[60:61], -1, 0
	s_ashr_i32 s9, s27, 31
	s_mov_b32 s8, s27
	s_lshl_b64 s[62:63], s[8:9], 2
	s_add_u32 s0, s0, s4
	s_addc_u32 s1, s1, s5
	v_lshrrev_b32_e32 v4, 1, v2
	s_add_u32 s0, s0, s2
	v_mul_u32_u24_e32 v1, 0x108, v75
	v_and_b32_e32 v4, 0x1f8, v4
	s_addc_u32 s1, s1, s3
	v_lshl_add_u32 v78, v2, 2, v0
	v_add3_u32 v79, v0, v1, v4
	v_lshlrev_b32_e32 v0, 2, v76
	s_add_u32 s0, s44, s0
	v_add_co_u32_e32 v0, vcc, s0, v0
	s_mul_i32 s0, s27, 3
	v_writelane_b32 v91, s0, 28
	s_mul_i32 s0, s27, 5
	s_addc_u32 s1, s45, s1
	v_writelane_b32 v91, s0, 29
	s_mul_i32 s0, s27, 6
	v_mov_b32_e32 v1, s1
	v_writelane_b32 v91, s0, 30
	s_mul_i32 s0, s27, 7
	v_mov_b32_e32 v80, 0
	v_addc_co_u32_e32 v1, vcc, 0, v1, vcc
	s_lshl_b32 s44, s27, 1
	s_lshl_b32 s74, s27, 2
	v_writelane_b32 v91, s0, 31
	s_lshl_b32 s78, s27, 3
	s_mul_i32 s79, s27, 9
	s_mul_i32 s80, s27, 10
	;; [unrolled: 1-line block ×7, first 2 shown]
	s_lshl_b32 s86, s27, 4
	s_mul_i32 s87, s27, 17
	v_mov_b32_e32 v81, s10
	s_mul_i32 s88, s27, 18
	v_accvgpr_write_b32 a15, 0
	v_accvgpr_write_b32 a14, 0
	;; [unrolled: 1-line block ×16, first 2 shown]
	v_mov_b32_e32 v82, s63
	s_mul_i32 s63, s27, 19
	s_mul_i32 s89, s27, 20
	;; [unrolled: 1-line block ×13, first 2 shown]
	s_lshl_b32 s1, s27, 5
	s_mul_i32 s12, s27, 33
	s_mul_i32 s13, s27, 34
	;; [unrolled: 1-line block ×31, first 2 shown]
	s_mov_b64 s[26:27], 0
	s_branch .LBB79_84
.LBB79_82:                              ;   in Loop: Header=BB79_84 Depth=1
	v_mul_lo_u32 v83, v83, s37
	s_mul_i32 vcc_lo, s28, 12
	v_add_u32_e32 v83, vcc_lo, v83
	v_add_u32_e32 v84, v83, v76
	v_ashrrev_i32_e32 v85, 31, v84
	v_lshlrev_b64 v[84:85], 2, v[84:85]
	v_mov_b32_e32 v83, s43
	v_add_co_u32_e32 v84, vcc, s39, v84
	v_addc_co_u32_e32 v85, vcc, v83, v85, vcc
	global_load_dword v83, v[84:85], off
.LBB79_83:                              ;   in Loop: Header=BB79_84 Depth=1
	v_add_u32_e32 v84, 0xc00, v78
	s_waitcnt vmcnt(0)
	ds_write2_b32 v84, v83, v80 offset0:40 offset1:106
	ds_write2_b32 v84, v80, v80 offset0:172 offset1:238
	ds_read2_b64 v[84:87], v79 offset0:8 offset1:12
	v_add_co_u32_e32 v0, vcc, 0x200, v0
	v_add_u32_e32 v76, 0x80, v76
	v_addc_co_u32_e32 v1, vcc, 0, v1, vcc
	s_waitcnt lgkmcnt(0)
	v_mfma_f32_16x16x4f32 a[12:15], v30, v84, a[12:15]
	v_cmp_le_i32_e32 vcc, s24, v76
	s_or_b64 s[26:27], vcc, s[26:27]
	v_mfma_f32_16x16x4f32 a[8:11], v46, v84, a[8:11]
	v_mfma_f32_16x16x4f32 a[4:7], v54, v84, a[4:7]
	;; [unrolled: 1-line block ×15, first 2 shown]
	ds_read2_b64 v[64:67], v79 offset0:16 offset1:20
	s_waitcnt lgkmcnt(0)
	v_mfma_f32_16x16x4f32 a[12:15], v18, v64, a[12:15]
	v_mfma_f32_16x16x4f32 a[8:11], v36, v64, a[8:11]
	v_mfma_f32_16x16x4f32 a[4:7], v48, v64, a[4:7]
	v_mfma_f32_16x16x4f32 a[0:3], v62, v64, a[0:3]
	v_mfma_f32_16x16x4f32 a[12:15], v19, v65, a[12:15]
	v_mfma_f32_16x16x4f32 a[8:11], v37, v65, a[8:11]
	v_mfma_f32_16x16x4f32 a[4:7], v49, v65, a[4:7]
	v_mfma_f32_16x16x4f32 a[0:3], v63, v65, a[0:3]
	v_mfma_f32_16x16x4f32 a[12:15], v14, v66, a[12:15]
	v_mfma_f32_16x16x4f32 a[8:11], v32, v66, a[8:11]
	v_mfma_f32_16x16x4f32 a[4:7], v44, v66, a[4:7]
	v_mfma_f32_16x16x4f32 a[0:3], v60, v66, a[0:3]
	v_mfma_f32_16x16x4f32 a[12:15], v15, v67, a[12:15]
	v_mfma_f32_16x16x4f32 a[8:11], v33, v67, a[8:11]
	ds_read2_b64 v[30:33], v79 offset0:24 offset1:28
	v_mfma_f32_16x16x4f32 a[4:7], v45, v67, a[4:7]
	v_mfma_f32_16x16x4f32 a[0:3], v61, v67, a[0:3]
	s_waitcnt lgkmcnt(0)
	v_mfma_f32_16x16x4f32 a[12:15], v12, v30, a[12:15]
	v_mfma_f32_16x16x4f32 a[8:11], v26, v30, a[8:11]
	;; [unrolled: 1-line block ×5, first 2 shown]
	ds_read2_b64 v[12:15], v79 offset0:32 offset1:36
	v_mfma_f32_16x16x4f32 a[8:11], v27, v31, a[8:11]
	v_mfma_f32_16x16x4f32 a[4:7], v39, v31, a[4:7]
	;; [unrolled: 1-line block ×11, first 2 shown]
	s_waitcnt lgkmcnt(0)
	v_mfma_f32_16x16x4f32 a[12:15], v6, v12, a[12:15]
	v_mfma_f32_16x16x4f32 a[8:11], v16, v12, a[8:11]
	v_mfma_f32_16x16x4f32 a[4:7], v28, v12, a[4:7]
	v_mfma_f32_16x16x4f32 a[0:3], v52, v12, a[0:3]
	v_mfma_f32_16x16x4f32 a[12:15], v7, v13, a[12:15]
	v_mfma_f32_16x16x4f32 a[8:11], v17, v13, a[8:11]
	v_mfma_f32_16x16x4f32 a[4:7], v29, v13, a[4:7]
	v_mfma_f32_16x16x4f32 a[0:3], v53, v13, a[0:3]
	v_mfma_f32_16x16x4f32 a[12:15], v4, v14, a[12:15]
	v_mfma_f32_16x16x4f32 a[8:11], v10, v14, a[8:11]
	v_mfma_f32_16x16x4f32 a[4:7], v24, v14, a[4:7]
	v_mfma_f32_16x16x4f32 a[0:3], v42, v14, a[0:3]
	v_mfma_f32_16x16x4f32 a[12:15], v5, v15, a[12:15]
	v_mfma_f32_16x16x4f32 a[8:11], v11, v15, a[8:11]
	v_mfma_f32_16x16x4f32 a[4:7], v25, v15, a[4:7]
	v_mfma_f32_16x16x4f32 a[0:3], v43, v15, a[0:3]
	s_andn2_b64 exec, exec, s[26:27]
	s_cbranch_execz .LBB79_135
.LBB79_84:                              ; =>This Inner Loop Header: Depth=1
	v_add_co_u32_e32 v4, vcc, s62, v0
	v_addc_co_u32_e32 v5, vcc, v1, v82, vcc
	global_load_dword v20, v[0:1], off
	global_load_dword v21, v[4:5], off
	v_add_u32_e32 v4, s44, v76
	v_ashrrev_i32_e32 v5, 31, v4
	v_lshlrev_b64 v[4:5], 2, v[4:5]
	v_add_co_u32_e32 v4, vcc, s36, v4
	v_addc_co_u32_e32 v5, vcc, v81, v5, vcc
	v_readlane_b32 vcc_lo, v91, 28
	v_add_u32_e32 v6, vcc_lo, v76
	v_ashrrev_i32_e32 v7, 31, v6
	v_lshlrev_b64 v[6:7], 2, v[6:7]
	v_add_u32_e32 v8, s74, v76
	v_add_co_u32_e32 v6, vcc, s36, v6
	v_ashrrev_i32_e32 v9, 31, v8
	v_addc_co_u32_e32 v7, vcc, v81, v7, vcc
	v_lshlrev_b64 v[8:9], 2, v[8:9]
	v_add_co_u32_e32 v8, vcc, s36, v8
	v_addc_co_u32_e32 v9, vcc, v81, v9, vcc
	v_readlane_b32 vcc_lo, v91, 29
	v_add_u32_e32 v10, vcc_lo, v76
	v_ashrrev_i32_e32 v11, 31, v10
	v_lshlrev_b64 v[10:11], 2, v[10:11]
	v_add_co_u32_e32 v10, vcc, s36, v10
	v_addc_co_u32_e32 v11, vcc, v81, v11, vcc
	v_readlane_b32 vcc_lo, v91, 30
	v_add_u32_e32 v12, vcc_lo, v76
	v_ashrrev_i32_e32 v13, 31, v12
	;; [unrolled: 6-line block ×3, first 2 shown]
	v_lshlrev_b64 v[14:15], 2, v[14:15]
	v_add_u32_e32 v16, s78, v76
	v_add_co_u32_e32 v14, vcc, s36, v14
	v_ashrrev_i32_e32 v17, 31, v16
	v_addc_co_u32_e32 v15, vcc, v81, v15, vcc
	v_lshlrev_b64 v[16:17], 2, v[16:17]
	v_add_u32_e32 v18, s79, v76
	v_add_co_u32_e32 v16, vcc, s36, v16
	v_ashrrev_i32_e32 v19, 31, v18
	v_addc_co_u32_e32 v17, vcc, v81, v17, vcc
	v_lshlrev_b64 v[18:19], 2, v[18:19]
	v_add_co_u32_e32 v18, vcc, s36, v18
	v_addc_co_u32_e32 v19, vcc, v81, v19, vcc
	global_load_dword v22, v[4:5], off
	global_load_dword v23, v[6:7], off
	;; [unrolled: 1-line block ×6, first 2 shown]
	s_nop 0
	global_load_dword v16, v[16:17], off
	s_nop 0
	global_load_dword v17, v[18:19], off
	v_add_u32_e32 v4, s80, v76
	v_ashrrev_i32_e32 v5, 31, v4
	v_lshlrev_b64 v[4:5], 2, v[4:5]
	v_add_u32_e32 v6, s81, v76
	v_add_co_u32_e32 v4, vcc, s36, v4
	v_ashrrev_i32_e32 v7, 31, v6
	v_addc_co_u32_e32 v5, vcc, v81, v5, vcc
	v_lshlrev_b64 v[6:7], 2, v[6:7]
	v_add_u32_e32 v8, s82, v76
	v_add_co_u32_e32 v6, vcc, s36, v6
	v_ashrrev_i32_e32 v9, 31, v8
	v_addc_co_u32_e32 v7, vcc, v81, v7, vcc
	;; [unrolled: 5-line block ×5, first 2 shown]
	v_lshlrev_b64 v[14:15], 2, v[14:15]
	v_add_co_u32_e32 v14, vcc, s36, v14
	v_addc_co_u32_e32 v15, vcc, v81, v15, vcc
	global_load_dword v18, v[4:5], off
	global_load_dword v19, v[6:7], off
	s_nop 0
	global_load_dword v8, v[8:9], off
	s_nop 0
	;; [unrolled: 2-line block ×4, first 2 shown]
	global_load_dword v13, v[14:15], off
	v_add_u32_e32 v4, s86, v76
	v_ashrrev_i32_e32 v5, 31, v4
	v_lshlrev_b64 v[4:5], 2, v[4:5]
	v_add_u32_e32 v6, s87, v76
	v_add_co_u32_e32 v4, vcc, s36, v4
	v_ashrrev_i32_e32 v7, 31, v6
	v_addc_co_u32_e32 v5, vcc, v81, v5, vcc
	v_lshlrev_b64 v[6:7], 2, v[6:7]
	s_waitcnt vmcnt(15)
	ds_write_b32 v78, v20 offset:64
	s_waitcnt vmcnt(14)
	ds_write_b32 v78, v21 offset:328
	;; [unrolled: 2-line block ×10, first 2 shown]
	v_add_co_u32_e32 v6, vcc, s36, v6
	v_addc_co_u32_e32 v7, vcc, v81, v7, vcc
	global_load_dword v10, v[4:5], off
	global_load_dword v11, v[6:7], off
	v_add_u32_e32 v4, s88, v76
	v_ashrrev_i32_e32 v5, 31, v4
	v_lshlrev_b64 v[4:5], 2, v[4:5]
	v_add_u32_e32 v6, s63, v76
	v_add_co_u32_e32 v4, vcc, s36, v4
	v_ashrrev_i32_e32 v7, 31, v6
	s_waitcnt vmcnt(7)
	ds_write_b32 v78, v18 offset:2704
	s_waitcnt vmcnt(6)
	ds_write_b32 v78, v19 offset:2968
	;; [unrolled: 2-line block ×6, first 2 shown]
	v_addc_co_u32_e32 v5, vcc, v81, v5, vcc
	v_lshlrev_b64 v[6:7], 2, v[6:7]
	v_add_u32_e32 v8, s89, v76
	v_add_co_u32_e32 v6, vcc, s36, v6
	v_ashrrev_i32_e32 v9, 31, v8
	v_addc_co_u32_e32 v7, vcc, v81, v7, vcc
	v_lshlrev_b64 v[8:9], 2, v[8:9]
	v_add_u32_e32 v12, s90, v76
	v_add_co_u32_e32 v8, vcc, s36, v8
	v_ashrrev_i32_e32 v13, 31, v12
	v_addc_co_u32_e32 v9, vcc, v81, v9, vcc
	v_lshlrev_b64 v[12:13], 2, v[12:13]
	v_add_u32_e32 v14, s91, v76
	v_add_co_u32_e32 v12, vcc, s36, v12
	v_ashrrev_i32_e32 v15, 31, v14
	v_addc_co_u32_e32 v13, vcc, v81, v13, vcc
	v_lshlrev_b64 v[14:15], 2, v[14:15]
	v_add_u32_e32 v16, s92, v76
	v_add_co_u32_e32 v14, vcc, s36, v14
	v_ashrrev_i32_e32 v17, 31, v16
	v_addc_co_u32_e32 v15, vcc, v81, v15, vcc
	v_lshlrev_b64 v[16:17], 2, v[16:17]
	v_add_u32_e32 v18, s93, v76
	v_add_co_u32_e32 v16, vcc, s36, v16
	v_ashrrev_i32_e32 v19, 31, v18
	v_addc_co_u32_e32 v17, vcc, v81, v17, vcc
	v_lshlrev_b64 v[18:19], 2, v[18:19]
	v_add_u32_e32 v20, s94, v76
	v_add_co_u32_e32 v18, vcc, s36, v18
	v_ashrrev_i32_e32 v21, 31, v20
	v_addc_co_u32_e32 v19, vcc, v81, v19, vcc
	v_lshlrev_b64 v[20:21], 2, v[20:21]
	v_add_co_u32_e32 v20, vcc, s36, v20
	v_addc_co_u32_e32 v21, vcc, v81, v21, vcc
	global_load_dword v24, v[4:5], off
	global_load_dword v25, v[6:7], off
	global_load_dword v26, v[8:9], off
	global_load_dword v27, v[12:13], off
	global_load_dword v28, v[14:15], off
	global_load_dword v29, v[16:17], off
	global_load_dword v32, v[18:19], off
	global_load_dword v33, v[20:21], off
	v_add_u32_e32 v4, s95, v76
	v_ashrrev_i32_e32 v5, 31, v4
	v_lshlrev_b64 v[4:5], 2, v[4:5]
	v_add_u32_e32 v6, s16, v76
	v_add_co_u32_e32 v4, vcc, s36, v4
	v_ashrrev_i32_e32 v7, 31, v6
	v_addc_co_u32_e32 v5, vcc, v81, v5, vcc
	v_lshlrev_b64 v[6:7], 2, v[6:7]
	v_add_u32_e32 v8, s17, v76
	v_add_co_u32_e32 v6, vcc, s36, v6
	v_ashrrev_i32_e32 v9, 31, v8
	v_addc_co_u32_e32 v7, vcc, v81, v7, vcc
	v_lshlrev_b64 v[8:9], 2, v[8:9]
	v_add_u32_e32 v12, s33, v76
	v_add_co_u32_e32 v8, vcc, s36, v8
	v_ashrrev_i32_e32 v13, 31, v12
	v_addc_co_u32_e32 v9, vcc, v81, v9, vcc
	v_lshlrev_b64 v[12:13], 2, v[12:13]
	v_add_u32_e32 v14, s42, v76
	v_add_co_u32_e32 v12, vcc, s36, v12
	v_ashrrev_i32_e32 v15, 31, v14
	v_addc_co_u32_e32 v13, vcc, v81, v13, vcc
	v_lshlrev_b64 v[14:15], 2, v[14:15]
	v_add_u32_e32 v16, s0, v76
	v_add_co_u32_e32 v14, vcc, s36, v14
	v_ashrrev_i32_e32 v17, 31, v16
	v_addc_co_u32_e32 v15, vcc, v81, v15, vcc
	v_lshlrev_b64 v[16:17], 2, v[16:17]
	v_add_u32_e32 v18, s1, v76
	v_add_co_u32_e32 v16, vcc, s36, v16
	v_ashrrev_i32_e32 v19, 31, v18
	v_addc_co_u32_e32 v17, vcc, v81, v17, vcc
	v_lshlrev_b64 v[18:19], 2, v[18:19]
	v_add_u32_e32 v20, s12, v76
	v_add_co_u32_e32 v18, vcc, s36, v18
	v_ashrrev_i32_e32 v21, 31, v20
	v_addc_co_u32_e32 v19, vcc, v81, v19, vcc
	v_lshlrev_b64 v[20:21], 2, v[20:21]
	v_add_co_u32_e32 v20, vcc, s36, v20
	v_addc_co_u32_e32 v21, vcc, v81, v21, vcc
	global_load_dword v34, v[4:5], off
	global_load_dword v35, v[6:7], off
	global_load_dword v36, v[8:9], off
	global_load_dword v37, v[12:13], off
	global_load_dword v38, v[14:15], off
	global_load_dword v39, v[16:17], off
	global_load_dword v42, v[18:19], off
	global_load_dword v43, v[20:21], off
	v_add_u32_e32 v4, s13, v76
	v_ashrrev_i32_e32 v5, 31, v4
	v_lshlrev_b64 v[4:5], 2, v[4:5]
	v_add_u32_e32 v6, s2, v76
	v_add_co_u32_e32 v4, vcc, s36, v4
	v_ashrrev_i32_e32 v7, 31, v6
	;; [unrolled: 48-line block ×5, first 2 shown]
	v_addc_co_u32_e32 v5, vcc, v81, v5, vcc
	v_lshlrev_b64 v[6:7], 2, v[6:7]
	v_add_u32_e32 v8, s45, v76
	v_add_co_u32_e32 v6, vcc, s36, v6
	v_ashrrev_i32_e32 v9, 31, v8
	v_addc_co_u32_e32 v7, vcc, v81, v7, vcc
	v_lshlrev_b64 v[8:9], 2, v[8:9]
	v_add_u32_e32 v12, s75, v76
	v_add_co_u32_e32 v8, vcc, s36, v8
	v_ashrrev_i32_e32 v13, 31, v12
	;; [unrolled: 5-line block ×3, first 2 shown]
	v_addc_co_u32_e32 v13, vcc, v81, v13, vcc
	v_lshlrev_b64 v[14:15], 2, v[14:15]
	v_add_co_u32_e32 v16, vcc, s36, v14
	v_add_u32_e32 v14, s77, v76
	v_addc_co_u32_e32 v17, vcc, v81, v15, vcc
	v_ashrrev_i32_e32 v15, 31, v14
	v_lshlrev_b64 v[14:15], 2, v[14:15]
	v_add_co_u32_e32 v20, vcc, s36, v14
	v_addc_co_u32_e32 v21, vcc, v81, v15, vcc
	ds_read_b64 v[30:31], v79 offset:64
	ds_read_b64 v[22:23], v79 offset:96
	;; [unrolled: 1-line block ×4, first 2 shown]
	global_load_dword v85, v[4:5], off
	global_load_dword v86, v[6:7], off
	;; [unrolled: 1-line block ×6, first 2 shown]
	ds_read_b64 v[12:13], v79 offset:192
	ds_read_b64 v[8:9], v79 offset:224
	ds_read_b64 v[6:7], v79 offset:256
	ds_read_b64 v[4:5], v79 offset:288
	s_waitcnt vmcnt(47)
	ds_write_b32 v78, v10 offset:64
	s_waitcnt vmcnt(46)
	ds_write_b32 v78, v11 offset:328
	s_waitcnt vmcnt(45)
	ds_write_b32 v78, v24 offset:592
	s_waitcnt vmcnt(44)
	ds_write_b32 v78, v25 offset:856
	s_waitcnt vmcnt(43)
	ds_write_b32 v78, v26 offset:1120
	s_waitcnt vmcnt(42)
	ds_write_b32 v78, v27 offset:1384
	s_waitcnt vmcnt(41)
	ds_write_b32 v78, v28 offset:1648
	s_waitcnt vmcnt(40)
	ds_write_b32 v78, v29 offset:1912
	s_waitcnt vmcnt(39)
	ds_write_b32 v78, v32 offset:2176
	s_waitcnt vmcnt(38)
	ds_write_b32 v78, v33 offset:2440
	s_waitcnt vmcnt(37)
	ds_write_b32 v78, v34 offset:2704
	s_waitcnt vmcnt(36)
	ds_write_b32 v78, v35 offset:2968
	s_waitcnt vmcnt(35)
	ds_write_b32 v78, v36 offset:3232
	s_waitcnt vmcnt(34)
	ds_write_b32 v78, v37 offset:3496
	s_waitcnt vmcnt(33)
	ds_write_b32 v78, v38 offset:3760
	s_waitcnt vmcnt(32)
	ds_write_b32 v78, v39 offset:4024
	ds_read_b64 v[46:47], v79 offset:64
	ds_read_b64 v[40:41], v79 offset:96
	ds_read_b64 v[36:37], v79 offset:128
	ds_read_b64 v[32:33], v79 offset:160
	ds_read_b64 v[26:27], v79 offset:192
	ds_read_b64 v[20:21], v79 offset:224
	ds_read_b64 v[16:17], v79 offset:256
	ds_read_b64 v[10:11], v79 offset:288
	s_waitcnt vmcnt(31)
	ds_write_b32 v78, v42 offset:64
	s_waitcnt vmcnt(30)
	ds_write_b32 v78, v43 offset:328
	s_waitcnt vmcnt(29)
	ds_write_b32 v78, v44 offset:592
	s_waitcnt vmcnt(28)
	ds_write_b32 v78, v45 offset:856
	s_waitcnt vmcnt(27)
	ds_write_b32 v78, v48 offset:1120
	s_waitcnt vmcnt(26)
	ds_write_b32 v78, v49 offset:1384
	s_waitcnt vmcnt(25)
	ds_write_b32 v78, v50 offset:1648
	s_waitcnt vmcnt(24)
	ds_write_b32 v78, v51 offset:1912
	s_waitcnt vmcnt(23)
	ds_write_b32 v78, v52 offset:2176
	s_waitcnt vmcnt(22)
	ds_write_b32 v78, v53 offset:2440
	s_waitcnt vmcnt(21)
	ds_write_b32 v78, v54 offset:2704
	s_waitcnt vmcnt(20)
	ds_write_b32 v78, v55 offset:2968
	s_waitcnt vmcnt(19)
	ds_write_b32 v78, v56 offset:3232
	s_waitcnt vmcnt(18)
	ds_write_b32 v78, v57 offset:3496
	s_waitcnt vmcnt(17)
	ds_write_b32 v78, v58 offset:3760
	s_waitcnt vmcnt(16)
	ds_write_b32 v78, v59 offset:4024
	ds_read_b64 v[54:55], v79 offset:64
	ds_read_b64 v[50:51], v79 offset:96
	ds_read_b64 v[48:49], v79 offset:128
	ds_read_b64 v[44:45], v79 offset:160
	;; [unrolled: 40-line block ×3, first 2 shown]
	ds_read_b64 v[58:59], v79 offset:192
	ds_read_b64 v[56:57], v79 offset:224
	;; [unrolled: 1-line block ×4, first 2 shown]
	s_andn2_b64 vcc, exec, s[6:7]
	v_mov_b32_e32 v83, 0
	s_cbranch_vccnz .LBB79_88
; %bb.85:                               ;   in Loop: Header=BB79_84 Depth=1
	ds_read_b32 v83, v77
	s_waitcnt lgkmcnt(0)
	v_cmp_gt_i32_e32 vcc, 0, v83
	s_cbranch_vccnz .LBB79_87
; %bb.86:                               ;   in Loop: Header=BB79_84 Depth=1
	v_mul_lo_u32 v83, v83, s37
	v_add_u32_e32 v84, v76, v83
	v_ashrrev_i32_e32 v85, 31, v84
	v_lshlrev_b64 v[84:85], 2, v[84:85]
	v_mov_b32_e32 v83, s43
	v_add_co_u32_e32 v84, vcc, s39, v84
	v_addc_co_u32_e32 v85, vcc, v83, v85, vcc
	global_load_dword v83, v[84:85], off
	s_branch .LBB79_88
.LBB79_87:                              ;   in Loop: Header=BB79_84 Depth=1
	v_mov_b32_e32 v83, 0
.LBB79_88:                              ;   in Loop: Header=BB79_84 Depth=1
	s_waitcnt vmcnt(0)
	ds_write_b32 v78, v83 offset:64
	s_andn2_b64 vcc, exec, s[22:23]
	v_mov_b32_e32 v83, 0
	v_mov_b32_e32 v84, 0
	s_cbranch_vccnz .LBB79_91
; %bb.89:                               ;   in Loop: Header=BB79_84 Depth=1
	ds_read_b32 v84, v77 offset:4
	s_waitcnt lgkmcnt(0)
	v_cmp_gt_i32_e32 vcc, 0, v84
	s_cbranch_vccnz .LBB79_94
; %bb.90:                               ;   in Loop: Header=BB79_84 Depth=1
	v_mul_lo_u32 v84, v84, s37
	v_add_u32_e32 v84, s28, v84
	v_add_u32_e32 v84, v84, v76
	v_ashrrev_i32_e32 v85, 31, v84
	v_lshlrev_b64 v[84:85], 2, v[84:85]
	v_mov_b32_e32 v86, s43
	v_add_co_u32_e32 v84, vcc, s39, v84
	v_addc_co_u32_e32 v85, vcc, v86, v85, vcc
	global_load_dword v84, v[84:85], off
.LBB79_91:                              ;   in Loop: Header=BB79_84 Depth=1
	s_andn2_b64 vcc, exec, s[30:31]
	s_waitcnt vmcnt(0)
	ds_write_b32 v78, v84 offset:328
	s_cbranch_vccnz .LBB79_96
.LBB79_92:                              ;   in Loop: Header=BB79_84 Depth=1
	ds_read_b32 v83, v77 offset:8
	s_waitcnt lgkmcnt(0)
	v_cmp_gt_i32_e32 vcc, 0, v83
	s_cbranch_vccnz .LBB79_95
; %bb.93:                               ;   in Loop: Header=BB79_84 Depth=1
	v_mul_lo_u32 v83, v83, s37
	v_readlane_b32 vcc_lo, v91, 24
	v_add_u32_e32 v83, vcc_lo, v83
	v_add_u32_e32 v84, v83, v76
	v_ashrrev_i32_e32 v85, 31, v84
	v_lshlrev_b64 v[84:85], 2, v[84:85]
	v_mov_b32_e32 v83, s43
	v_add_co_u32_e32 v84, vcc, s39, v84
	v_addc_co_u32_e32 v85, vcc, v83, v85, vcc
	global_load_dword v83, v[84:85], off
	s_branch .LBB79_96
.LBB79_94:                              ;   in Loop: Header=BB79_84 Depth=1
	v_mov_b32_e32 v84, 0
	s_andn2_b64 vcc, exec, s[30:31]
	ds_write_b32 v78, v84 offset:328
	s_cbranch_vccz .LBB79_92
	s_branch .LBB79_96
.LBB79_95:                              ;   in Loop: Header=BB79_84 Depth=1
	v_mov_b32_e32 v83, 0
.LBB79_96:                              ;   in Loop: Header=BB79_84 Depth=1
	s_waitcnt vmcnt(0)
	ds_write_b32 v78, v83 offset:592
	s_andn2_b64 vcc, exec, s[34:35]
	v_mov_b32_e32 v83, 0
	v_mov_b32_e32 v84, 0
	s_cbranch_vccnz .LBB79_99
; %bb.97:                               ;   in Loop: Header=BB79_84 Depth=1
	ds_read_b32 v84, v77 offset:12
	s_waitcnt lgkmcnt(0)
	v_cmp_gt_i32_e32 vcc, 0, v84
	s_cbranch_vccnz .LBB79_102
; %bb.98:                               ;   in Loop: Header=BB79_84 Depth=1
	v_mul_lo_u32 v84, v84, s37
	s_mul_i32 vcc_lo, s28, 3
	v_add_u32_e32 v84, vcc_lo, v84
	v_add_u32_e32 v84, v84, v76
	v_ashrrev_i32_e32 v85, 31, v84
	v_lshlrev_b64 v[84:85], 2, v[84:85]
	v_mov_b32_e32 v86, s43
	v_add_co_u32_e32 v84, vcc, s39, v84
	v_addc_co_u32_e32 v85, vcc, v86, v85, vcc
	global_load_dword v84, v[84:85], off
.LBB79_99:                              ;   in Loop: Header=BB79_84 Depth=1
	s_andn2_b64 vcc, exec, s[40:41]
	s_waitcnt vmcnt(0)
	ds_write_b32 v78, v84 offset:856
	s_cbranch_vccnz .LBB79_104
.LBB79_100:                             ;   in Loop: Header=BB79_84 Depth=1
	ds_read_b32 v83, v77 offset:16
	s_waitcnt lgkmcnt(0)
	v_cmp_gt_i32_e32 vcc, 0, v83
	s_cbranch_vccnz .LBB79_103
; %bb.101:                              ;   in Loop: Header=BB79_84 Depth=1
	v_mul_lo_u32 v83, v83, s37
	v_readlane_b32 vcc_lo, v91, 25
	v_add_u32_e32 v83, vcc_lo, v83
	v_add_u32_e32 v84, v83, v76
	v_ashrrev_i32_e32 v85, 31, v84
	v_lshlrev_b64 v[84:85], 2, v[84:85]
	v_mov_b32_e32 v83, s43
	v_add_co_u32_e32 v84, vcc, s39, v84
	v_addc_co_u32_e32 v85, vcc, v83, v85, vcc
	global_load_dword v83, v[84:85], off
	s_branch .LBB79_104
.LBB79_102:                             ;   in Loop: Header=BB79_84 Depth=1
	v_mov_b32_e32 v84, 0
	s_andn2_b64 vcc, exec, s[40:41]
	ds_write_b32 v78, v84 offset:856
	s_cbranch_vccz .LBB79_100
	s_branch .LBB79_104
.LBB79_103:                             ;   in Loop: Header=BB79_84 Depth=1
	v_mov_b32_e32 v83, 0
.LBB79_104:                             ;   in Loop: Header=BB79_84 Depth=1
	s_waitcnt vmcnt(0)
	ds_write_b32 v78, v83 offset:1120
	s_andn2_b64 vcc, exec, s[46:47]
	v_mov_b32_e32 v83, 0
	v_mov_b32_e32 v84, 0
	s_cbranch_vccnz .LBB79_107
; %bb.105:                              ;   in Loop: Header=BB79_84 Depth=1
	ds_read_b32 v84, v77 offset:20
	s_waitcnt lgkmcnt(0)
	v_cmp_gt_i32_e32 vcc, 0, v84
	s_cbranch_vccnz .LBB79_110
; %bb.106:                              ;   in Loop: Header=BB79_84 Depth=1
	v_mul_lo_u32 v84, v84, s37
	s_mul_i32 vcc_lo, s28, 5
	v_add_u32_e32 v84, vcc_lo, v84
	v_add_u32_e32 v84, v84, v76
	v_ashrrev_i32_e32 v85, 31, v84
	v_lshlrev_b64 v[84:85], 2, v[84:85]
	v_mov_b32_e32 v86, s43
	v_add_co_u32_e32 v84, vcc, s39, v84
	v_addc_co_u32_e32 v85, vcc, v86, v85, vcc
	global_load_dword v84, v[84:85], off
.LBB79_107:                             ;   in Loop: Header=BB79_84 Depth=1
	s_andn2_b64 vcc, exec, s[48:49]
	s_waitcnt vmcnt(0)
	ds_write_b32 v78, v84 offset:1384
	s_cbranch_vccnz .LBB79_112
.LBB79_108:                             ;   in Loop: Header=BB79_84 Depth=1
	ds_read_b32 v83, v77 offset:24
	s_waitcnt lgkmcnt(0)
	v_cmp_gt_i32_e32 vcc, 0, v83
	s_cbranch_vccnz .LBB79_111
; %bb.109:                              ;   in Loop: Header=BB79_84 Depth=1
	v_mul_lo_u32 v83, v83, s37
	s_mul_i32 vcc_lo, s28, 6
	v_add_u32_e32 v83, vcc_lo, v83
	v_add_u32_e32 v84, v83, v76
	v_ashrrev_i32_e32 v85, 31, v84
	v_lshlrev_b64 v[84:85], 2, v[84:85]
	v_mov_b32_e32 v83, s43
	v_add_co_u32_e32 v84, vcc, s39, v84
	v_addc_co_u32_e32 v85, vcc, v83, v85, vcc
	global_load_dword v83, v[84:85], off
	s_branch .LBB79_112
.LBB79_110:                             ;   in Loop: Header=BB79_84 Depth=1
	v_mov_b32_e32 v84, 0
	s_andn2_b64 vcc, exec, s[48:49]
	ds_write_b32 v78, v84 offset:1384
	s_cbranch_vccz .LBB79_108
	s_branch .LBB79_112
.LBB79_111:                             ;   in Loop: Header=BB79_84 Depth=1
	v_mov_b32_e32 v83, 0
.LBB79_112:                             ;   in Loop: Header=BB79_84 Depth=1
	s_waitcnt vmcnt(0)
	ds_write_b32 v78, v83 offset:1648
	s_andn2_b64 vcc, exec, s[50:51]
	v_mov_b32_e32 v83, 0
	v_mov_b32_e32 v84, 0
	s_cbranch_vccnz .LBB79_115
; %bb.113:                              ;   in Loop: Header=BB79_84 Depth=1
	ds_read_b32 v84, v77 offset:28
	s_waitcnt lgkmcnt(0)
	v_cmp_gt_i32_e32 vcc, 0, v84
	s_cbranch_vccnz .LBB79_118
; %bb.114:                              ;   in Loop: Header=BB79_84 Depth=1
	v_mul_lo_u32 v84, v84, s37
	s_mul_i32 vcc_lo, s28, 7
	v_add_u32_e32 v84, vcc_lo, v84
	v_add_u32_e32 v84, v84, v76
	v_ashrrev_i32_e32 v85, 31, v84
	v_lshlrev_b64 v[84:85], 2, v[84:85]
	v_mov_b32_e32 v86, s43
	v_add_co_u32_e32 v84, vcc, s39, v84
	v_addc_co_u32_e32 v85, vcc, v86, v85, vcc
	global_load_dword v84, v[84:85], off
.LBB79_115:                             ;   in Loop: Header=BB79_84 Depth=1
	s_andn2_b64 vcc, exec, s[52:53]
	s_waitcnt vmcnt(0)
	ds_write_b32 v78, v84 offset:1912
	s_cbranch_vccnz .LBB79_120
.LBB79_116:                             ;   in Loop: Header=BB79_84 Depth=1
	ds_read_b32 v83, v77 offset:32
	s_waitcnt lgkmcnt(0)
	v_cmp_gt_i32_e32 vcc, 0, v83
	s_cbranch_vccnz .LBB79_119
; %bb.117:                              ;   in Loop: Header=BB79_84 Depth=1
	v_mul_lo_u32 v83, v83, s37
	v_readlane_b32 vcc_lo, v91, 26
	v_add_u32_e32 v83, vcc_lo, v83
	v_add_u32_e32 v84, v83, v76
	v_ashrrev_i32_e32 v85, 31, v84
	v_lshlrev_b64 v[84:85], 2, v[84:85]
	v_mov_b32_e32 v83, s43
	v_add_co_u32_e32 v84, vcc, s39, v84
	v_addc_co_u32_e32 v85, vcc, v83, v85, vcc
	global_load_dword v83, v[84:85], off
	s_branch .LBB79_120
.LBB79_118:                             ;   in Loop: Header=BB79_84 Depth=1
	v_mov_b32_e32 v84, 0
	s_andn2_b64 vcc, exec, s[52:53]
	ds_write_b32 v78, v84 offset:1912
	s_cbranch_vccz .LBB79_116
	s_branch .LBB79_120
.LBB79_119:                             ;   in Loop: Header=BB79_84 Depth=1
	v_mov_b32_e32 v83, 0
.LBB79_120:                             ;   in Loop: Header=BB79_84 Depth=1
	s_waitcnt vmcnt(0)
	ds_write_b32 v78, v83 offset:2176
	s_andn2_b64 vcc, exec, s[54:55]
	v_mov_b32_e32 v83, 0
	v_mov_b32_e32 v84, 0
	s_cbranch_vccnz .LBB79_123
; %bb.121:                              ;   in Loop: Header=BB79_84 Depth=1
	ds_read_b32 v84, v77 offset:36
	s_waitcnt lgkmcnt(0)
	v_cmp_gt_i32_e32 vcc, 0, v84
	s_cbranch_vccnz .LBB79_126
; %bb.122:                              ;   in Loop: Header=BB79_84 Depth=1
	v_mul_lo_u32 v84, v84, s37
	s_mul_i32 vcc_lo, s28, 9
	v_add_u32_e32 v84, vcc_lo, v84
	v_add_u32_e32 v84, v84, v76
	v_ashrrev_i32_e32 v85, 31, v84
	v_lshlrev_b64 v[84:85], 2, v[84:85]
	v_mov_b32_e32 v86, s43
	v_add_co_u32_e32 v84, vcc, s39, v84
	v_addc_co_u32_e32 v85, vcc, v86, v85, vcc
	global_load_dword v84, v[84:85], off
.LBB79_123:                             ;   in Loop: Header=BB79_84 Depth=1
	s_andn2_b64 vcc, exec, s[56:57]
	s_waitcnt vmcnt(0)
	ds_write_b32 v78, v84 offset:2440
	s_cbranch_vccnz .LBB79_128
.LBB79_124:                             ;   in Loop: Header=BB79_84 Depth=1
	ds_read_b32 v83, v77 offset:40
	s_waitcnt lgkmcnt(0)
	v_cmp_gt_i32_e32 vcc, 0, v83
	s_cbranch_vccnz .LBB79_127
; %bb.125:                              ;   in Loop: Header=BB79_84 Depth=1
	v_mul_lo_u32 v83, v83, s37
	s_mul_i32 vcc_lo, s28, 10
	v_add_u32_e32 v83, vcc_lo, v83
	v_add_u32_e32 v84, v83, v76
	v_ashrrev_i32_e32 v85, 31, v84
	v_lshlrev_b64 v[84:85], 2, v[84:85]
	v_mov_b32_e32 v83, s43
	v_add_co_u32_e32 v84, vcc, s39, v84
	v_addc_co_u32_e32 v85, vcc, v83, v85, vcc
	global_load_dword v83, v[84:85], off
	s_branch .LBB79_128
.LBB79_126:                             ;   in Loop: Header=BB79_84 Depth=1
	v_mov_b32_e32 v84, 0
	s_andn2_b64 vcc, exec, s[56:57]
	ds_write_b32 v78, v84 offset:2440
	s_cbranch_vccz .LBB79_124
	s_branch .LBB79_128
.LBB79_127:                             ;   in Loop: Header=BB79_84 Depth=1
	v_mov_b32_e32 v83, 0
.LBB79_128:                             ;   in Loop: Header=BB79_84 Depth=1
	s_waitcnt vmcnt(0)
	ds_write_b32 v78, v83 offset:2704
	s_andn2_b64 vcc, exec, s[58:59]
	v_mov_b32_e32 v83, 0
	v_mov_b32_e32 v84, 0
	s_cbranch_vccnz .LBB79_131
; %bb.129:                              ;   in Loop: Header=BB79_84 Depth=1
	ds_read_b32 v84, v77 offset:44
	s_waitcnt lgkmcnt(0)
	v_cmp_gt_i32_e32 vcc, 0, v84
	s_cbranch_vccnz .LBB79_134
; %bb.130:                              ;   in Loop: Header=BB79_84 Depth=1
	v_mul_lo_u32 v84, v84, s37
	s_mul_i32 vcc_lo, s28, 11
	v_add_u32_e32 v84, vcc_lo, v84
	v_add_u32_e32 v84, v84, v76
	v_ashrrev_i32_e32 v85, 31, v84
	v_lshlrev_b64 v[84:85], 2, v[84:85]
	v_mov_b32_e32 v86, s43
	v_add_co_u32_e32 v84, vcc, s39, v84
	v_addc_co_u32_e32 v85, vcc, v86, v85, vcc
	global_load_dword v84, v[84:85], off
.LBB79_131:                             ;   in Loop: Header=BB79_84 Depth=1
	s_andn2_b64 vcc, exec, s[60:61]
	s_waitcnt vmcnt(0)
	ds_write_b32 v78, v84 offset:2968
	s_cbranch_vccnz .LBB79_83
.LBB79_132:                             ;   in Loop: Header=BB79_84 Depth=1
	ds_read_b32 v83, v77 offset:48
	s_waitcnt lgkmcnt(0)
	v_cmp_gt_i32_e32 vcc, 0, v83
	s_cbranch_vccz .LBB79_82
; %bb.133:                              ;   in Loop: Header=BB79_84 Depth=1
	v_mov_b32_e32 v83, 0
	s_branch .LBB79_83
.LBB79_134:                             ;   in Loop: Header=BB79_84 Depth=1
	v_mov_b32_e32 v84, 0
	s_andn2_b64 vcc, exec, s[60:61]
	ds_write_b32 v78, v84 offset:2968
	s_cbranch_vccnz .LBB79_83
	s_branch .LBB79_132
.LBB79_135:
	s_or_b64 exec, exec, s[26:27]
	v_readlane_b32 s48, v91, 16
	v_readlane_b32 s12, v91, 20
	;; [unrolled: 1-line block ×9, first 2 shown]
.LBB79_136:
	v_readlane_b32 s0, v91, 14
	v_readlane_b32 s1, v91, 15
	s_or_b64 exec, exec, s[0:1]
	v_mul_u32_u24_e32 v0, 0x208, v75
	s_movk_i32 s1, 0x100
	v_lshlrev_b32_e32 v1, 2, v74
	v_add3_u32 v0, s1, v0, v1
	v_and_b32_e32 v4, 0x3f0, v2
	v_add_u32_e32 v5, v0, v4
	s_barrier
	ds_write2_b32 v5, a12, a13 offset0:16 offset1:17
	v_or_b32_e32 v5, 12, v2
	v_add_u32_e32 v1, 64, v0
	v_and_b32_e32 v5, 0x3fc, v5
	v_add_u32_e32 v4, v1, v4
	v_add_u32_e32 v0, v0, v5
	ds_write_b32 v4, a14 offset:8
	ds_write_b32 v0, a15 offset:64
	ds_write2_b32 v4, a8, a9 offset0:16 offset1:17
	ds_write_b32 v4, a10 offset:72
	v_add_u32_e32 v0, v1, v5
	v_mov_b32_e32 v5, 0x100
	s_movk_i32 s0, 0x208
	ds_write_b32 v0, a11 offset:64
	ds_write2_b32 v4, a4, a5 offset0:32 offset1:33
	ds_write_b32 v4, a6 offset:136
	ds_write_b32 v0, a7 offset:128
	ds_write2_b32 v4, a0, a1 offset0:48 offset1:49
	ds_write_b32 v4, a2 offset:200
	ds_write_b32 v0, a3 offset:192
	v_lshl_add_u32 v4, v2, 2, v5
	v_mad_u32_u24 v0, v3, s0, v4
	s_waitcnt lgkmcnt(0)
	s_barrier
	ds_read2_b32 v[0:1], v0 offset0:16 offset1:80
	v_cmp_gt_u32_e32 vcc, 13, v3
	v_mov_b32_e32 v6, -1
	s_and_saveexec_b64 s[4:5], vcc
	s_cbranch_execz .LBB79_138
; %bb.137:
	v_lshl_add_u32 v5, v3, 2, v5
	ds_read_b32 v6, v5
.LBB79_138:
	s_or_b64 exec, exec, s[4:5]
	s_mul_hi_i32 s1, s14, s8
	s_mul_i32 s0, s14, s8
	s_lshl_b64 s[0:1], s[0:1], 2
	v_readlane_b32 s4, v91, 12
	s_mul_hi_i32 s3, s60, s29
	s_mul_i32 s2, s60, s29
	v_readlane_b32 s5, v91, 13
	s_add_u32 s4, s4, s0
	s_addc_u32 s5, s5, s1
	s_lshl_b64 s[0:1], s[2:3], 2
	s_add_u32 s2, s4, s0
	s_waitcnt lgkmcnt(0)
	v_cmp_lt_i32_e32 vcc, -1, v6
	v_mul_u32_u24_e32 v5, 0x208, v3
	v_add_u32_e32 v2, s6, v2
	s_addc_u32 s3, s5, s1
	s_and_b64 s[4:5], vcc, s[48:49]
	s_and_saveexec_b64 s[0:1], s[4:5]
	s_cbranch_execz .LBB79_140
; %bb.139:
	v_add_f32_e32 v0, 0, v0
	v_add_f32_e32 v7, v0, v1
	v_mul_lo_u32 v0, v6, s38
	v_mul_lo_u32 v1, v3, s29
	v_add3_u32 v0, v2, v1, v0
	v_mov_b32_e32 v1, 0
	v_lshlrev_b64 v[0:1], 2, v[0:1]
	v_mov_b32_e32 v6, s3
	v_add_co_u32_e32 v0, vcc, s2, v0
	v_addc_co_u32_e32 v1, vcc, v6, v1, vcc
	global_store_dword v[0:1], v7, off
.LBB79_140:
	s_or_b64 exec, exec, s[0:1]
	v_add_u32_e32 v4, v5, v4
	v_add_u32_e32 v0, 0x50, v4
	ds_read2st64_b32 v[0:1], v0 offset0:4 offset1:5
	v_cmp_gt_u32_e32 vcc, 11, v3
	v_mov_b32_e32 v5, -1
	s_and_saveexec_b64 s[0:1], vcc
	s_cbranch_execz .LBB79_142
; %bb.141:
	v_mov_b32_e32 v5, 0x100
	v_lshl_add_u32 v5, v3, 2, v5
	ds_read_b32 v5, v5 offset:8
.LBB79_142:
	s_or_b64 exec, exec, s[0:1]
	v_readlane_b32 s0, v91, 0
	s_waitcnt lgkmcnt(0)
	v_cmp_lt_i32_e32 vcc, -1, v5
	v_readlane_b32 s1, v91, 1
	s_and_b64 s[4:5], vcc, s[0:1]
	s_and_saveexec_b64 s[0:1], s[4:5]
	s_cbranch_execz .LBB79_144
; %bb.143:
	v_add_f32_e32 v0, 0, v0
	v_add_f32_e32 v6, v0, v1
	v_mul_lo_u32 v0, v5, s38
	v_mul_lo_u32 v1, v68, s29
	v_add3_u32 v0, v2, v1, v0
	v_mov_b32_e32 v1, 0
	v_lshlrev_b64 v[0:1], 2, v[0:1]
	v_mov_b32_e32 v5, s3
	v_add_co_u32_e32 v0, vcc, s2, v0
	v_addc_co_u32_e32 v1, vcc, v5, v1, vcc
	global_store_dword v[0:1], v6, off
.LBB79_144:
	s_or_b64 exec, exec, s[0:1]
	v_add_u32_e32 v0, 0x60, v4
	ds_read2st64_b32 v[0:1], v0 offset0:8 offset1:9
	v_cmp_gt_u32_e32 vcc, 9, v3
	v_mov_b32_e32 v5, -1
	s_and_saveexec_b64 s[0:1], vcc
	s_cbranch_execz .LBB79_146
; %bb.145:
	v_mov_b32_e32 v5, 0x100
	v_lshl_add_u32 v5, v3, 2, v5
	ds_read_b32 v5, v5 offset:16
.LBB79_146:
	s_or_b64 exec, exec, s[0:1]
	v_readlane_b32 s0, v91, 2
	s_waitcnt lgkmcnt(0)
	v_cmp_lt_i32_e32 vcc, -1, v5
	v_readlane_b32 s1, v91, 3
	s_and_b64 s[4:5], vcc, s[0:1]
	s_and_saveexec_b64 s[0:1], s[4:5]
	s_cbranch_execz .LBB79_148
; %bb.147:
	v_add_f32_e32 v0, 0, v0
	v_add_f32_e32 v6, v0, v1
	v_mul_lo_u32 v0, v5, s38
	v_mul_lo_u32 v1, v69, s29
	v_add3_u32 v0, v2, v1, v0
	v_mov_b32_e32 v1, 0
	v_lshlrev_b64 v[0:1], 2, v[0:1]
	v_mov_b32_e32 v5, s3
	v_add_co_u32_e32 v0, vcc, s2, v0
	v_addc_co_u32_e32 v1, vcc, v5, v1, vcc
	global_store_dword v[0:1], v6, off
.LBB79_148:
	s_or_b64 exec, exec, s[0:1]
	;; [unrolled: 33-line block ×5, first 2 shown]
	v_cmp_eq_u32_e32 vcc, 0, v3
	s_and_saveexec_b64 s[0:1], vcc
	s_cbranch_execz .LBB79_163
; %bb.161:
	v_mov_b32_e32 v0, 0x100
	ds_read_b32 v0, v0 offset:48
	v_readlane_b32 s4, v91, 10
	v_readlane_b32 s5, v91, 11
	s_waitcnt lgkmcnt(0)
	v_readfirstlane_b32 s0, v0
	s_cmp_gt_i32 s0, -1
	s_cselect_b64 s[0:1], -1, 0
	s_and_b64 s[0:1], s[0:1], s[4:5]
	s_and_b64 exec, exec, s[0:1]
	s_cbranch_execz .LBB79_163
; %bb.162:
	v_add_u32_e32 v1, 0xa0, v4
	ds_read2st64_b32 v[4:5], v1 offset0:24 offset1:25
	v_mul_lo_u32 v0, v0, s38
	v_mul_lo_u32 v3, v73, s29
	v_mov_b32_e32 v1, 0
	v_add3_u32 v0, v2, v3, v0
	v_lshlrev_b64 v[0:1], 2, v[0:1]
	s_waitcnt lgkmcnt(0)
	v_add_f32_e32 v2, 0, v4
	v_mov_b32_e32 v3, s3
	v_add_co_u32_e32 v0, vcc, s2, v0
	v_add_f32_e32 v2, v2, v5
	v_addc_co_u32_e32 v1, vcc, v3, v1, vcc
	global_store_dword v[0:1], v2, off
.LBB79_163:
	s_endpgm
	.section	.rodata,"a",@progbits
	.p2align	6, 0x0
	.amdhsa_kernel _ZL9mul_mat_fIfLi64ELi13ELi2ELb1EEvPKT_PKfPKiPfiiiiiiiiiiiiiiii
		.amdhsa_group_segment_fixed_size 256
		.amdhsa_private_segment_fixed_size 0
		.amdhsa_kernarg_size 352
		.amdhsa_user_sgpr_count 6
		.amdhsa_user_sgpr_private_segment_buffer 1
		.amdhsa_user_sgpr_dispatch_ptr 0
		.amdhsa_user_sgpr_queue_ptr 0
		.amdhsa_user_sgpr_kernarg_segment_ptr 1
		.amdhsa_user_sgpr_dispatch_id 0
		.amdhsa_user_sgpr_flat_scratch_init 0
		.amdhsa_user_sgpr_kernarg_preload_length 0
		.amdhsa_user_sgpr_kernarg_preload_offset 0
		.amdhsa_user_sgpr_private_segment_size 0
		.amdhsa_uses_dynamic_stack 0
		.amdhsa_system_sgpr_private_segment_wavefront_offset 0
		.amdhsa_system_sgpr_workgroup_id_x 1
		.amdhsa_system_sgpr_workgroup_id_y 1
		.amdhsa_system_sgpr_workgroup_id_z 1
		.amdhsa_system_sgpr_workgroup_info 0
		.amdhsa_system_vgpr_workitem_id 2
		.amdhsa_next_free_vgpr 108
		.amdhsa_next_free_sgpr 96
		.amdhsa_accum_offset 92
		.amdhsa_reserve_vcc 1
		.amdhsa_reserve_flat_scratch 0
		.amdhsa_float_round_mode_32 0
		.amdhsa_float_round_mode_16_64 0
		.amdhsa_float_denorm_mode_32 3
		.amdhsa_float_denorm_mode_16_64 3
		.amdhsa_dx10_clamp 1
		.amdhsa_ieee_mode 1
		.amdhsa_fp16_overflow 0
		.amdhsa_tg_split 0
		.amdhsa_exception_fp_ieee_invalid_op 0
		.amdhsa_exception_fp_denorm_src 0
		.amdhsa_exception_fp_ieee_div_zero 0
		.amdhsa_exception_fp_ieee_overflow 0
		.amdhsa_exception_fp_ieee_underflow 0
		.amdhsa_exception_fp_ieee_inexact 0
		.amdhsa_exception_int_div_zero 0
	.end_amdhsa_kernel
	.section	.text._ZL9mul_mat_fIfLi64ELi13ELi2ELb1EEvPKT_PKfPKiPfiiiiiiiiiiiiiiii,"axG",@progbits,_ZL9mul_mat_fIfLi64ELi13ELi2ELb1EEvPKT_PKfPKiPfiiiiiiiiiiiiiiii,comdat
.Lfunc_end79:
	.size	_ZL9mul_mat_fIfLi64ELi13ELi2ELb1EEvPKT_PKfPKiPfiiiiiiiiiiiiiiii, .Lfunc_end79-_ZL9mul_mat_fIfLi64ELi13ELi2ELb1EEvPKT_PKfPKiPfiiiiiiiiiiiiiiii
                                        ; -- End function
	.section	.AMDGPU.csdata,"",@progbits
; Kernel info:
; codeLenInByte = 10680
; NumSgprs: 100
; NumVgprs: 92
; NumAgprs: 16
; TotalNumVgprs: 108
; ScratchSize: 0
; MemoryBound: 0
; FloatMode: 240
; IeeeMode: 1
; LDSByteSize: 256 bytes/workgroup (compile time only)
; SGPRBlocks: 12
; VGPRBlocks: 13
; NumSGPRsForWavesPerEU: 100
; NumVGPRsForWavesPerEU: 108
; AccumOffset: 92
; Occupancy: 4
; WaveLimiterHint : 0
; COMPUTE_PGM_RSRC2:SCRATCH_EN: 0
; COMPUTE_PGM_RSRC2:USER_SGPR: 6
; COMPUTE_PGM_RSRC2:TRAP_HANDLER: 0
; COMPUTE_PGM_RSRC2:TGID_X_EN: 1
; COMPUTE_PGM_RSRC2:TGID_Y_EN: 1
; COMPUTE_PGM_RSRC2:TGID_Z_EN: 1
; COMPUTE_PGM_RSRC2:TIDIG_COMP_CNT: 2
; COMPUTE_PGM_RSRC3_GFX90A:ACCUM_OFFSET: 22
; COMPUTE_PGM_RSRC3_GFX90A:TG_SPLIT: 0
	.section	.text._ZL9mul_mat_fIfLi64ELi13ELi2ELb0EEvPKT_PKfPKiPfiiiiiiiiiiiiiiii,"axG",@progbits,_ZL9mul_mat_fIfLi64ELi13ELi2ELb0EEvPKT_PKfPKiPfiiiiiiiiiiiiiiii,comdat
	.globl	_ZL9mul_mat_fIfLi64ELi13ELi2ELb0EEvPKT_PKfPKiPfiiiiiiiiiiiiiiii ; -- Begin function _ZL9mul_mat_fIfLi64ELi13ELi2ELb0EEvPKT_PKfPKiPfiiiiiiiiiiiiiiii
	.p2align	8
	.type	_ZL9mul_mat_fIfLi64ELi13ELi2ELb0EEvPKT_PKfPKiPfiiiiiiiiiiiiiiii,@function
_ZL9mul_mat_fIfLi64ELi13ELi2ELb0EEvPKT_PKfPKiPfiiiiiiiiiiiiiiii: ; @_ZL9mul_mat_fIfLi64ELi13ELi2ELb0EEvPKT_PKfPKiPfiiiiiiiiiiiiiiii
; %bb.0:
	s_load_dwordx8 s[12:19], s[4:5], 0x40
	s_load_dword s9, s[4:5], 0x20
	s_load_dwordx4 s[0:3], s[4:5], 0x2c
	v_bfe_u32 v25, v0, 10, 10
	v_lshlrev_b32_e32 v95, 6, v25
	v_and_b32_e32 v94, 0x3ff, v0
	s_waitcnt lgkmcnt(0)
	s_abs_i32 s27, s12
	s_abs_i32 s26, s16
	v_cvt_f32_u32_e32 v1, s27
	v_cvt_f32_u32_e32 v2, s26
	v_add_u32_e32 v97, v95, v94
	s_mov_b32 s22, 0
	v_rcp_iflag_f32_e32 v1, v1
	v_rcp_iflag_f32_e32 v2, v2
	s_ashr_i32 s28, s8, 31
	v_cmp_le_i32_e32 vcc, s9, v97
	v_mul_f32_e32 v1, 0x4f7ffffe, v1
	v_mul_f32_e32 v2, 0x4f7ffffe, v2
	v_cvt_u32_f32_e32 v1, v1
	v_cvt_u32_f32_e32 v2, v2
	v_and_b32_e32 v96, 15, v94
	v_readfirstlane_b32 s21, v1
	v_readfirstlane_b32 s20, v2
	s_and_saveexec_b64 s[10:11], vcc
	s_xor_b64 s[10:11], exec, s[10:11]
; %bb.1:
	v_and_b32_e32 v96, 15, v94
                                        ; implicit-def: $vgpr97
; %bb.2:
	s_or_saveexec_b64 s[24:25], s[10:11]
	s_load_dwordx2 s[10:11], s[4:5], 0x18
	s_lshl_b32 s3, s6, 6
	v_accvgpr_write_b32 a0, s22
	v_accvgpr_write_b32 a1, s22
	;; [unrolled: 1-line block ×16, first 2 shown]
	s_xor_b64 exec, exec, s[24:25]
	s_cbranch_execz .LBB80_6
; %bb.3:
	s_sub_i32 s6, 0, s27
	s_sub_i32 s22, 0, s26
	s_mul_i32 s6, s6, s21
	s_mul_i32 s22, s22, s20
	s_mul_hi_u32 s6, s21, s6
	s_mul_hi_u32 s22, s20, s22
	s_abs_i32 s29, s7
	s_add_i32 s6, s21, s6
	s_add_i32 s31, s20, s22
	s_load_dwordx4 s[20:23], s[4:5], 0x0
	s_mul_hi_u32 s4, s29, s6
	s_ashr_i32 s6, s7, 31
	s_ashr_i32 s12, s12, 31
	s_xor_b32 s6, s6, s12
	s_mul_i32 s12, s4, s27
	s_abs_i32 s30, s8
	s_sub_i32 s12, s29, s12
	s_mul_hi_u32 s5, s30, s31
	s_ashr_i32 s16, s16, 31
	s_add_i32 s29, s4, 1
	s_sub_i32 s31, s12, s27
	s_cmp_ge_u32 s12, s27
	s_cselect_b32 s4, s29, s4
	s_cselect_b32 s12, s31, s12
	s_add_i32 s29, s4, 1
	s_cmp_ge_u32 s12, s27
	s_cselect_b32 s4, s29, s4
	s_mul_i32 s12, s5, s26
	s_xor_b32 s4, s4, s6
	s_sub_i32 s12, s30, s12
	s_sub_i32 s6, s4, s6
	s_xor_b32 s4, s28, s16
	s_add_i32 s16, s5, 1
	s_sub_i32 s27, s12, s26
	s_cmp_ge_u32 s12, s26
	s_cselect_b32 s5, s16, s5
	s_cselect_b32 s12, s27, s12
	s_add_i32 s16, s5, 1
	s_cmp_ge_u32 s12, s26
	s_cselect_b32 s5, s16, s5
	s_xor_b32 s5, s5, s4
	s_sub_i32 s4, s5, s4
	s_mul_i32 s12, s6, s13
	s_mul_i32 s16, s3, s0
	s_mul_hi_i32 s5, s4, s17
	s_mul_i32 s4, s4, s17
	s_ashr_i32 s13, s12, 31
	s_ashr_i32 s17, s16, 31
	s_lshl_b64 s[30:31], s[4:5], 2
	s_lshl_b64 s[4:5], s[16:17], 2
	;; [unrolled: 1-line block ×3, first 2 shown]
	s_waitcnt lgkmcnt(0)
	s_add_u32 s6, s20, s12
	s_addc_u32 s12, s21, s13
	s_add_u32 s6, s6, s4
	s_mul_i32 s28, s7, s14
	s_addc_u32 s14, s12, s5
	s_add_u32 s4, s6, s30
	s_mul_hi_i32 s27, s18, s8
	s_mul_i32 s26, s18, s8
	s_addc_u32 s73, s14, s31
	s_ashr_i32 s29, s28, 31
	s_lshl_b64 s[12:13], s[26:27], 2
	s_lshl_b64 s[16:17], s[28:29], 2
	s_add_u32 s18, s22, s16
	s_addc_u32 s22, s23, s17
	s_add_u32 s5, s18, s12
	s_movk_i32 s16, 0x1080
	v_lshrrev_b32_e32 v2, 1, v94
	s_addc_u32 s74, s22, s13
	v_mad_u32_u24 v0, v25, s16, 0
	v_lshlrev_b32_e32 v16, 2, v94
	v_mul_u32_u24_e32 v1, 0x108, v96
	v_and_b32_e32 v2, 0x1f8, v2
	s_ashr_i32 s17, s0, 31
	s_mov_b32 s16, s0
	v_add_u32_e32 v98, v0, v16
	v_add3_u32 v99, v0, v1, v2
	s_ashr_i32 s21, s1, 31
	v_lshlrev_b32_e32 v0, 8, v25
	s_lshl_b64 s[16:17], s[16:17], 2
	v_mov_b32_e32 v1, s31
	v_add_co_u32_e32 v2, vcc, s30, v0
	s_add_u32 s16, s6, s16
	v_addc_co_u32_e32 v1, vcc, 0, v1, vcc
	s_addc_u32 s17, s14, s17
	v_mov_b32_e32 v3, s17
	v_add_co_u32_e32 v18, vcc, s16, v2
	v_addc_co_u32_e32 v17, vcc, v3, v1, vcc
	v_mov_b32_e32 v3, s14
	v_add_co_u32_e32 v20, vcc, s6, v2
	s_mov_b32 s20, s1
	v_addc_co_u32_e32 v19, vcc, v3, v1, vcc
	v_mov_b32_e32 v1, s13
	v_add_co_u32_e32 v0, vcc, s12, v0
	s_lshl_b64 s[12:13], s[20:21], 2
	s_add_u32 s6, s18, s12
	v_addc_co_u32_e32 v1, vcc, 0, v1, vcc
	s_addc_u32 s12, s22, s13
	v_mov_b32_e32 v2, s12
	v_add_co_u32_e32 v22, vcc, s6, v0
	v_addc_co_u32_e32 v21, vcc, v2, v1, vcc
	v_mov_b32_e32 v2, s22
	v_add_co_u32_e32 v24, vcc, s18, v0
	v_addc_co_u32_e32 v23, vcc, v2, v1, vcc
	s_lshl_b32 s6, s1, 1
	s_mul_i32 s12, s1, 3
	s_lshl_b32 s13, s1, 2
	s_mul_i32 s14, s1, 5
	s_mul_i32 s16, s1, 6
	s_mul_i32 s17, s1, 7
	s_lshl_b32 s18, s1, 3
	s_mul_i32 s20, s1, 9
	s_mul_i32 s21, s1, 10
	;; [unrolled: 1-line block ×4, first 2 shown]
	s_lshl_b32 s26, s0, 1
	s_mul_i32 s27, s0, 3
	s_lshl_b32 s28, s0, 2
	s_mul_i32 s29, s0, 5
	s_mul_i32 s30, s0, 6
	;; [unrolled: 1-line block ×3, first 2 shown]
	s_lshl_b32 s33, s0, 3
	s_mul_i32 s34, s0, 9
	s_mul_i32 s35, s0, 10
	;; [unrolled: 1-line block ×7, first 2 shown]
	s_lshl_b32 s41, s0, 4
	s_mul_i32 s42, s0, 17
	s_mul_i32 s43, s0, 18
	;; [unrolled: 1-line block ×15, first 2 shown]
	s_lshl_b32 s57, s0, 5
	s_mul_i32 s58, s0, 33
	s_mul_i32 s59, s0, 34
	;; [unrolled: 1-line block ×15, first 2 shown]
	v_mov_b32_e32 v100, s73
	s_mul_i32 s73, s0, 48
	v_mov_b32_e32 v101, s74
	s_mul_i32 s74, s0, 49
	v_mov_b32_e32 v102, 0
	v_accvgpr_write_b32 a15, 0
	v_accvgpr_write_b32 a14, 0
	;; [unrolled: 1-line block ×16, first 2 shown]
	s_mul_i32 s75, s0, 50
	s_mul_i32 s76, s0, 51
	;; [unrolled: 1-line block ×14, first 2 shown]
	s_movk_i32 s89, 0x200
	s_mov_b64 s[0:1], 0
.LBB80_4:                               ; =>This Inner Loop Header: Depth=1
	v_add_co_u32_e32 v26, vcc, v20, v16
	v_addc_co_u32_e32 v27, vcc, 0, v19, vcc
	global_load_dword v26, v[26:27], off
	v_add_u32_e32 v42, s41, v97
	v_ashrrev_i32_e32 v43, 31, v42
	v_lshlrev_b64 v[42:43], 2, v[42:43]
	v_add_u32_e32 v54, s57, v97
	v_ashrrev_i32_e32 v55, 31, v54
	v_lshlrev_b64 v[54:55], 2, v[54:55]
	;; [unrolled: 3-line block ×3, first 2 shown]
	v_accvgpr_read_b32 v8, a4
	v_accvgpr_read_b32 v7, a11
	;; [unrolled: 1-line block ×8, first 2 shown]
	v_accvgpr_write_b32 a8, v8
	v_accvgpr_write_b32 a9, v9
	;; [unrolled: 1-line block ×4, first 2 shown]
	v_accvgpr_read_b32 v0, a12
	v_accvgpr_read_b32 v12, a0
	;; [unrolled: 1-line block ×8, first 2 shown]
	v_accvgpr_write_b32 a0, v0
	v_accvgpr_write_b32 a4, v4
	;; [unrolled: 1-line block ×12, first 2 shown]
	s_waitcnt vmcnt(0)
	ds_write_b32 v98, v26
	v_add_co_u32_e32 v26, vcc, v18, v16
	v_addc_co_u32_e32 v27, vcc, 0, v17, vcc
	global_load_dword v26, v[26:27], off
	s_waitcnt vmcnt(0)
	ds_write_b32 v98, v26 offset:264
	v_add_u32_e32 v26, s26, v97
	v_ashrrev_i32_e32 v27, 31, v26
	v_lshlrev_b64 v[26:27], 2, v[26:27]
	v_add_co_u32_e32 v26, vcc, s4, v26
	v_addc_co_u32_e32 v27, vcc, v100, v27, vcc
	global_load_dword v26, v[26:27], off
	s_waitcnt vmcnt(0)
	ds_write_b32 v98, v26 offset:528
	v_add_u32_e32 v26, s27, v97
	v_ashrrev_i32_e32 v27, 31, v26
	v_lshlrev_b64 v[26:27], 2, v[26:27]
	;; [unrolled: 8-line block ×14, first 2 shown]
	v_add_co_u32_e32 v26, vcc, s4, v26
	v_addc_co_u32_e32 v27, vcc, v100, v27, vcc
	global_load_dword v26, v[26:27], off
	v_add_co_u32_e32 v42, vcc, s4, v42
	v_addc_co_u32_e32 v43, vcc, v100, v43, vcc
	s_waitcnt vmcnt(0)
	ds_write_b32 v98, v26 offset:3960
	ds_read_b64 v[40:41], v99
	ds_read_b64 v[38:39], v99 offset:32
	ds_read_b64 v[36:37], v99 offset:64
	;; [unrolled: 1-line block ×7, first 2 shown]
	global_load_dword v42, v[42:43], off
	s_waitcnt vmcnt(0)
	ds_write_b32 v98, v42
	v_add_u32_e32 v42, s42, v97
	v_ashrrev_i32_e32 v43, 31, v42
	v_lshlrev_b64 v[42:43], 2, v[42:43]
	v_add_co_u32_e32 v42, vcc, s4, v42
	v_addc_co_u32_e32 v43, vcc, v100, v43, vcc
	global_load_dword v42, v[42:43], off
	s_waitcnt vmcnt(0)
	ds_write_b32 v98, v42 offset:264
	v_add_u32_e32 v42, s43, v97
	v_ashrrev_i32_e32 v43, 31, v42
	v_lshlrev_b64 v[42:43], 2, v[42:43]
	v_add_co_u32_e32 v42, vcc, s4, v42
	v_addc_co_u32_e32 v43, vcc, v100, v43, vcc
	global_load_dword v42, v[42:43], off
	s_waitcnt vmcnt(0)
	ds_write_b32 v98, v42 offset:528
	;; [unrolled: 8-line block ×14, first 2 shown]
	v_add_u32_e32 v42, s56, v97
	v_ashrrev_i32_e32 v43, 31, v42
	v_lshlrev_b64 v[42:43], 2, v[42:43]
	v_add_co_u32_e32 v42, vcc, s4, v42
	v_addc_co_u32_e32 v43, vcc, v100, v43, vcc
	global_load_dword v42, v[42:43], off
	v_add_co_u32_e32 v54, vcc, s4, v54
	v_addc_co_u32_e32 v55, vcc, v100, v55, vcc
	s_waitcnt vmcnt(0)
	ds_write_b32 v98, v42 offset:3960
	ds_read_b64 v[62:63], v99
	ds_read_b64 v[60:61], v99 offset:32
	ds_read_b64 v[52:53], v99 offset:64
	;; [unrolled: 1-line block ×7, first 2 shown]
	global_load_dword v54, v[54:55], off
	s_waitcnt vmcnt(0)
	ds_write_b32 v98, v54
	v_add_u32_e32 v54, s58, v97
	v_ashrrev_i32_e32 v55, 31, v54
	v_lshlrev_b64 v[54:55], 2, v[54:55]
	v_add_co_u32_e32 v54, vcc, s4, v54
	v_addc_co_u32_e32 v55, vcc, v100, v55, vcc
	global_load_dword v54, v[54:55], off
	s_waitcnt vmcnt(0)
	ds_write_b32 v98, v54 offset:264
	v_add_u32_e32 v54, s59, v97
	v_ashrrev_i32_e32 v55, 31, v54
	v_lshlrev_b64 v[54:55], 2, v[54:55]
	v_add_co_u32_e32 v54, vcc, s4, v54
	v_addc_co_u32_e32 v55, vcc, v100, v55, vcc
	global_load_dword v54, v[54:55], off
	s_waitcnt vmcnt(0)
	ds_write_b32 v98, v54 offset:528
	;; [unrolled: 8-line block ×14, first 2 shown]
	v_add_u32_e32 v54, s72, v97
	v_ashrrev_i32_e32 v55, 31, v54
	v_lshlrev_b64 v[54:55], 2, v[54:55]
	v_add_co_u32_e32 v54, vcc, s4, v54
	v_addc_co_u32_e32 v55, vcc, v100, v55, vcc
	global_load_dword v54, v[54:55], off
	v_add_co_u32_e32 v74, vcc, s4, v74
	v_addc_co_u32_e32 v75, vcc, v100, v75, vcc
	s_waitcnt vmcnt(0)
	ds_write_b32 v98, v54 offset:3960
	ds_read_b64 v[72:73], v99
	ds_read_b64 v[70:71], v99 offset:32
	ds_read_b64 v[68:69], v99 offset:64
	;; [unrolled: 1-line block ×7, first 2 shown]
	global_load_dword v74, v[74:75], off
	s_waitcnt vmcnt(0)
	ds_write_b32 v98, v74
	v_add_u32_e32 v74, s74, v97
	v_ashrrev_i32_e32 v75, 31, v74
	v_lshlrev_b64 v[74:75], 2, v[74:75]
	v_add_co_u32_e32 v74, vcc, s4, v74
	v_addc_co_u32_e32 v75, vcc, v100, v75, vcc
	global_load_dword v74, v[74:75], off
	s_waitcnt vmcnt(0)
	ds_write_b32 v98, v74 offset:264
	v_add_u32_e32 v74, s75, v97
	v_ashrrev_i32_e32 v75, 31, v74
	v_lshlrev_b64 v[74:75], 2, v[74:75]
	v_add_co_u32_e32 v74, vcc, s4, v74
	v_addc_co_u32_e32 v75, vcc, v100, v75, vcc
	global_load_dword v74, v[74:75], off
	s_waitcnt vmcnt(0)
	ds_write_b32 v98, v74 offset:528
	;; [unrolled: 8-line block ×14, first 2 shown]
	v_add_u32_e32 v74, s88, v97
	v_ashrrev_i32_e32 v75, 31, v74
	v_lshlrev_b64 v[74:75], 2, v[74:75]
	v_add_co_u32_e32 v74, vcc, s4, v74
	v_addc_co_u32_e32 v75, vcc, v100, v75, vcc
	global_load_dword v74, v[74:75], off
	v_add_co_u32_e32 v90, vcc, v24, v16
	v_addc_co_u32_e32 v91, vcc, 0, v23, vcc
	s_waitcnt vmcnt(0)
	ds_write_b32 v98, v74 offset:3960
	ds_read_b64 v[88:89], v99
	ds_read_b64 v[86:87], v99 offset:32
	ds_read_b64 v[84:85], v99 offset:64
	ds_read_b64 v[82:83], v99 offset:96
	ds_read_b64 v[80:81], v99 offset:128
	ds_read_b64 v[78:79], v99 offset:160
	ds_read_b64 v[76:77], v99 offset:192
	ds_read_b64 v[74:75], v99 offset:224
	global_load_dword v90, v[90:91], off
	s_waitcnt vmcnt(0)
	ds_write_b32 v98, v90
	v_add_co_u32_e32 v90, vcc, v22, v16
	v_addc_co_u32_e32 v91, vcc, 0, v21, vcc
	global_load_dword v90, v[90:91], off
	s_waitcnt vmcnt(0)
	ds_write_b32 v98, v90 offset:264
	v_add_u32_e32 v90, s6, v97
	v_ashrrev_i32_e32 v91, 31, v90
	v_lshlrev_b64 v[90:91], 2, v[90:91]
	v_add_co_u32_e32 v90, vcc, s5, v90
	v_addc_co_u32_e32 v91, vcc, v101, v91, vcc
	global_load_dword v90, v[90:91], off
	s_waitcnt vmcnt(0)
	ds_write_b32 v98, v90 offset:528
	v_add_u32_e32 v90, s12, v97
	v_ashrrev_i32_e32 v91, 31, v90
	v_lshlrev_b64 v[90:91], 2, v[90:91]
	;; [unrolled: 8-line block ×11, first 2 shown]
	v_add_co_u32_e32 v90, vcc, s5, v90
	v_addc_co_u32_e32 v91, vcc, v101, v91, vcc
	global_load_dword v90, v[90:91], off
	s_waitcnt vmcnt(0)
	ds_write_b32 v98, v90 offset:3168
	ds_write_b32 v98, v102 offset:3432
	;; [unrolled: 1-line block ×4, first 2 shown]
	ds_read_b64 v[92:93], v99
	ds_read_b64 v[90:91], v99 offset:32
	s_waitcnt lgkmcnt(1)
	v_mfma_f32_16x16x4f32 a[8:11], v72, v92, a[8:11]
	ds_read_b64 v[0:1], v99 offset:64
	v_add_co_u32_e32 v18, vcc, s89, v18
	v_addc_co_u32_e32 v17, vcc, 0, v17, vcc
	v_add_co_u32_e32 v20, vcc, 0x200, v20
	v_mfma_f32_16x16x4f32 a[0:3], v40, v92, a[0:3]
	v_addc_co_u32_e32 v19, vcc, 0, v19, vcc
	v_add_co_u32_e32 v22, vcc, 0x200, v22
	v_addc_co_u32_e32 v21, vcc, 0, v21, vcc
	v_add_co_u32_e32 v24, vcc, 0x200, v24
	v_mfma_f32_16x16x4f32 a[4:7], v62, v92, a[4:7]
	v_add_u32_e32 v97, 0x80, v97
	v_addc_co_u32_e32 v23, vcc, 0, v23, vcc
	v_cmp_le_i32_e32 vcc, s9, v97
	s_or_b64 s[0:1], vcc, s[0:1]
	v_mfma_f32_16x16x4f32 a[12:15], v88, v92, a[12:15]
	v_mfma_f32_16x16x4f32 a[8:11], v73, v93, a[8:11]
	;; [unrolled: 1-line block ×5, first 2 shown]
	s_waitcnt lgkmcnt(1)
	v_mfma_f32_16x16x4f32 a[8:11], v70, v90, a[8:11]
	v_mfma_f32_16x16x4f32 a[0:3], v38, v90, a[0:3]
	;; [unrolled: 1-line block ×8, first 2 shown]
	s_waitcnt lgkmcnt(0)
	v_mfma_f32_16x16x4f32 a[8:11], v68, v0, a[8:11]
	v_mfma_f32_16x16x4f32 a[0:3], v36, v0, a[0:3]
	v_mfma_f32_16x16x4f32 a[4:7], v52, v0, a[4:7]
	v_mfma_f32_16x16x4f32 a[12:15], v84, v0, a[12:15]
	v_mfma_f32_16x16x4f32 a[8:11], v69, v1, a[8:11]
	v_mfma_f32_16x16x4f32 a[0:3], v37, v1, a[0:3]
	v_mfma_f32_16x16x4f32 a[4:7], v53, v1, a[4:7]
	v_mfma_f32_16x16x4f32 a[12:15], v85, v1, a[12:15]
	ds_read_b64 v[0:1], v99 offset:96
	s_waitcnt lgkmcnt(0)
	v_mfma_f32_16x16x4f32 a[8:11], v66, v0, a[8:11]
	v_mfma_f32_16x16x4f32 a[0:3], v34, v0, a[0:3]
	v_mfma_f32_16x16x4f32 a[4:7], v50, v0, a[4:7]
	v_mfma_f32_16x16x4f32 a[12:15], v82, v0, a[12:15]
	v_mfma_f32_16x16x4f32 a[8:11], v67, v1, a[8:11]
	v_mfma_f32_16x16x4f32 a[0:3], v35, v1, a[0:3]
	v_mfma_f32_16x16x4f32 a[4:7], v51, v1, a[4:7]
	v_mfma_f32_16x16x4f32 a[12:15], v83, v1, a[12:15]
	ds_read_b64 v[0:1], v99 offset:128
	;; [unrolled: 10-line block ×5, first 2 shown]
	s_waitcnt lgkmcnt(0)
	v_mfma_f32_16x16x4f32 a[0:3], v26, v0, a[0:3]
	v_mfma_f32_16x16x4f32 a[12:15], v27, v1, a[0:3]
	;; [unrolled: 1-line block ×8, first 2 shown]
	s_andn2_b64 exec, exec, s[0:1]
	s_cbranch_execnz .LBB80_4
; %bb.5:
	s_or_b64 exec, exec, s[0:1]
.LBB80_6:
	s_or_b64 exec, exec, s[24:25]
	v_mul_u32_u24_e32 v0, 0x208, v96
	v_lshlrev_b32_e32 v1, 2, v95
	v_or_b32_e32 v2, 12, v94
	s_mul_hi_i32 s1, s19, s8
	s_mul_i32 s0, s19, s8
	v_add3_u32 v0, 0, v0, v1
	v_and_b32_e32 v1, 0x3f0, v94
	v_and_b32_e32 v2, 0x3fc, v2
	s_lshl_b64 s[0:1], s[0:1], 2
	v_add_u32_e32 v1, v0, v1
	v_add_u32_e32 v0, v0, v2
	s_waitcnt lgkmcnt(0)
	s_add_u32 s6, s10, s0
	s_barrier
	s_movk_i32 s0, 0x208
	ds_write2_b32 v1, a12, a13 offset1:1
	ds_write_b32 v1, a14 offset:8
	ds_write_b32 v0, a15
	ds_write2_b32 v1, a8, a9 offset0:16 offset1:17
	ds_write_b32 v1, a10 offset:72
	ds_write_b32 v0, a11 offset:64
	ds_write2_b32 v1, a4, a5 offset0:32 offset1:33
	ds_write_b32 v1, a6 offset:136
	ds_write_b32 v0, a7 offset:128
	ds_write2_b32 v1, a0, a1 offset0:48 offset1:49
	ds_write_b32 v1, a2 offset:200
	ds_write_b32 v0, a3 offset:192
	v_lshl_add_u32 v1, v94, 2, 0
	v_mad_u32_u24 v8, v25, s0, v1
	s_waitcnt lgkmcnt(0)
	s_barrier
	ds_read2st64_b32 v[2:3], v8 offset1:1
	s_mul_i32 s4, s7, s15
	s_addc_u32 s7, s11, s1
	s_ashr_i32 s5, s4, 31
	v_add_u32_e32 v0, s3, v94
	s_waitcnt lgkmcnt(0)
	v_add_f32_e32 v2, 0, v2
	v_add_u32_e32 v6, 16, v8
	s_lshl_b64 s[0:1], s[4:5], 2
	v_add_f32_e32 v9, v2, v3
	v_mad_u64_u32 v[2:3], s[4:5], v25, s2, v[0:1]
	ds_read2st64_b32 v[6:7], v6 offset0:4 offset1:5
	s_add_u32 s0, s6, s0
	v_mov_b32_e32 v3, 0
	s_addc_u32 s1, s7, s1
	v_lshlrev_b64 v[4:5], 2, v[2:3]
	v_mov_b32_e32 v10, s1
	v_add_co_u32_e32 v4, vcc, s0, v4
	v_addc_co_u32_e32 v5, vcc, v10, v5, vcc
	global_store_dword v[4:5], v9, off
	s_waitcnt lgkmcnt(0)
	v_add_f32_e32 v4, 0, v6
	v_add_u32_e32 v6, 32, v8
	v_add_f32_e32 v9, v4, v7
	s_lshl_b32 s3, s2, 1
	ds_read2st64_b32 v[6:7], v6 offset0:8 offset1:9
	v_add_u32_e32 v2, s3, v2
	v_lshlrev_b64 v[4:5], 2, v[2:3]
	v_add_co_u32_e32 v4, vcc, s0, v4
	v_addc_co_u32_e32 v5, vcc, v10, v5, vcc
	global_store_dword v[4:5], v9, off
	s_waitcnt lgkmcnt(0)
	v_add_f32_e32 v4, 0, v6
	v_add_u32_e32 v6, 48, v8
	v_add_f32_e32 v9, v4, v7
	ds_read2st64_b32 v[6:7], v6 offset0:12 offset1:13
	v_add_u32_e32 v2, s3, v2
	v_lshlrev_b64 v[4:5], 2, v[2:3]
	v_add_co_u32_e32 v4, vcc, s0, v4
	v_addc_co_u32_e32 v5, vcc, v10, v5, vcc
	global_store_dword v[4:5], v9, off
	s_waitcnt lgkmcnt(0)
	v_add_f32_e32 v4, 0, v6
	v_add_u32_e32 v6, 64, v8
	v_add_f32_e32 v9, v4, v7
	;; [unrolled: 10-line block ×4, first 2 shown]
	v_lshlrev_b64 v[4:5], 2, v[2:3]
	v_mov_b32_e32 v2, s1
	v_add_co_u32_e32 v4, vcc, s0, v4
	v_addc_co_u32_e32 v5, vcc, v2, v5, vcc
	v_cmp_eq_u32_e32 vcc, 0, v25
	global_store_dword v[4:5], v6, off
	s_and_saveexec_b64 s[4:5], vcc
	s_cbranch_execz .LBB80_8
; %bb.7:
	v_add_u32_e32 v1, 0x60, v1
	ds_read2st64_b32 v[4:5], v1 offset0:24 offset1:25
	v_mad_u64_u32 v[0:1], s[2:3], s2, 12, v[0:1]
	v_mov_b32_e32 v1, v3
	v_lshlrev_b64 v[0:1], 2, v[0:1]
	s_waitcnt lgkmcnt(0)
	v_add_f32_e32 v2, 0, v4
	v_mov_b32_e32 v3, s1
	v_add_co_u32_e32 v0, vcc, s0, v0
	v_add_f32_e32 v2, v2, v5
	v_addc_co_u32_e32 v1, vcc, v3, v1, vcc
	global_store_dword v[0:1], v2, off
.LBB80_8:
	s_endpgm
	.section	.rodata,"a",@progbits
	.p2align	6, 0x0
	.amdhsa_kernel _ZL9mul_mat_fIfLi64ELi13ELi2ELb0EEvPKT_PKfPKiPfiiiiiiiiiiiiiiii
		.amdhsa_group_segment_fixed_size 0
		.amdhsa_private_segment_fixed_size 0
		.amdhsa_kernarg_size 96
		.amdhsa_user_sgpr_count 6
		.amdhsa_user_sgpr_private_segment_buffer 1
		.amdhsa_user_sgpr_dispatch_ptr 0
		.amdhsa_user_sgpr_queue_ptr 0
		.amdhsa_user_sgpr_kernarg_segment_ptr 1
		.amdhsa_user_sgpr_dispatch_id 0
		.amdhsa_user_sgpr_flat_scratch_init 0
		.amdhsa_user_sgpr_kernarg_preload_length 0
		.amdhsa_user_sgpr_kernarg_preload_offset 0
		.amdhsa_user_sgpr_private_segment_size 0
		.amdhsa_uses_dynamic_stack 0
		.amdhsa_system_sgpr_private_segment_wavefront_offset 0
		.amdhsa_system_sgpr_workgroup_id_x 1
		.amdhsa_system_sgpr_workgroup_id_y 1
		.amdhsa_system_sgpr_workgroup_id_z 1
		.amdhsa_system_sgpr_workgroup_info 0
		.amdhsa_system_vgpr_workitem_id 1
		.amdhsa_next_free_vgpr 128
		.amdhsa_next_free_sgpr 90
		.amdhsa_accum_offset 104
		.amdhsa_reserve_vcc 1
		.amdhsa_reserve_flat_scratch 0
		.amdhsa_float_round_mode_32 0
		.amdhsa_float_round_mode_16_64 0
		.amdhsa_float_denorm_mode_32 3
		.amdhsa_float_denorm_mode_16_64 3
		.amdhsa_dx10_clamp 1
		.amdhsa_ieee_mode 1
		.amdhsa_fp16_overflow 0
		.amdhsa_tg_split 0
		.amdhsa_exception_fp_ieee_invalid_op 0
		.amdhsa_exception_fp_denorm_src 0
		.amdhsa_exception_fp_ieee_div_zero 0
		.amdhsa_exception_fp_ieee_overflow 0
		.amdhsa_exception_fp_ieee_underflow 0
		.amdhsa_exception_fp_ieee_inexact 0
		.amdhsa_exception_int_div_zero 0
	.end_amdhsa_kernel
	.section	.text._ZL9mul_mat_fIfLi64ELi13ELi2ELb0EEvPKT_PKfPKiPfiiiiiiiiiiiiiiii,"axG",@progbits,_ZL9mul_mat_fIfLi64ELi13ELi2ELb0EEvPKT_PKfPKiPfiiiiiiiiiiiiiiii,comdat
.Lfunc_end80:
	.size	_ZL9mul_mat_fIfLi64ELi13ELi2ELb0EEvPKT_PKfPKiPfiiiiiiiiiiiiiiii, .Lfunc_end80-_ZL9mul_mat_fIfLi64ELi13ELi2ELb0EEvPKT_PKfPKiPfiiiiiiiiiiiiiiii
                                        ; -- End function
	.section	.AMDGPU.csdata,"",@progbits
; Kernel info:
; codeLenInByte = 6352
; NumSgprs: 94
; NumVgprs: 103
; NumAgprs: 24
; TotalNumVgprs: 128
; ScratchSize: 0
; MemoryBound: 0
; FloatMode: 240
; IeeeMode: 1
; LDSByteSize: 0 bytes/workgroup (compile time only)
; SGPRBlocks: 11
; VGPRBlocks: 15
; NumSGPRsForWavesPerEU: 94
; NumVGPRsForWavesPerEU: 128
; AccumOffset: 104
; Occupancy: 4
; WaveLimiterHint : 0
; COMPUTE_PGM_RSRC2:SCRATCH_EN: 0
; COMPUTE_PGM_RSRC2:USER_SGPR: 6
; COMPUTE_PGM_RSRC2:TRAP_HANDLER: 0
; COMPUTE_PGM_RSRC2:TGID_X_EN: 1
; COMPUTE_PGM_RSRC2:TGID_Y_EN: 1
; COMPUTE_PGM_RSRC2:TGID_Z_EN: 1
; COMPUTE_PGM_RSRC2:TIDIG_COMP_CNT: 1
; COMPUTE_PGM_RSRC3_GFX90A:ACCUM_OFFSET: 25
; COMPUTE_PGM_RSRC3_GFX90A:TG_SPLIT: 0
	.section	.text._ZL13mul_mat_f_idsIfLi64ELi13ELi3EEvPKT_PKfPKiS6_S6_Pfiiiiiiiiiiiiii15HIP_vector_typeIjLj3EES9_,"axG",@progbits,_ZL13mul_mat_f_idsIfLi64ELi13ELi3EEvPKT_PKfPKiS6_S6_Pfiiiiiiiiiiiiii15HIP_vector_typeIjLj3EES9_,comdat
	.globl	_ZL13mul_mat_f_idsIfLi64ELi13ELi3EEvPKT_PKfPKiS6_S6_Pfiiiiiiiiiiiiii15HIP_vector_typeIjLj3EES9_ ; -- Begin function _ZL13mul_mat_f_idsIfLi64ELi13ELi3EEvPKT_PKfPKiS6_S6_Pfiiiiiiiiiiiiii15HIP_vector_typeIjLj3EES9_
	.p2align	8
	.type	_ZL13mul_mat_f_idsIfLi64ELi13ELi3EEvPKT_PKfPKiS6_S6_Pfiiiiiiiiiiiiii15HIP_vector_typeIjLj3EES9_,@function
_ZL13mul_mat_f_idsIfLi64ELi13ELi3EEvPKT_PKfPKiS6_S6_Pfiiiiiiiiiiiiii15HIP_vector_typeIjLj3EES9_: ; @_ZL13mul_mat_f_idsIfLi64ELi13ELi3EEvPKT_PKfPKiS6_S6_Pfiiiiiiiiiiiiii15HIP_vector_typeIjLj3EES9_
; %bb.0:
	s_load_dwordx2 s[0:1], s[4:5], 0x20
	s_mov_b32 s34, s7
	s_ashr_i32 s35, s7, 31
	s_lshl_b64 s[2:3], s[34:35], 2
	s_waitcnt lgkmcnt(0)
	s_add_u32 s0, s0, s2
	s_addc_u32 s1, s1, s3
	s_load_dwordx2 s[26:27], s[0:1], 0x0
	s_waitcnt lgkmcnt(0)
	s_sub_i32 s33, s27, s26
	s_add_i32 s0, s33, 12
	s_mul_hi_i32 s0, s0, 0x4ec4ec4f
	s_lshr_b32 s1, s0, 31
	s_ashr_i32 s0, s0, 2
	s_add_i32 s0, s0, s1
	s_cmp_ge_i32 s8, s0
	s_cbranch_scc1 .LBB81_62
; %bb.1:
	v_bfe_u32 v66, v0, 10, 10
	v_lshlrev_b32_e32 v68, 6, v66
	v_and_b32_e32 v67, 0x3ff, v0
	s_load_dwordx4 s[12:15], s[4:5], 0x30
	s_load_dwordx2 s[20:21], s[4:5], 0x40
	s_load_dwordx4 s[0:3], s[4:5], 0x4c
	s_load_dwordx4 s[16:19], s[4:5], 0x68
	s_load_dwordx2 s[24:25], s[4:5], 0x78
	v_add_u32_e32 v70, v68, v67
	s_ashr_i32 s27, s26, 31
	s_waitcnt lgkmcnt(0)
	v_cmp_le_i32_e32 vcc, s12, v70
	v_and_b32_e32 v69, 15, v67
                                        ; implicit-def: $sgpr3
	s_and_saveexec_b64 s[10:11], vcc
	s_xor_b64 s[10:11], exec, s[10:11]
; %bb.2:
	v_and_b32_e32 v69, 15, v67
	s_mov_b32 s3, 0
                                        ; implicit-def: $vgpr70
; %bb.3:
	s_or_saveexec_b64 s[22:23], s[10:11]
	s_load_dwordx2 s[10:11], s[4:5], 0x18
                                        ; implicit-def: $vgpr92 : SGPR spill to VGPR lane
	s_lshl_b32 s7, s6, 6
	s_mul_i32 s6, s8, 13
	v_accvgpr_write_b32 a0, s3
	v_accvgpr_write_b32 a1, s3
	s_waitcnt lgkmcnt(0)
	v_writelane_b32 v92, s10, 0
	v_writelane_b32 v92, s11, 1
	s_load_dwordx2 s[10:11], s[4:5], 0x28
	v_accvgpr_write_b32 a2, s3
	v_accvgpr_write_b32 a3, s3
	;; [unrolled: 1-line block ×4, first 2 shown]
	s_waitcnt lgkmcnt(0)
	v_writelane_b32 v92, s10, 2
	v_writelane_b32 v92, s11, 3
	v_accvgpr_write_b32 a6, s3
	v_accvgpr_write_b32 a7, s3
	;; [unrolled: 1-line block ×10, first 2 shown]
	v_writelane_b32 v92, s22, 4
	v_writelane_b32 v92, s23, 5
	s_xor_b64 exec, exec, s[22:23]
	s_cbranch_execz .LBB81_46
; %bb.4:
	v_writelane_b32 v92, s24, 6
	v_writelane_b32 v92, s25, 7
	s_load_dwordx4 s[8:11], s[4:5], 0x0
	s_load_dwordx2 s[22:23], s[4:5], 0x10
	s_mul_i32 s4, s34, s0
	s_mul_i32 s24, s7, s15
	s_ashr_i32 s5, s4, 31
	s_ashr_i32 s25, s24, 31
	s_lshl_b64 s[24:25], s[24:25], 2
	s_lshl_b64 s[4:5], s[4:5], 2
	s_add_u32 s3, s4, s24
	s_addc_u32 s24, s5, s25
	v_writelane_b32 v92, s7, 8
	s_waitcnt lgkmcnt(0)
	s_add_u32 s0, s3, s8
	s_addc_u32 s25, s24, s9
	v_writelane_b32 v92, s26, 9
	s_lshl_b64 s[4:5], s[26:27], 2
	v_writelane_b32 v92, s27, 10
	s_add_u32 s26, s22, s4
	s_addc_u32 s27, s23, s5
	s_movk_i32 s4, 0x1080
	s_cmp_lt_i32 s6, s33
	v_mad_u32_u24 v0, v66, s4, 0
	s_cselect_b64 s[4:5], -1, 0
	s_ashr_i32 s7, s6, 31
	s_lshl_b64 s[22:23], s[6:7], 2
	s_add_u32 s34, s26, s22
	s_addc_u32 s35, s27, s23
	s_add_i32 s7, s6, 1
	s_cmp_lt_i32 s7, s33
	s_cselect_b64 s[36:37], -1, 0
	s_add_i32 s7, s6, 2
	s_cmp_lt_i32 s7, s33
	s_cselect_b64 s[38:39], -1, 0
	;; [unrolled: 3-line block ×3, first 2 shown]
	s_add_i32 s7, s6, 4
	s_cmp_lt_i32 s7, s33
	v_lshrrev_b32_e32 v3, 1, v67
	s_cselect_b64 s[42:43], -1, 0
	s_add_i32 s7, s6, 5
	v_lshlrev_b32_e32 v1, 2, v67
	v_mul_u32_u24_e32 v2, 0x108, v69
	v_and_b32_e32 v3, 0x1f8, v3
	s_cmp_lt_i32 s7, s33
	v_add_u32_e32 v71, v0, v1
	v_add3_u32 v72, v0, v2, v3
	s_cselect_b64 s[44:45], -1, 0
	s_add_i32 s7, s6, 6
	v_lshlrev_b32_e32 v0, 8, v66
	s_cmp_lt_i32 s7, s33
	v_add_co_u32_e32 v0, vcc, s3, v0
	s_mul_i32 s3, s15, 3
	s_cselect_b64 s[46:47], -1, 0
	s_add_i32 s7, s6, 7
	v_writelane_b32 v92, s3, 11
	s_mul_i32 s3, s15, 5
	s_cmp_lt_i32 s7, s33
	v_writelane_b32 v92, s3, 12
	s_mul_i32 s3, s15, 6
	s_cselect_b64 s[48:49], -1, 0
	s_add_i32 s7, s6, 8
	v_writelane_b32 v92, s3, 13
	s_mul_i32 s3, s15, 7
	s_cmp_lt_i32 s7, s33
	v_writelane_b32 v92, s3, 14
	s_mul_i32 s3, s15, 9
	s_cselect_b64 s[50:51], -1, 0
	s_add_i32 s7, s6, 9
	v_writelane_b32 v92, s3, 15
	s_mul_i32 s3, s15, 10
	s_cmp_lt_i32 s7, s33
	v_writelane_b32 v92, s3, 16
	s_mul_i32 s3, s15, 11
	s_cselect_b64 s[52:53], -1, 0
	s_add_i32 s7, s6, 10
	v_writelane_b32 v92, s3, 17
	s_mul_i32 s3, s15, 12
	s_cmp_lt_i32 s7, s33
	v_writelane_b32 v92, s3, 18
	s_mul_i32 s3, s15, 13
	s_cselect_b64 s[54:55], -1, 0
	s_add_i32 s7, s6, 11
	v_writelane_b32 v92, s3, 19
	s_mul_i32 s3, s15, 14
	s_cmp_lt_i32 s7, s33
	v_mov_b32_e32 v2, s24
	v_writelane_b32 v92, s3, 20
	s_mul_i32 s3, s15, 15
	s_cselect_b64 s[56:57], -1, 0
	s_add_i32 s7, s6, 12
	v_addc_co_u32_e32 v2, vcc, 0, v2, vcc
	v_writelane_b32 v92, s3, 21
	s_mul_i32 s3, s15, 17
	s_cmp_lt_i32 s7, s33
	v_add_co_u32_e32 v0, vcc, v0, v1
	v_writelane_b32 v92, s3, 22
	s_mul_i32 s3, s15, 18
	s_cselect_b64 s[58:59], -1, 0
	s_ashr_i32 s23, s15, 31
	s_mov_b32 s22, s15
	v_addc_co_u32_e32 v1, vcc, 0, v2, vcc
	v_writelane_b32 v92, s3, 23
	s_mul_i32 s3, s15, 19
	s_lshl_b64 s[60:61], s[22:23], 2
	v_mov_b32_e32 v2, s9
	v_add_co_u32_e32 v0, vcc, s8, v0
	v_writelane_b32 v92, s3, 24
	s_mul_i32 s3, s15, 20
	v_addc_co_u32_e32 v1, vcc, v2, v1, vcc
	s_lshl_b32 s7, s15, 1
	s_lshl_b32 s63, s15, 2
	;; [unrolled: 1-line block ×4, first 2 shown]
	v_writelane_b32 v92, s3, 25
	s_mul_i32 s80, s15, 21
	s_mul_i32 s81, s15, 22
	;; [unrolled: 1-line block ×9, first 2 shown]
	v_mov_b32_e32 v73, s25
	s_mul_i32 s89, s15, 30
	v_mov_b32_e32 v74, 0
	v_accvgpr_write_b32 a15, 0
	v_accvgpr_write_b32 a14, 0
	;; [unrolled: 1-line block ×16, first 2 shown]
	v_mov_b32_e32 v75, s61
	s_mul_i32 s61, s15, 31
	s_lshl_b32 s90, s15, 5
	s_mul_i32 s91, s15, 33
	s_mul_i32 s92, s15, 34
	;; [unrolled: 1-line block ×31, first 2 shown]
	s_mov_b64 s[8:9], 0
	s_branch .LBB81_6
.LBB81_5:                               ;   in Loop: Header=BB81_6 Depth=1
	s_waitcnt vmcnt(0)
	ds_write2_b32 v71, v76, v78 offset1:66
	ds_write2_b32 v71, v77, v80 offset0:132 offset1:198
	v_add_u32_e32 v76, 0x400, v71
	ds_write2_b32 v76, v79, v82 offset0:8 offset1:74
	ds_write2_b32 v76, v81, v84 offset0:140 offset1:206
	v_add_u32_e32 v76, 0x800, v71
	ds_write2_b32 v76, v83, v86 offset0:16 offset1:82
	;; [unrolled: 3-line block ×3, first 2 shown]
	ds_write2_b32 v76, v74, v74 offset0:156 offset1:222
	ds_read2_b64 v[76:79], v72 offset1:4
	v_add_co_u32_e32 v0, vcc, 0x300, v0
	s_waitcnt lgkmcnt(0)
	v_mfma_f32_16x16x4f32 a[0:3], v28, v76, a[0:3]
	v_add_u32_e32 v70, 0xc0, v70
	v_addc_co_u32_e32 v1, vcc, 0, v1, vcc
	v_cmp_le_i32_e32 vcc, s12, v70
	s_or_b64 s[8:9], vcc, s[8:9]
	v_mfma_f32_16x16x4f32 a[4:7], v44, v76, a[4:7]
	v_mfma_f32_16x16x4f32 a[8:11], v52, v76, a[8:11]
	;; [unrolled: 1-line block ×15, first 2 shown]
	ds_read2_b64 v[62:65], v72 offset0:8 offset1:12
	s_waitcnt lgkmcnt(0)
	v_mfma_f32_16x16x4f32 a[0:3], v16, v62, a[0:3]
	v_mfma_f32_16x16x4f32 a[4:7], v34, v62, a[4:7]
	;; [unrolled: 1-line block ×14, first 2 shown]
	ds_read2_b64 v[28:31], v72 offset0:16 offset1:20
	v_mfma_f32_16x16x4f32 a[8:11], v43, v65, a[8:11]
	v_mfma_f32_16x16x4f32 a[12:15], v59, v65, a[12:15]
	s_waitcnt lgkmcnt(0)
	v_mfma_f32_16x16x4f32 a[0:3], v10, v28, a[0:3]
	v_mfma_f32_16x16x4f32 a[4:7], v24, v28, a[4:7]
	v_mfma_f32_16x16x4f32 a[8:11], v36, v28, a[8:11]
	v_mfma_f32_16x16x4f32 a[12:15], v56, v28, a[12:15]
	v_mfma_f32_16x16x4f32 a[0:3], v11, v29, a[0:3]
	ds_read2_b64 v[10:13], v72 offset0:24 offset1:28
	v_mfma_f32_16x16x4f32 a[4:7], v25, v29, a[4:7]
	v_mfma_f32_16x16x4f32 a[8:11], v37, v29, a[8:11]
	;; [unrolled: 1-line block ×11, first 2 shown]
	s_waitcnt lgkmcnt(0)
	v_mfma_f32_16x16x4f32 a[0:3], v4, v10, a[0:3]
	v_mfma_f32_16x16x4f32 a[4:7], v14, v10, a[4:7]
	;; [unrolled: 1-line block ×16, first 2 shown]
	s_andn2_b64 exec, exec, s[8:9]
	s_cbranch_execz .LBB81_45
.LBB81_6:                               ; =>This Inner Loop Header: Depth=1
	v_add_co_u32_e32 v2, vcc, s60, v0
	v_addc_co_u32_e32 v3, vcc, v1, v75, vcc
	global_load_dword v18, v[0:1], off
	global_load_dword v19, v[2:3], off
	v_add_u32_e32 v2, s7, v70
	v_ashrrev_i32_e32 v3, 31, v2
	v_readlane_b32 s79, v92, 11
	v_lshlrev_b64 v[2:3], 2, v[2:3]
	v_add_u32_e32 v4, s79, v70
	v_add_co_u32_e32 v2, vcc, s0, v2
	v_ashrrev_i32_e32 v5, 31, v4
	v_addc_co_u32_e32 v3, vcc, v73, v3, vcc
	v_lshlrev_b64 v[4:5], 2, v[4:5]
	v_add_u32_e32 v6, s63, v70
	v_add_co_u32_e32 v4, vcc, s0, v4
	v_ashrrev_i32_e32 v7, 31, v6
	v_readlane_b32 s79, v92, 12
	v_addc_co_u32_e32 v5, vcc, v73, v5, vcc
	v_lshlrev_b64 v[6:7], 2, v[6:7]
	v_add_u32_e32 v8, s79, v70
	v_add_co_u32_e32 v6, vcc, s0, v6
	v_ashrrev_i32_e32 v9, 31, v8
	v_readlane_b32 s79, v92, 13
	;; [unrolled: 6-line block ×3, first 2 shown]
	v_addc_co_u32_e32 v9, vcc, v73, v9, vcc
	v_lshlrev_b64 v[10:11], 2, v[10:11]
	v_add_u32_e32 v12, s79, v70
	v_add_co_u32_e32 v10, vcc, s0, v10
	v_ashrrev_i32_e32 v13, 31, v12
	v_addc_co_u32_e32 v11, vcc, v73, v11, vcc
	v_lshlrev_b64 v[12:13], 2, v[12:13]
	v_add_u32_e32 v14, s67, v70
	v_add_co_u32_e32 v12, vcc, s0, v12
	v_ashrrev_i32_e32 v15, 31, v14
	v_readlane_b32 s79, v92, 15
	v_addc_co_u32_e32 v13, vcc, v73, v13, vcc
	v_lshlrev_b64 v[14:15], 2, v[14:15]
	v_add_u32_e32 v16, s79, v70
	v_add_co_u32_e32 v14, vcc, s0, v14
	v_ashrrev_i32_e32 v17, 31, v16
	v_addc_co_u32_e32 v15, vcc, v73, v15, vcc
	v_lshlrev_b64 v[16:17], 2, v[16:17]
	v_add_co_u32_e32 v16, vcc, s0, v16
	v_readlane_b32 s79, v92, 16
	v_addc_co_u32_e32 v17, vcc, v73, v17, vcc
	global_load_dword v20, v[2:3], off
	global_load_dword v21, v[4:5], off
	;; [unrolled: 1-line block ×6, first 2 shown]
	s_nop 0
	global_load_dword v14, v[14:15], off
	s_nop 0
	global_load_dword v15, v[16:17], off
	v_add_u32_e32 v2, s79, v70
	v_ashrrev_i32_e32 v3, 31, v2
	v_readlane_b32 s79, v92, 17
	v_lshlrev_b64 v[2:3], 2, v[2:3]
	v_add_u32_e32 v4, s79, v70
	v_add_co_u32_e32 v2, vcc, s0, v2
	v_ashrrev_i32_e32 v5, 31, v4
	v_readlane_b32 s79, v92, 18
	v_addc_co_u32_e32 v3, vcc, v73, v3, vcc
	v_lshlrev_b64 v[4:5], 2, v[4:5]
	v_add_u32_e32 v6, s79, v70
	v_add_co_u32_e32 v4, vcc, s0, v4
	v_ashrrev_i32_e32 v7, 31, v6
	v_readlane_b32 s79, v92, 19
	v_addc_co_u32_e32 v5, vcc, v73, v5, vcc
	;; [unrolled: 6-line block ×4, first 2 shown]
	v_lshlrev_b64 v[10:11], 2, v[10:11]
	v_add_u32_e32 v12, s79, v70
	v_add_co_u32_e32 v10, vcc, s0, v10
	v_ashrrev_i32_e32 v13, 31, v12
	v_addc_co_u32_e32 v11, vcc, v73, v11, vcc
	v_lshlrev_b64 v[12:13], 2, v[12:13]
	v_add_co_u32_e32 v12, vcc, s0, v12
	v_addc_co_u32_e32 v13, vcc, v73, v13, vcc
	global_load_dword v16, v[2:3], off
	global_load_dword v17, v[4:5], off
	s_nop 0
	global_load_dword v6, v[6:7], off
	s_nop 0
	;; [unrolled: 2-line block ×4, first 2 shown]
	global_load_dword v11, v[12:13], off
	v_add_u32_e32 v2, s75, v70
	v_ashrrev_i32_e32 v3, 31, v2
	v_readlane_b32 s79, v92, 22
	v_lshlrev_b64 v[2:3], 2, v[2:3]
	v_add_u32_e32 v4, s79, v70
	v_add_co_u32_e32 v2, vcc, s0, v2
	v_ashrrev_i32_e32 v5, 31, v4
	v_addc_co_u32_e32 v3, vcc, v73, v3, vcc
	v_lshlrev_b64 v[4:5], 2, v[4:5]
	s_waitcnt vmcnt(15)
	ds_write_b32 v71, v18
	s_waitcnt vmcnt(14)
	ds_write_b32 v71, v19 offset:264
	s_waitcnt vmcnt(13)
	ds_write_b32 v71, v20 offset:528
	;; [unrolled: 2-line block ×9, first 2 shown]
	v_add_co_u32_e32 v4, vcc, s0, v4
	v_readlane_b32 s79, v92, 23
	v_addc_co_u32_e32 v5, vcc, v73, v5, vcc
	global_load_dword v8, v[2:3], off
	global_load_dword v9, v[4:5], off
	v_add_u32_e32 v2, s79, v70
	v_ashrrev_i32_e32 v3, 31, v2
	v_readlane_b32 s79, v92, 24
	v_lshlrev_b64 v[2:3], 2, v[2:3]
	v_add_u32_e32 v4, s79, v70
	v_add_co_u32_e32 v2, vcc, s0, v2
	v_ashrrev_i32_e32 v5, 31, v4
	v_readlane_b32 s79, v92, 25
	s_waitcnt vmcnt(7)
	ds_write_b32 v71, v16 offset:2640
	s_waitcnt vmcnt(6)
	ds_write_b32 v71, v17 offset:2904
	;; [unrolled: 2-line block ×6, first 2 shown]
	v_addc_co_u32_e32 v3, vcc, v73, v3, vcc
	v_lshlrev_b64 v[4:5], 2, v[4:5]
	v_add_u32_e32 v6, s79, v70
	v_add_co_u32_e32 v4, vcc, s0, v4
	v_ashrrev_i32_e32 v7, 31, v6
	v_addc_co_u32_e32 v5, vcc, v73, v5, vcc
	v_lshlrev_b64 v[6:7], 2, v[6:7]
	v_add_u32_e32 v10, s80, v70
	v_add_co_u32_e32 v6, vcc, s0, v6
	v_ashrrev_i32_e32 v11, 31, v10
	v_addc_co_u32_e32 v7, vcc, v73, v7, vcc
	v_lshlrev_b64 v[10:11], 2, v[10:11]
	v_add_u32_e32 v12, s81, v70
	v_add_co_u32_e32 v10, vcc, s0, v10
	v_ashrrev_i32_e32 v13, 31, v12
	v_addc_co_u32_e32 v11, vcc, v73, v11, vcc
	v_lshlrev_b64 v[12:13], 2, v[12:13]
	v_add_u32_e32 v14, s82, v70
	v_add_co_u32_e32 v12, vcc, s0, v12
	v_ashrrev_i32_e32 v15, 31, v14
	v_addc_co_u32_e32 v13, vcc, v73, v13, vcc
	v_lshlrev_b64 v[14:15], 2, v[14:15]
	v_add_u32_e32 v16, s83, v70
	v_add_co_u32_e32 v14, vcc, s0, v14
	v_ashrrev_i32_e32 v17, 31, v16
	v_addc_co_u32_e32 v15, vcc, v73, v15, vcc
	v_lshlrev_b64 v[16:17], 2, v[16:17]
	v_add_u32_e32 v18, s84, v70
	v_add_co_u32_e32 v16, vcc, s0, v16
	v_ashrrev_i32_e32 v19, 31, v18
	v_addc_co_u32_e32 v17, vcc, v73, v17, vcc
	v_lshlrev_b64 v[18:19], 2, v[18:19]
	v_add_co_u32_e32 v18, vcc, s0, v18
	v_addc_co_u32_e32 v19, vcc, v73, v19, vcc
	global_load_dword v22, v[2:3], off
	global_load_dword v23, v[4:5], off
	global_load_dword v24, v[6:7], off
	global_load_dword v25, v[10:11], off
	global_load_dword v26, v[12:13], off
	global_load_dword v27, v[14:15], off
	global_load_dword v30, v[16:17], off
	global_load_dword v31, v[18:19], off
	v_add_u32_e32 v2, s85, v70
	v_ashrrev_i32_e32 v3, 31, v2
	v_lshlrev_b64 v[2:3], 2, v[2:3]
	v_add_u32_e32 v4, s86, v70
	v_add_co_u32_e32 v2, vcc, s0, v2
	v_ashrrev_i32_e32 v5, 31, v4
	v_addc_co_u32_e32 v3, vcc, v73, v3, vcc
	v_lshlrev_b64 v[4:5], 2, v[4:5]
	v_add_u32_e32 v6, s87, v70
	v_add_co_u32_e32 v4, vcc, s0, v4
	v_ashrrev_i32_e32 v7, 31, v6
	v_addc_co_u32_e32 v5, vcc, v73, v5, vcc
	v_lshlrev_b64 v[6:7], 2, v[6:7]
	v_add_u32_e32 v10, s88, v70
	v_add_co_u32_e32 v6, vcc, s0, v6
	v_ashrrev_i32_e32 v11, 31, v10
	v_addc_co_u32_e32 v7, vcc, v73, v7, vcc
	v_lshlrev_b64 v[10:11], 2, v[10:11]
	v_add_u32_e32 v12, s89, v70
	v_add_co_u32_e32 v10, vcc, s0, v10
	v_ashrrev_i32_e32 v13, 31, v12
	v_addc_co_u32_e32 v11, vcc, v73, v11, vcc
	v_lshlrev_b64 v[12:13], 2, v[12:13]
	v_add_u32_e32 v14, s61, v70
	v_add_co_u32_e32 v12, vcc, s0, v12
	v_ashrrev_i32_e32 v15, 31, v14
	v_addc_co_u32_e32 v13, vcc, v73, v13, vcc
	v_lshlrev_b64 v[14:15], 2, v[14:15]
	v_add_u32_e32 v16, s90, v70
	v_add_co_u32_e32 v14, vcc, s0, v14
	v_ashrrev_i32_e32 v17, 31, v16
	v_addc_co_u32_e32 v15, vcc, v73, v15, vcc
	v_lshlrev_b64 v[16:17], 2, v[16:17]
	v_add_u32_e32 v18, s91, v70
	v_add_co_u32_e32 v16, vcc, s0, v16
	v_ashrrev_i32_e32 v19, 31, v18
	v_addc_co_u32_e32 v17, vcc, v73, v17, vcc
	v_lshlrev_b64 v[18:19], 2, v[18:19]
	v_add_co_u32_e32 v18, vcc, s0, v18
	v_addc_co_u32_e32 v19, vcc, v73, v19, vcc
	global_load_dword v32, v[2:3], off
	global_load_dword v33, v[4:5], off
	global_load_dword v34, v[6:7], off
	global_load_dword v35, v[10:11], off
	global_load_dword v36, v[12:13], off
	global_load_dword v37, v[14:15], off
	global_load_dword v40, v[16:17], off
	global_load_dword v41, v[18:19], off
	v_add_u32_e32 v2, s92, v70
	v_ashrrev_i32_e32 v3, 31, v2
	v_lshlrev_b64 v[2:3], 2, v[2:3]
	v_add_u32_e32 v4, s93, v70
	v_add_co_u32_e32 v2, vcc, s0, v2
	v_ashrrev_i32_e32 v5, 31, v4
	;; [unrolled: 48-line block ×5, first 2 shown]
	v_addc_co_u32_e32 v3, vcc, v73, v3, vcc
	v_lshlrev_b64 v[4:5], 2, v[4:5]
	v_add_u32_e32 v6, s76, v70
	v_add_co_u32_e32 v4, vcc, s0, v4
	v_ashrrev_i32_e32 v7, 31, v6
	v_addc_co_u32_e32 v5, vcc, v73, v5, vcc
	v_lshlrev_b64 v[6:7], 2, v[6:7]
	v_add_u32_e32 v10, s77, v70
	v_add_co_u32_e32 v6, vcc, s0, v6
	v_ashrrev_i32_e32 v11, 31, v10
	;; [unrolled: 5-line block ×3, first 2 shown]
	v_addc_co_u32_e32 v11, vcc, v73, v11, vcc
	v_lshlrev_b64 v[12:13], 2, v[12:13]
	v_add_co_u32_e32 v14, vcc, s0, v12
	v_add_u32_e32 v12, s15, v70
	v_addc_co_u32_e32 v15, vcc, v73, v13, vcc
	v_ashrrev_i32_e32 v13, 31, v12
	v_lshlrev_b64 v[12:13], 2, v[12:13]
	v_add_co_u32_e32 v18, vcc, s0, v12
	v_addc_co_u32_e32 v19, vcc, v73, v13, vcc
	ds_read_b64 v[28:29], v72
	ds_read_b64 v[20:21], v72 offset:32
	ds_read_b64 v[16:17], v72 offset:64
	;; [unrolled: 1-line block ×3, first 2 shown]
	global_load_dword v78, v[2:3], off
	global_load_dword v79, v[4:5], off
	;; [unrolled: 1-line block ×6, first 2 shown]
	ds_read_b64 v[10:11], v72 offset:128
	ds_read_b64 v[6:7], v72 offset:160
	ds_read_b64 v[4:5], v72 offset:192
	ds_read_b64 v[2:3], v72 offset:224
	s_waitcnt vmcnt(47)
	ds_write_b32 v71, v8
	s_waitcnt vmcnt(46)
	ds_write_b32 v71, v9 offset:264
	s_waitcnt vmcnt(45)
	ds_write_b32 v71, v22 offset:528
	s_waitcnt vmcnt(44)
	ds_write_b32 v71, v23 offset:792
	s_waitcnt vmcnt(43)
	ds_write_b32 v71, v24 offset:1056
	s_waitcnt vmcnt(42)
	ds_write_b32 v71, v25 offset:1320
	s_waitcnt vmcnt(41)
	ds_write_b32 v71, v26 offset:1584
	s_waitcnt vmcnt(40)
	ds_write_b32 v71, v27 offset:1848
	s_waitcnt vmcnt(39)
	ds_write_b32 v71, v30 offset:2112
	s_waitcnt vmcnt(38)
	ds_write_b32 v71, v31 offset:2376
	s_waitcnt vmcnt(37)
	ds_write_b32 v71, v32 offset:2640
	s_waitcnt vmcnt(36)
	ds_write_b32 v71, v33 offset:2904
	s_waitcnt vmcnt(35)
	ds_write_b32 v71, v34 offset:3168
	s_waitcnt vmcnt(34)
	ds_write_b32 v71, v35 offset:3432
	s_waitcnt vmcnt(33)
	ds_write_b32 v71, v36 offset:3696
	s_waitcnt vmcnt(32)
	ds_write_b32 v71, v37 offset:3960
	ds_read_b64 v[44:45], v72
	ds_read_b64 v[38:39], v72 offset:32
	ds_read_b64 v[34:35], v72 offset:64
	ds_read_b64 v[30:31], v72 offset:96
	ds_read_b64 v[24:25], v72 offset:128
	ds_read_b64 v[18:19], v72 offset:160
	ds_read_b64 v[14:15], v72 offset:192
	ds_read_b64 v[8:9], v72 offset:224
	s_waitcnt vmcnt(31)
	ds_write_b32 v71, v40
	s_waitcnt vmcnt(30)
	ds_write_b32 v71, v41 offset:264
	s_waitcnt vmcnt(29)
	ds_write_b32 v71, v42 offset:528
	s_waitcnt vmcnt(28)
	ds_write_b32 v71, v43 offset:792
	s_waitcnt vmcnt(27)
	ds_write_b32 v71, v46 offset:1056
	s_waitcnt vmcnt(26)
	ds_write_b32 v71, v47 offset:1320
	s_waitcnt vmcnt(25)
	ds_write_b32 v71, v48 offset:1584
	s_waitcnt vmcnt(24)
	ds_write_b32 v71, v49 offset:1848
	s_waitcnt vmcnt(23)
	ds_write_b32 v71, v50 offset:2112
	s_waitcnt vmcnt(22)
	ds_write_b32 v71, v51 offset:2376
	s_waitcnt vmcnt(21)
	ds_write_b32 v71, v52 offset:2640
	s_waitcnt vmcnt(20)
	ds_write_b32 v71, v53 offset:2904
	s_waitcnt vmcnt(19)
	ds_write_b32 v71, v54 offset:3168
	s_waitcnt vmcnt(18)
	ds_write_b32 v71, v55 offset:3432
	s_waitcnt vmcnt(17)
	ds_write_b32 v71, v56 offset:3696
	s_waitcnt vmcnt(16)
	ds_write_b32 v71, v57 offset:3960
	ds_read_b64 v[52:53], v72
	ds_read_b64 v[48:49], v72 offset:32
	ds_read_b64 v[46:47], v72 offset:64
	ds_read_b64 v[42:43], v72 offset:96
	;; [unrolled: 40-line block ×3, first 2 shown]
	ds_read_b64 v[56:57], v72 offset:128
	ds_read_b64 v[54:55], v72 offset:160
	;; [unrolled: 1-line block ×4, first 2 shown]
	s_andn2_b64 vcc, exec, s[4:5]
	v_mov_b32_e32 v76, 0
	s_cbranch_vccnz .LBB81_9
; %bb.7:                                ;   in Loop: Header=BB81_6 Depth=1
	s_load_dword vcc_lo, s[34:35], 0x0
	v_mov_b32_e32 v76, 0
	s_waitcnt lgkmcnt(0)
	s_mul_hi_u32 vcc_hi, vcc_lo, s16
	s_add_i32 vcc_hi, vcc_lo, vcc_hi
	s_lshr_b32 s79, vcc_hi, s17
	s_cmp_ge_i32 s79, s13
	s_cbranch_scc1 .LBB81_9
; %bb.8:                                ;   in Loop: Header=BB81_6 Depth=1
	s_mul_i32 vcc_hi, s79, s18
	s_sub_i32 vcc_lo, vcc_lo, vcc_hi
	s_mul_i32 vcc_lo, vcc_lo, s1
	s_mul_i32 s79, s79, s20
	s_add_i32 s79, s79, vcc_lo
	v_add_u32_e32 v76, s79, v70
	v_ashrrev_i32_e32 v77, 31, v76
	v_lshlrev_b64 v[76:77], 2, v[76:77]
	v_mov_b32_e32 v78, s11
	v_add_co_u32_e32 v76, vcc, s10, v76
	v_addc_co_u32_e32 v77, vcc, v78, v77, vcc
	global_load_dword v76, v[76:77], off
.LBB81_9:                               ;   in Loop: Header=BB81_6 Depth=1
	s_andn2_b64 vcc, exec, s[36:37]
	v_mov_b32_e32 v77, 0
	v_mov_b32_e32 v78, 0
	s_cbranch_vccnz .LBB81_12
; %bb.10:                               ;   in Loop: Header=BB81_6 Depth=1
	s_load_dword vcc_lo, s[34:35], 0x4
	v_mov_b32_e32 v78, 0
	s_waitcnt lgkmcnt(0)
	s_mul_hi_u32 s79, vcc_lo, s16
	s_add_i32 s79, vcc_lo, s79
	s_lshr_b32 vcc_hi, s79, s17
	s_cmp_ge_i32 vcc_hi, s13
	s_cbranch_scc1 .LBB81_12
; %bb.11:                               ;   in Loop: Header=BB81_6 Depth=1
	s_mul_i32 s79, vcc_hi, s18
	s_sub_i32 s79, vcc_lo, s79
	s_mul_i32 s79, s79, s1
	s_mul_i32 vcc_lo, vcc_hi, s20
	s_add_i32 vcc_lo, vcc_lo, s79
	v_add_u32_e32 v78, vcc_lo, v70
	v_ashrrev_i32_e32 v79, 31, v78
	v_lshlrev_b64 v[78:79], 2, v[78:79]
	v_mov_b32_e32 v80, s11
	v_add_co_u32_e32 v78, vcc, s10, v78
	v_addc_co_u32_e32 v79, vcc, v80, v79, vcc
	global_load_dword v78, v[78:79], off
.LBB81_12:                              ;   in Loop: Header=BB81_6 Depth=1
	s_andn2_b64 vcc, exec, s[38:39]
	s_cbranch_vccnz .LBB81_15
; %bb.13:                               ;   in Loop: Header=BB81_6 Depth=1
	s_load_dword vcc_lo, s[34:35], 0x8
	v_mov_b32_e32 v77, 0
	s_waitcnt lgkmcnt(0)
	s_mul_hi_u32 s79, vcc_lo, s16
	s_add_i32 s79, vcc_lo, s79
	s_lshr_b32 vcc_hi, s79, s17
	s_cmp_ge_i32 vcc_hi, s13
	s_cbranch_scc1 .LBB81_15
; %bb.14:                               ;   in Loop: Header=BB81_6 Depth=1
	s_mul_i32 s79, vcc_hi, s18
	s_sub_i32 s79, vcc_lo, s79
	s_mul_i32 s79, s79, s1
	s_mul_i32 vcc_lo, vcc_hi, s20
	s_add_i32 vcc_lo, vcc_lo, s79
	v_add_u32_e32 v80, vcc_lo, v70
	v_ashrrev_i32_e32 v81, 31, v80
	v_lshlrev_b64 v[80:81], 2, v[80:81]
	v_mov_b32_e32 v77, s11
	v_add_co_u32_e32 v80, vcc, s10, v80
	v_addc_co_u32_e32 v81, vcc, v77, v81, vcc
	global_load_dword v77, v[80:81], off
.LBB81_15:                              ;   in Loop: Header=BB81_6 Depth=1
	s_andn2_b64 vcc, exec, s[40:41]
	v_mov_b32_e32 v79, 0
	v_mov_b32_e32 v80, 0
	s_cbranch_vccnz .LBB81_18
; %bb.16:                               ;   in Loop: Header=BB81_6 Depth=1
	s_load_dword vcc_lo, s[34:35], 0xc
	v_mov_b32_e32 v80, 0
	s_waitcnt lgkmcnt(0)
	s_mul_hi_u32 s79, vcc_lo, s16
	s_add_i32 s79, vcc_lo, s79
	s_lshr_b32 vcc_hi, s79, s17
	s_cmp_ge_i32 vcc_hi, s13
	s_cbranch_scc1 .LBB81_18
; %bb.17:                               ;   in Loop: Header=BB81_6 Depth=1
	s_mul_i32 s79, vcc_hi, s18
	s_sub_i32 s79, vcc_lo, s79
	s_mul_i32 s79, s79, s1
	s_mul_i32 vcc_lo, vcc_hi, s20
	s_add_i32 vcc_lo, vcc_lo, s79
	v_add_u32_e32 v80, vcc_lo, v70
	v_ashrrev_i32_e32 v81, 31, v80
	v_lshlrev_b64 v[80:81], 2, v[80:81]
	v_mov_b32_e32 v82, s11
	v_add_co_u32_e32 v80, vcc, s10, v80
	v_addc_co_u32_e32 v81, vcc, v82, v81, vcc
	global_load_dword v80, v[80:81], off
.LBB81_18:                              ;   in Loop: Header=BB81_6 Depth=1
	s_andn2_b64 vcc, exec, s[42:43]
	s_cbranch_vccnz .LBB81_21
; %bb.19:                               ;   in Loop: Header=BB81_6 Depth=1
	s_load_dword vcc_lo, s[34:35], 0x10
	v_mov_b32_e32 v79, 0
	s_waitcnt lgkmcnt(0)
	s_mul_hi_u32 s79, vcc_lo, s16
	s_add_i32 s79, vcc_lo, s79
	s_lshr_b32 vcc_hi, s79, s17
	s_cmp_ge_i32 vcc_hi, s13
	s_cbranch_scc1 .LBB81_21
; %bb.20:                               ;   in Loop: Header=BB81_6 Depth=1
	s_mul_i32 s79, vcc_hi, s18
	s_sub_i32 s79, vcc_lo, s79
	s_mul_i32 s79, s79, s1
	s_mul_i32 vcc_lo, vcc_hi, s20
	s_add_i32 vcc_lo, vcc_lo, s79
	v_add_u32_e32 v82, vcc_lo, v70
	v_ashrrev_i32_e32 v83, 31, v82
	v_lshlrev_b64 v[82:83], 2, v[82:83]
	v_mov_b32_e32 v79, s11
	v_add_co_u32_e32 v82, vcc, s10, v82
	v_addc_co_u32_e32 v83, vcc, v79, v83, vcc
	global_load_dword v79, v[82:83], off
.LBB81_21:                              ;   in Loop: Header=BB81_6 Depth=1
	;; [unrolled: 52-line block ×5, first 2 shown]
	s_andn2_b64 vcc, exec, s[56:57]
	v_mov_b32_e32 v87, 0
	v_mov_b32_e32 v88, 0
	s_cbranch_vccnz .LBB81_42
; %bb.40:                               ;   in Loop: Header=BB81_6 Depth=1
	s_load_dword vcc_lo, s[34:35], 0x2c
	v_mov_b32_e32 v88, 0
	s_waitcnt lgkmcnt(0)
	s_mul_hi_u32 s79, vcc_lo, s16
	s_add_i32 s79, vcc_lo, s79
	s_lshr_b32 vcc_hi, s79, s17
	s_cmp_ge_i32 vcc_hi, s13
	s_cbranch_scc1 .LBB81_42
; %bb.41:                               ;   in Loop: Header=BB81_6 Depth=1
	s_mul_i32 s79, vcc_hi, s18
	s_sub_i32 s79, vcc_lo, s79
	s_mul_i32 s79, s79, s1
	s_mul_i32 vcc_lo, vcc_hi, s20
	s_add_i32 vcc_lo, vcc_lo, s79
	v_add_u32_e32 v88, vcc_lo, v70
	v_ashrrev_i32_e32 v89, 31, v88
	v_lshlrev_b64 v[88:89], 2, v[88:89]
	v_mov_b32_e32 v90, s11
	v_add_co_u32_e32 v88, vcc, s10, v88
	v_addc_co_u32_e32 v89, vcc, v90, v89, vcc
	global_load_dword v88, v[88:89], off
.LBB81_42:                              ;   in Loop: Header=BB81_6 Depth=1
	s_andn2_b64 vcc, exec, s[58:59]
	s_cbranch_vccnz .LBB81_5
; %bb.43:                               ;   in Loop: Header=BB81_6 Depth=1
	s_load_dword vcc_lo, s[34:35], 0x30
	v_mov_b32_e32 v87, 0
	s_waitcnt lgkmcnt(0)
	s_mul_hi_u32 s79, vcc_lo, s16
	s_add_i32 s79, vcc_lo, s79
	s_lshr_b32 vcc_hi, s79, s17
	s_cmp_ge_i32 vcc_hi, s13
	s_cbranch_scc1 .LBB81_5
; %bb.44:                               ;   in Loop: Header=BB81_6 Depth=1
	s_mul_i32 s79, vcc_hi, s18
	s_sub_i32 s79, vcc_lo, s79
	s_mul_i32 s79, s79, s1
	s_mul_i32 vcc_lo, vcc_hi, s20
	s_add_i32 vcc_lo, vcc_lo, s79
	v_add_u32_e32 v90, vcc_lo, v70
	v_ashrrev_i32_e32 v91, 31, v90
	v_lshlrev_b64 v[90:91], 2, v[90:91]
	v_mov_b32_e32 v87, s11
	v_add_co_u32_e32 v90, vcc, s10, v90
	v_addc_co_u32_e32 v91, vcc, v87, v91, vcc
	global_load_dword v87, v[90:91], off
	s_branch .LBB81_5
.LBB81_45:
	s_or_b64 exec, exec, s[8:9]
	v_readlane_b32 s24, v92, 6
	v_readlane_b32 s26, v92, 9
	;; [unrolled: 1-line block ×5, first 2 shown]
.LBB81_46:
	v_readlane_b32 s0, v92, 4
	v_readlane_b32 s1, v92, 5
	s_or_b64 exec, exec, s[0:1]
	s_lshl_b64 s[0:1], s[26:27], 2
	v_readlane_b32 s4, v92, 0
	v_mul_u32_u24_e32 v0, 0x308, v69
	v_lshlrev_b32_e32 v1, 2, v68
	v_or_b32_e32 v2, 12, v67
	v_readlane_b32 s5, v92, 1
	s_add_u32 s3, s4, s0
	v_add3_u32 v0, 0, v0, v1
	v_and_b32_e32 v1, 0x3f0, v67
	v_and_b32_e32 v2, 0x3fc, v2
	s_addc_u32 s8, s5, s1
	v_add_u32_e32 v1, v0, v1
	v_add_u32_e32 v0, v0, v2
	s_barrier
	ds_write2_b32 v1, a0, a1 offset1:1
	ds_write_b32 v1, a2 offset:8
	ds_write_b32 v0, a3
	ds_write2_b32 v1, a4, a5 offset0:16 offset1:17
	ds_write_b32 v1, a6 offset:72
	ds_write_b32 v0, a7 offset:64
	ds_write2_b32 v1, a8, a9 offset0:32 offset1:33
	ds_write_b32 v1, a10 offset:136
	ds_write_b32 v0, a11 offset:128
	;; [unrolled: 3-line block ×3, first 2 shown]
	s_cmp_gt_i32 s14, 0
	v_add_u32_e32 v0, s6, v66
	s_cselect_b64 s[4:5], -1, 0
	v_cmp_gt_i32_e64 s[0:1], s33, v0
	v_cmp_gt_u32_e32 vcc, 13, v66
	s_and_b64 s[0:1], s[4:5], s[0:1]
	v_lshl_add_u32 v5, v67, 2, 0
	v_add_u32_e32 v4, s7, v67
	v_mul_u32_u24_e32 v6, 0x308, v66
	s_and_b64 s[10:11], vcc, s[0:1]
	s_waitcnt lgkmcnt(0)
	s_barrier
	s_and_saveexec_b64 s[0:1], s[10:11]
	v_readlane_b32 s14, v92, 2
	v_readlane_b32 s15, v92, 3
	s_cbranch_execz .LBB81_49
; %bb.47:
	v_ashrrev_i32_e32 v1, 31, v0
	v_lshlrev_b64 v[2:3], 2, v[0:1]
	v_mov_b32_e32 v1, s8
	v_add_co_u32_e32 v2, vcc, s3, v2
	v_addc_co_u32_e32 v3, vcc, v1, v3, vcc
	global_load_dword v2, v[2:3], off
	s_waitcnt vmcnt(0)
	v_mul_hi_u32 v1, v2, s19
	v_add_u32_e32 v1, v2, v1
	v_lshrrev_b32_e32 v1, s24, v1
	v_cmp_gt_i32_e32 vcc, s13, v1
	s_and_b64 exec, exec, vcc
	s_cbranch_execz .LBB81_49
; %bb.48:
	v_add_u32_e32 v3, v5, v6
	ds_read2st64_b32 v[8:9], v3 offset1:1
	ds_read_b32 v3, v3 offset:512
	v_mul_lo_u32 v7, v1, s25
	v_sub_u32_e32 v2, v2, v7
	v_mul_lo_u32 v2, v2, s2
	s_waitcnt lgkmcnt(1)
	v_add_f32_e32 v7, 0, v8
	v_add_f32_e32 v7, v7, v9
	v_mul_lo_u32 v1, v1, s21
	s_waitcnt lgkmcnt(0)
	v_add_f32_e32 v7, v7, v3
	v_add3_u32 v2, v4, v1, v2
	v_mov_b32_e32 v3, 0
	v_lshlrev_b64 v[2:3], 2, v[2:3]
	v_mov_b32_e32 v1, s15
	v_add_co_u32_e32 v2, vcc, s14, v2
	v_addc_co_u32_e32 v3, vcc, v1, v3, vcc
	global_store_dword v[2:3], v7, off
.LBB81_49:
	s_or_b64 exec, exec, s[0:1]
	v_add_u32_e32 v1, 3, v0
	v_cmp_gt_i32_e64 s[0:1], s33, v1
	v_cmp_gt_u32_e32 vcc, 10, v66
	s_and_b64 s[0:1], s[4:5], s[0:1]
	s_and_b64 s[10:11], vcc, s[0:1]
	s_and_saveexec_b64 s[0:1], s[10:11]
	s_cbranch_execz .LBB81_52
; %bb.50:
	s_ashr_i32 s7, s6, 31
	v_mov_b32_e32 v1, s7
	v_add_co_u32_e32 v2, vcc, s6, v66
	v_addc_co_u32_e32 v3, vcc, 0, v1, vcc
	v_lshlrev_b64 v[2:3], 2, v[2:3]
	v_mov_b32_e32 v1, s8
	v_add_co_u32_e32 v2, vcc, s3, v2
	v_addc_co_u32_e32 v3, vcc, v1, v3, vcc
	global_load_dword v2, v[2:3], off offset:12
	v_mov_b32_e32 v3, 0
	s_waitcnt vmcnt(0)
	v_mul_hi_u32 v1, v2, s19
	v_add_u32_e32 v1, v2, v1
	v_lshrrev_b32_e32 v1, s24, v1
	v_cmp_gt_i32_e32 vcc, s13, v1
	s_and_b64 exec, exec, vcc
	s_cbranch_execz .LBB81_52
; %bb.51:
	v_add_u32_e32 v7, v6, v5
	v_add_u32_e32 v8, 24, v7
	ds_read2st64_b32 v[8:9], v8 offset0:9 offset1:10
	v_mul_lo_u32 v10, v1, s25
	ds_read_b32 v7, v7 offset:2840
	v_sub_u32_e32 v2, v2, v10
	v_mul_lo_u32 v2, v2, s2
	v_mul_lo_u32 v1, v1, s21
	v_add3_u32 v2, v4, v1, v2
	s_waitcnt lgkmcnt(1)
	v_add_f32_e32 v8, 0, v8
	v_lshlrev_b64 v[2:3], 2, v[2:3]
	v_add_f32_e32 v8, v8, v9
	v_mov_b32_e32 v1, s15
	v_add_co_u32_e32 v2, vcc, s14, v2
	s_waitcnt lgkmcnt(0)
	v_add_f32_e32 v7, v8, v7
	v_addc_co_u32_e32 v3, vcc, v1, v3, vcc
	global_store_dword v[2:3], v7, off
.LBB81_52:
	s_or_b64 exec, exec, s[0:1]
	v_add_u32_e32 v1, 6, v0
	v_cmp_gt_i32_e64 s[0:1], s33, v1
	v_cmp_gt_u32_e32 vcc, 7, v66
	s_and_b64 s[0:1], s[4:5], s[0:1]
	s_and_b64 s[10:11], vcc, s[0:1]
	s_and_saveexec_b64 s[0:1], s[10:11]
	s_cbranch_execz .LBB81_55
; %bb.53:
	s_ashr_i32 s7, s6, 31
	v_mov_b32_e32 v1, s7
	v_add_co_u32_e32 v2, vcc, s6, v66
	v_addc_co_u32_e32 v3, vcc, 0, v1, vcc
	v_lshlrev_b64 v[2:3], 2, v[2:3]
	v_mov_b32_e32 v1, s8
	v_add_co_u32_e32 v2, vcc, s3, v2
	v_addc_co_u32_e32 v3, vcc, v1, v3, vcc
	global_load_dword v2, v[2:3], off offset:24
	v_mov_b32_e32 v3, 0
	s_waitcnt vmcnt(0)
	v_mul_hi_u32 v1, v2, s19
	v_add_u32_e32 v1, v2, v1
	v_lshrrev_b32_e32 v1, s24, v1
	v_cmp_gt_i32_e32 vcc, s13, v1
	s_and_b64 exec, exec, vcc
	s_cbranch_execz .LBB81_55
; %bb.54:
	v_add_u32_e32 v7, v5, v6
	v_add_u32_e32 v8, 48, v7
	ds_read2st64_b32 v[8:9], v8 offset0:18 offset1:19
	v_mul_lo_u32 v10, v1, s25
	ds_read_b32 v7, v7 offset:5168
	v_sub_u32_e32 v2, v2, v10
	v_mul_lo_u32 v2, v2, s2
	v_mul_lo_u32 v1, v1, s21
	v_add3_u32 v2, v4, v1, v2
	s_waitcnt lgkmcnt(1)
	v_add_f32_e32 v8, 0, v8
	v_lshlrev_b64 v[2:3], 2, v[2:3]
	v_add_f32_e32 v8, v8, v9
	v_mov_b32_e32 v1, s15
	v_add_co_u32_e32 v2, vcc, s14, v2
	s_waitcnt lgkmcnt(0)
	v_add_f32_e32 v7, v8, v7
	v_addc_co_u32_e32 v3, vcc, v1, v3, vcc
	global_store_dword v[2:3], v7, off
.LBB81_55:
	;; [unrolled: 47-line block ×3, first 2 shown]
	s_or_b64 exec, exec, s[0:1]
	v_cmp_eq_u32_e32 vcc, 0, v66
	s_and_saveexec_b64 s[0:1], vcc
	s_cbranch_execz .LBB81_62
; %bb.59:
	s_add_i32 s0, s6, 12
	s_cmp_ge_i32 s0, s33
	s_cselect_b64 s[0:1], -1, 0
	s_xor_b64 s[4:5], s[4:5], -1
	s_or_b64 s[0:1], s[4:5], s[0:1]
	s_and_b64 vcc, exec, s[0:1]
	s_cbranch_vccnz .LBB81_62
; %bb.60:
	s_ashr_i32 s7, s6, 31
	s_lshl_b64 s[0:1], s[6:7], 2
	s_add_u32 s0, s3, s0
	s_addc_u32 s1, s8, s1
	s_load_dword s1, s[0:1], 0x30
	s_waitcnt lgkmcnt(0)
	s_mul_hi_u32 s0, s1, s19
	s_add_i32 s0, s1, s0
	s_lshr_b32 s0, s0, s24
	s_cmp_ge_i32 s0, s13
	s_cbranch_scc1 .LBB81_62
; %bb.61:
	v_add_u32_e32 v0, 0x60, v5
	ds_read2st64_b32 v[0:1], v0 offset0:36 offset1:37
	ds_read_b32 v2, v5 offset:9824
	s_mul_i32 s3, s0, s25
	s_sub_i32 s1, s1, s3
	s_mul_i32 s1, s1, s2
	s_waitcnt lgkmcnt(1)
	v_add_f32_e32 v0, 0, v0
	s_mul_i32 s0, s0, s21
	v_add_f32_e32 v0, v0, v1
	s_add_i32 s1, s1, s0
	s_waitcnt lgkmcnt(0)
	v_add_f32_e32 v2, v0, v2
	v_add_u32_e32 v0, s1, v4
	v_mov_b32_e32 v1, 0
	v_lshlrev_b64 v[0:1], 2, v[0:1]
	v_mov_b32_e32 v3, s15
	v_add_co_u32_e32 v0, vcc, s14, v0
	v_addc_co_u32_e32 v1, vcc, v3, v1, vcc
	global_store_dword v[0:1], v2, off
.LBB81_62:
	s_endpgm
	.section	.rodata,"a",@progbits
	.p2align	6, 0x0
	.amdhsa_kernel _ZL13mul_mat_f_idsIfLi64ELi13ELi3EEvPKT_PKfPKiS6_S6_Pfiiiiiiiiiiiiii15HIP_vector_typeIjLj3EES9_
		.amdhsa_group_segment_fixed_size 0
		.amdhsa_private_segment_fixed_size 0
		.amdhsa_kernarg_size 128
		.amdhsa_user_sgpr_count 6
		.amdhsa_user_sgpr_private_segment_buffer 1
		.amdhsa_user_sgpr_dispatch_ptr 0
		.amdhsa_user_sgpr_queue_ptr 0
		.amdhsa_user_sgpr_kernarg_segment_ptr 1
		.amdhsa_user_sgpr_dispatch_id 0
		.amdhsa_user_sgpr_flat_scratch_init 0
		.amdhsa_user_sgpr_kernarg_preload_length 0
		.amdhsa_user_sgpr_kernarg_preload_offset 0
		.amdhsa_user_sgpr_private_segment_size 0
		.amdhsa_uses_dynamic_stack 0
		.amdhsa_system_sgpr_private_segment_wavefront_offset 0
		.amdhsa_system_sgpr_workgroup_id_x 1
		.amdhsa_system_sgpr_workgroup_id_y 1
		.amdhsa_system_sgpr_workgroup_id_z 1
		.amdhsa_system_sgpr_workgroup_info 0
		.amdhsa_system_vgpr_workitem_id 1
		.amdhsa_next_free_vgpr 112
		.amdhsa_next_free_sgpr 96
		.amdhsa_accum_offset 96
		.amdhsa_reserve_vcc 1
		.amdhsa_reserve_flat_scratch 0
		.amdhsa_float_round_mode_32 0
		.amdhsa_float_round_mode_16_64 0
		.amdhsa_float_denorm_mode_32 3
		.amdhsa_float_denorm_mode_16_64 3
		.amdhsa_dx10_clamp 1
		.amdhsa_ieee_mode 1
		.amdhsa_fp16_overflow 0
		.amdhsa_tg_split 0
		.amdhsa_exception_fp_ieee_invalid_op 0
		.amdhsa_exception_fp_denorm_src 0
		.amdhsa_exception_fp_ieee_div_zero 0
		.amdhsa_exception_fp_ieee_overflow 0
		.amdhsa_exception_fp_ieee_underflow 0
		.amdhsa_exception_fp_ieee_inexact 0
		.amdhsa_exception_int_div_zero 0
	.end_amdhsa_kernel
	.section	.text._ZL13mul_mat_f_idsIfLi64ELi13ELi3EEvPKT_PKfPKiS6_S6_Pfiiiiiiiiiiiiii15HIP_vector_typeIjLj3EES9_,"axG",@progbits,_ZL13mul_mat_f_idsIfLi64ELi13ELi3EEvPKT_PKfPKiS6_S6_Pfiiiiiiiiiiiiii15HIP_vector_typeIjLj3EES9_,comdat
.Lfunc_end81:
	.size	_ZL13mul_mat_f_idsIfLi64ELi13ELi3EEvPKT_PKfPKiS6_S6_Pfiiiiiiiiiiiiii15HIP_vector_typeIjLj3EES9_, .Lfunc_end81-_ZL13mul_mat_f_idsIfLi64ELi13ELi3EEvPKT_PKfPKiS6_S6_Pfiiiiiiiiiiiiii15HIP_vector_typeIjLj3EES9_
                                        ; -- End function
	.section	.AMDGPU.csdata,"",@progbits
; Kernel info:
; codeLenInByte = 7876
; NumSgprs: 100
; NumVgprs: 93
; NumAgprs: 16
; TotalNumVgprs: 112
; ScratchSize: 0
; MemoryBound: 0
; FloatMode: 240
; IeeeMode: 1
; LDSByteSize: 0 bytes/workgroup (compile time only)
; SGPRBlocks: 12
; VGPRBlocks: 13
; NumSGPRsForWavesPerEU: 100
; NumVGPRsForWavesPerEU: 112
; AccumOffset: 96
; Occupancy: 4
; WaveLimiterHint : 1
; COMPUTE_PGM_RSRC2:SCRATCH_EN: 0
; COMPUTE_PGM_RSRC2:USER_SGPR: 6
; COMPUTE_PGM_RSRC2:TRAP_HANDLER: 0
; COMPUTE_PGM_RSRC2:TGID_X_EN: 1
; COMPUTE_PGM_RSRC2:TGID_Y_EN: 1
; COMPUTE_PGM_RSRC2:TGID_Z_EN: 1
; COMPUTE_PGM_RSRC2:TIDIG_COMP_CNT: 1
; COMPUTE_PGM_RSRC3_GFX90A:ACCUM_OFFSET: 23
; COMPUTE_PGM_RSRC3_GFX90A:TG_SPLIT: 0
	.section	.text._ZL9mul_mat_fIfLi64ELi13ELi3ELb1EEvPKT_PKfPKiPfiiiiiiiiiiiiiiii,"axG",@progbits,_ZL9mul_mat_fIfLi64ELi13ELi3ELb1EEvPKT_PKfPKiPfiiiiiiiiiiiiiiii,comdat
	.globl	_ZL9mul_mat_fIfLi64ELi13ELi3ELb1EEvPKT_PKfPKiPfiiiiiiiiiiiiiiii ; -- Begin function _ZL9mul_mat_fIfLi64ELi13ELi3ELb1EEvPKT_PKfPKiPfiiiiiiiiiiiiiiii
	.p2align	8
	.type	_ZL9mul_mat_fIfLi64ELi13ELi3ELb1EEvPKT_PKfPKiPfiiiiiiiiiiiiiiii,@function
_ZL9mul_mat_fIfLi64ELi13ELi3ELb1EEvPKT_PKfPKiPfiiiiiiiiiiiiiiii: ; @_ZL9mul_mat_fIfLi64ELi13ELi3ELb1EEvPKT_PKfPKiPfiiiiiiiiiiiiiiii
; %bb.0:
	s_load_dwordx8 s[20:27], s[4:5], 0x20
	v_bfe_u32 v3, v0, 10, 10
	s_waitcnt lgkmcnt(0)
	s_add_i32 s0, s21, 12
	s_mul_hi_i32 s0, s0, 0x4ec4ec4f
	s_lshr_b32 s1, s0, 31
	s_ashr_i32 s0, s0, 2
	s_add_i32 s0, s0, s1
	v_cvt_f32_u32_e32 v1, s0
	s_load_dwordx4 s[28:31], s[4:5], 0x44
	s_load_dword s1, s[4:5], 0x64
	s_add_u32 s34, s4, 0x60
	s_addc_u32 s35, s5, 0
	v_rcp_iflag_f32_e32 v1, v1
	s_sub_i32 s2, 0, s0
	v_mul_f32_e32 v1, 0x4f7ffffe, v1
	v_cvt_u32_f32_e32 v1, v1
	v_readfirstlane_b32 s3, v1
	s_mul_i32 s2, s2, s3
	s_mul_hi_u32 s2, s3, s2
	s_add_i32 s3, s3, s2
	s_waitcnt lgkmcnt(0)
	s_mul_hi_u32 s2, s1, s3
	s_mul_i32 s3, s2, s0
	s_sub_i32 s1, s1, s3
	s_add_i32 s9, s2, 1
	s_sub_i32 s3, s1, s0
	s_cmp_ge_u32 s1, s0
	s_cselect_b32 s2, s9, s2
	s_cselect_b32 s1, s3, s1
	s_add_i32 s3, s2, 1
	s_cmp_ge_u32 s1, s0
	s_cselect_b32 s10, s3, s2
	v_cvt_f32_u32_e32 v1, s10
	s_abs_i32 s44, s31
	v_cvt_f32_u32_e32 v2, s44
	s_load_dwordx2 s[0:1], s[4:5], 0x10
	v_rcp_iflag_f32_e32 v1, v1
	s_sub_i32 s2, 0, s10
	v_rcp_iflag_f32_e32 v2, v2
	v_mul_f32_e32 v1, 0x4f7ffffe, v1
	v_cvt_u32_f32_e32 v1, v1
	v_mul_f32_e32 v2, 0x4f7ffffe, v2
	v_cvt_u32_f32_e32 v4, v2
	v_and_b32_e32 v2, 0x3ff, v0
	v_readfirstlane_b32 s3, v1
	s_mul_i32 s2, s2, s3
	s_mul_hi_u32 s2, s3, s2
	s_add_i32 s3, s3, s2
	v_readfirstlane_b32 s9, v4
	s_mul_hi_u32 s11, s7, s3
	v_cmp_eq_u32_e32 vcc, 0, v2
	s_and_saveexec_b64 s[2:3], vcc
	s_cbranch_execz .LBB82_2
; %bb.1:
	v_mov_b32_e32 v1, 0x100
	v_lshl_add_u32 v1, v3, 2, v1
	v_mov_b32_e32 v4, -1
	ds_write_b32 v1, v4
.LBB82_2:
	s_or_b64 exec, exec, s[2:3]
	s_mul_i32 s2, s11, s10
	s_sub_i32 s2, s7, s2
	s_add_i32 s3, s11, 1
	s_sub_i32 s12, s2, s10
	s_cmp_ge_u32 s2, s10
	s_cselect_b32 s3, s3, s11
	s_cselect_b32 s2, s12, s2
	s_add_i32 s11, s3, 1
	s_cmp_ge_u32 s2, s10
	s_cselect_b32 s2, s11, s3
	s_mul_i32 s3, s2, s10
	s_mul_i32 s56, s2, 13
	s_sub_i32 s7, s7, s3
	s_mul_hi_i32 s3, s56, s27
	s_mul_i32 s2, s56, s27
	s_lshl_b64 s[2:3], s[2:3], 2
	s_waitcnt lgkmcnt(0)
	s_add_u32 s0, s0, s2
	v_add_u32_e32 v1, s56, v3
	s_addc_u32 s1, s1, s3
	v_cmp_gt_i32_e64 s[12:13], s22, v2
	v_cmp_gt_i32_e64 s[46:47], s21, v1
	v_mov_b32_e32 v1, 0
	s_and_saveexec_b64 s[14:15], s[46:47]
	s_cbranch_execz .LBB82_10
; %bb.3:
	v_mov_b32_e32 v1, 0
	s_and_saveexec_b64 s[16:17], s[12:13]
	s_cbranch_execz .LBB82_9
; %bb.4:
	v_mul_lo_u32 v4, v3, s27
	v_ashrrev_i32_e32 v5, 31, v4
	v_lshlrev_b64 v[4:5], 2, v[4:5]
	v_mov_b32_e32 v1, s1
	v_add_co_u32_e64 v6, s[2:3], s0, v4
	v_addc_co_u32_e64 v7, s[2:3], v1, v5, s[2:3]
	v_mov_b32_e32 v1, 0x100
	v_lshl_add_u32 v8, v3, 2, v1
	v_mul_lo_u32 v4, v2, s26
	s_lshl_b32 s33, s26, 6
	s_mov_b64 s[18:19], 0
	v_mov_b32_e32 v1, 0
	v_mov_b32_e32 v9, v2
	s_branch .LBB82_6
.LBB82_5:                               ;   in Loop: Header=BB82_6 Depth=1
	s_or_b64 exec, exec, s[36:37]
	v_add_u32_e32 v9, 64, v9
	v_cmp_le_i32_e64 s[10:11], s22, v9
	s_xor_b64 s[2:3], s[2:3], -1
	s_or_b64 s[2:3], s[2:3], s[10:11]
	s_and_b64 s[2:3], exec, s[2:3]
	s_or_b64 s[18:19], s[2:3], s[18:19]
	v_add_u32_e32 v4, s33, v4
	s_andn2_b64 exec, exec, s[18:19]
	s_cbranch_execz .LBB82_8
.LBB82_6:                               ; =>This Inner Loop Header: Depth=1
	v_ashrrev_i32_e32 v5, 31, v4
	v_lshlrev_b64 v[10:11], 2, v[4:5]
	v_add_co_u32_e64 v10, s[2:3], v6, v10
	v_addc_co_u32_e64 v11, s[2:3], v7, v11, s[2:3]
	global_load_dword v5, v[10:11], off
	s_waitcnt vmcnt(0)
	v_cmp_ne_u32_e64 s[2:3], s7, v5
	v_cmp_eq_u32_e64 s[10:11], s7, v5
	s_and_saveexec_b64 s[36:37], s[10:11]
	s_cbranch_execz .LBB82_5
; %bb.7:                                ;   in Loop: Header=BB82_6 Depth=1
	v_mov_b32_e32 v1, 1
	ds_write_b32 v8, v9
	s_branch .LBB82_5
.LBB82_8:
	s_or_b64 exec, exec, s[18:19]
.LBB82_9:
	s_or_b64 exec, exec, s[16:17]
.LBB82_10:
	s_or_b64 exec, exec, s[14:15]
	s_and_saveexec_b64 s[2:3], vcc
	s_cbranch_execz .LBB82_12
; %bb.11:
	v_mov_b32_e32 v4, 0x100
	v_lshl_add_u32 v4, v3, 2, v4
	v_mov_b32_e32 v5, -1
	ds_write_b32 v4, v5 offset:12
.LBB82_12:
	s_or_b64 exec, exec, s[2:3]
	v_add_u32_e32 v68, 3, v3
	v_add_u32_e32 v4, s56, v68
	v_cmp_gt_i32_e64 s[2:3], s21, v4
	s_mov_b64 s[16:17], exec
                                        ; implicit-def: $vgpr89 : SGPR spill to VGPR lane
	v_writelane_b32 v89, s2, 0
	v_writelane_b32 v89, s3, 1
	s_and_b64 s[2:3], s[16:17], s[2:3]
	s_mov_b64 exec, s[2:3]
	s_cbranch_execz .LBB82_20
; %bb.13:
	s_and_saveexec_b64 s[18:19], s[12:13]
	s_cbranch_execz .LBB82_19
; %bb.14:
	v_mul_lo_u32 v4, v68, s27
	v_ashrrev_i32_e32 v5, 31, v4
	v_lshlrev_b64 v[4:5], 2, v[4:5]
	v_mov_b32_e32 v7, s1
	v_add_co_u32_e64 v6, s[10:11], s0, v4
	v_mov_b32_e32 v4, 0x100
	v_addc_co_u32_e64 v7, s[10:11], v7, v5, s[10:11]
	v_lshl_add_u32 v8, v3, 2, v4
	v_mul_lo_u32 v4, v2, s26
	s_lshl_b32 s2, s26, 6
	s_mov_b64 s[36:37], 0
	v_mov_b32_e32 v9, v2
	s_branch .LBB82_16
.LBB82_15:                              ;   in Loop: Header=BB82_16 Depth=1
	s_or_b64 exec, exec, s[38:39]
	v_add_u32_e32 v9, 64, v9
	v_cmp_le_i32_e64 s[14:15], s22, v9
	s_xor_b64 s[10:11], s[10:11], -1
	s_or_b64 s[10:11], s[10:11], s[14:15]
	s_and_b64 s[10:11], exec, s[10:11]
	s_or_b64 s[36:37], s[10:11], s[36:37]
	v_add_u32_e32 v4, s2, v4
	s_andn2_b64 exec, exec, s[36:37]
	s_cbranch_execz .LBB82_18
.LBB82_16:                              ; =>This Inner Loop Header: Depth=1
	v_ashrrev_i32_e32 v5, 31, v4
	v_lshlrev_b64 v[10:11], 2, v[4:5]
	v_add_co_u32_e64 v10, s[10:11], v6, v10
	v_addc_co_u32_e64 v11, s[10:11], v7, v11, s[10:11]
	global_load_dword v5, v[10:11], off
	s_waitcnt vmcnt(0)
	v_cmp_ne_u32_e64 s[10:11], s7, v5
	v_cmp_eq_u32_e64 s[14:15], s7, v5
	s_and_saveexec_b64 s[38:39], s[14:15]
	s_cbranch_execz .LBB82_15
; %bb.17:                               ;   in Loop: Header=BB82_16 Depth=1
	v_mov_b32_e32 v1, 1
	ds_write_b32 v8, v9 offset:12
	s_branch .LBB82_15
.LBB82_18:
	s_or_b64 exec, exec, s[36:37]
.LBB82_19:
	s_or_b64 exec, exec, s[18:19]
.LBB82_20:
	s_or_b64 exec, exec, s[16:17]
	s_and_saveexec_b64 s[10:11], vcc
	s_cbranch_execz .LBB82_22
; %bb.21:
	v_mov_b32_e32 v4, 0x100
	v_lshl_add_u32 v4, v3, 2, v4
	v_mov_b32_e32 v5, -1
	ds_write_b32 v4, v5 offset:24
.LBB82_22:
	s_or_b64 exec, exec, s[10:11]
	v_add_u32_e32 v69, 6, v3
	v_add_u32_e32 v4, s56, v69
	v_cmp_gt_i32_e64 s[2:3], s21, v4
	s_mov_b64 s[18:19], exec
	v_writelane_b32 v89, s2, 2
	v_writelane_b32 v89, s3, 3
	s_and_b64 s[2:3], s[18:19], s[2:3]
	s_mov_b64 exec, s[2:3]
	s_cbranch_execz .LBB82_30
; %bb.23:
	s_and_saveexec_b64 s[36:37], s[12:13]
	s_cbranch_execz .LBB82_29
; %bb.24:
	v_mul_lo_u32 v4, v69, s27
	v_ashrrev_i32_e32 v5, 31, v4
	v_lshlrev_b64 v[4:5], 2, v[4:5]
	v_mov_b32_e32 v7, s1
	v_add_co_u32_e64 v6, s[14:15], s0, v4
	v_mov_b32_e32 v4, 0x100
	v_addc_co_u32_e64 v7, s[14:15], v7, v5, s[14:15]
	v_lshl_add_u32 v8, v3, 2, v4
	v_mul_lo_u32 v4, v2, s26
	s_lshl_b32 s2, s26, 6
	s_mov_b64 s[38:39], 0
	v_mov_b32_e32 v9, v2
	s_branch .LBB82_26
.LBB82_25:                              ;   in Loop: Header=BB82_26 Depth=1
	s_or_b64 exec, exec, s[40:41]
	v_add_u32_e32 v9, 64, v9
	v_cmp_le_i32_e64 s[16:17], s22, v9
	s_xor_b64 s[10:11], s[14:15], -1
	s_or_b64 s[10:11], s[10:11], s[16:17]
	s_and_b64 s[10:11], exec, s[10:11]
	s_or_b64 s[38:39], s[10:11], s[38:39]
	v_add_u32_e32 v4, s2, v4
	s_andn2_b64 exec, exec, s[38:39]
	s_cbranch_execz .LBB82_28
.LBB82_26:                              ; =>This Inner Loop Header: Depth=1
	v_ashrrev_i32_e32 v5, 31, v4
	v_lshlrev_b64 v[10:11], 2, v[4:5]
	v_add_co_u32_e64 v10, s[14:15], v6, v10
	v_addc_co_u32_e64 v11, s[14:15], v7, v11, s[14:15]
	global_load_dword v5, v[10:11], off
	s_waitcnt vmcnt(0)
	v_cmp_ne_u32_e64 s[14:15], s7, v5
	v_cmp_eq_u32_e64 s[16:17], s7, v5
	s_and_saveexec_b64 s[40:41], s[16:17]
	s_cbranch_execz .LBB82_25
; %bb.27:                               ;   in Loop: Header=BB82_26 Depth=1
	v_mov_b32_e32 v1, 1
	ds_write_b32 v8, v9 offset:24
	s_branch .LBB82_25
.LBB82_28:
	s_or_b64 exec, exec, s[38:39]
.LBB82_29:
	s_or_b64 exec, exec, s[36:37]
.LBB82_30:
	s_or_b64 exec, exec, s[18:19]
	s_sub_i32 s2, 0, s44
	s_and_saveexec_b64 s[14:15], vcc
	s_cbranch_execz .LBB82_32
; %bb.31:
	v_mov_b32_e32 v4, 0x100
	v_lshl_add_u32 v4, v3, 2, v4
	v_mov_b32_e32 v5, -1
	ds_write_b32 v4, v5 offset:36
.LBB82_32:
	s_or_b64 exec, exec, s[14:15]
	v_add_u32_e32 v70, 9, v3
	s_mul_i32 s2, s2, s9
	v_add_u32_e32 v4, s56, v70
	v_cmp_gt_i32_e64 s[10:11], s21, v4
	s_mov_b64 s[36:37], exec
	v_writelane_b32 v89, s10, 4
	v_writelane_b32 v89, s11, 5
	s_and_b64 s[10:11], s[36:37], s[10:11]
	s_mov_b64 exec, s[10:11]
	s_cbranch_execz .LBB82_40
; %bb.33:
	s_and_saveexec_b64 s[38:39], s[12:13]
	s_cbranch_execz .LBB82_39
; %bb.34:
	v_mul_lo_u32 v4, v70, s27
	v_ashrrev_i32_e32 v5, 31, v4
	v_lshlrev_b64 v[4:5], 2, v[4:5]
	v_mov_b32_e32 v7, s1
	v_add_co_u32_e64 v6, s[14:15], s0, v4
	v_mov_b32_e32 v4, 0x100
	v_addc_co_u32_e64 v7, s[14:15], v7, v5, s[14:15]
	v_lshl_add_u32 v8, v3, 2, v4
	v_mul_lo_u32 v4, v2, s26
	s_lshl_b32 s3, s26, 6
	s_mov_b64 s[40:41], 0
	v_mov_b32_e32 v9, v2
	s_branch .LBB82_36
.LBB82_35:                              ;   in Loop: Header=BB82_36 Depth=1
	s_or_b64 exec, exec, s[42:43]
	v_add_u32_e32 v9, 64, v9
	v_cmp_le_i32_e64 s[18:19], s22, v9
	s_xor_b64 s[10:11], s[14:15], -1
	s_or_b64 s[10:11], s[10:11], s[18:19]
	s_and_b64 s[10:11], exec, s[10:11]
	s_or_b64 s[40:41], s[10:11], s[40:41]
	v_add_u32_e32 v4, s3, v4
	s_andn2_b64 exec, exec, s[40:41]
	s_cbranch_execz .LBB82_38
.LBB82_36:                              ; =>This Inner Loop Header: Depth=1
	v_ashrrev_i32_e32 v5, 31, v4
	v_lshlrev_b64 v[10:11], 2, v[4:5]
	v_add_co_u32_e64 v10, s[14:15], v6, v10
	v_addc_co_u32_e64 v11, s[14:15], v7, v11, s[14:15]
	global_load_dword v5, v[10:11], off
	s_waitcnt vmcnt(0)
	v_cmp_ne_u32_e64 s[14:15], s7, v5
	v_cmp_eq_u32_e64 s[18:19], s7, v5
	s_and_saveexec_b64 s[42:43], s[18:19]
	s_cbranch_execz .LBB82_35
; %bb.37:                               ;   in Loop: Header=BB82_36 Depth=1
	v_mov_b32_e32 v1, 1
	ds_write_b32 v8, v9 offset:36
	s_branch .LBB82_35
.LBB82_38:
	s_or_b64 exec, exec, s[40:41]
.LBB82_39:
	s_or_b64 exec, exec, s[38:39]
.LBB82_40:
	s_or_b64 exec, exec, s[36:37]
	s_mul_hi_u32 s3, s9, s2
	s_and_saveexec_b64 s[14:15], vcc
	s_cbranch_execz .LBB82_42
; %bb.41:
	v_mov_b32_e32 v4, 0x100
	v_lshl_add_u32 v4, v3, 2, v4
	v_mov_b32_e32 v5, -1
	ds_write_b32 v4, v5 offset:48
.LBB82_42:
	s_or_b64 exec, exec, s[14:15]
	s_load_dwordx4 s[36:39], s[4:5], 0x54
	v_add_u32_e32 v71, 12, v3
	s_abs_i32 s2, s8
	s_add_i32 s9, s9, s3
	v_add_u32_e32 v4, s56, v71
	v_cmp_gt_i32_e64 s[10:11], s21, v4
	s_mov_b64 s[18:19], exec
	v_writelane_b32 v89, s10, 6
	v_writelane_b32 v89, s11, 7
	s_and_b64 s[10:11], s[18:19], s[10:11]
	s_mov_b64 exec, s[10:11]
	s_cbranch_execz .LBB82_50
; %bb.43:
	s_and_saveexec_b64 s[40:41], s[12:13]
	s_cbranch_execz .LBB82_49
; %bb.44:
	v_mul_lo_u32 v4, v71, s27
	v_ashrrev_i32_e32 v5, 31, v4
	v_lshlrev_b64 v[4:5], 2, v[4:5]
	v_mov_b32_e32 v7, s1
	v_add_co_u32_e32 v6, vcc, s0, v4
	v_mov_b32_e32 v4, 0x100
	v_addc_co_u32_e32 v7, vcc, v7, v5, vcc
	v_lshl_add_u32 v8, v3, 2, v4
	v_mul_lo_u32 v4, v2, s26
	s_lshl_b32 s0, s26, 6
	s_mov_b64 s[26:27], 0
	v_mov_b32_e32 v9, v2
	s_branch .LBB82_46
.LBB82_45:                              ;   in Loop: Header=BB82_46 Depth=1
	s_or_b64 exec, exec, s[42:43]
	v_add_u32_e32 v9, 64, v9
	v_cmp_le_i32_e64 s[12:13], s22, v9
	s_xor_b64 s[10:11], vcc, -1
	s_or_b64 s[10:11], s[10:11], s[12:13]
	s_and_b64 s[10:11], exec, s[10:11]
	s_or_b64 s[26:27], s[10:11], s[26:27]
	v_add_u32_e32 v4, s0, v4
	s_andn2_b64 exec, exec, s[26:27]
	s_cbranch_execz .LBB82_48
.LBB82_46:                              ; =>This Inner Loop Header: Depth=1
	v_ashrrev_i32_e32 v5, 31, v4
	v_lshlrev_b64 v[10:11], 2, v[4:5]
	v_add_co_u32_e32 v10, vcc, v6, v10
	v_addc_co_u32_e32 v11, vcc, v7, v11, vcc
	global_load_dword v5, v[10:11], off
	s_waitcnt vmcnt(0)
	v_cmp_ne_u32_e32 vcc, s7, v5
	v_cmp_eq_u32_e64 s[12:13], s7, v5
	s_and_saveexec_b64 s[42:43], s[12:13]
	s_cbranch_execz .LBB82_45
; %bb.47:                               ;   in Loop: Header=BB82_46 Depth=1
	v_mov_b32_e32 v1, 1
	ds_write_b32 v8, v9 offset:48
	s_branch .LBB82_45
.LBB82_48:
	s_or_b64 exec, exec, s[26:27]
.LBB82_49:
	s_or_b64 exec, exec, s[40:41]
.LBB82_50:
	s_or_b64 exec, exec, s[18:19]
	s_load_dwordx2 s[10:11], s[34:35], 0xc
	s_load_dwordx4 s[40:43], s[4:5], 0x0
	s_load_dwordx2 s[0:1], s[4:5], 0x18
	v_cmp_ne_u32_e32 vcc, 0, v1
	v_cndmask_b32_e64 v1, 0, 1, vcc
                                        ; kill: killed $sgpr4 killed $sgpr5
	s_waitcnt lgkmcnt(0)
	s_lshr_b32 s4, s10, 16
	s_and_b32 s3, s10, 0xffff
	v_or_b32_dpp v1, v1, v1 row_shl:1 row_mask:0xf bank_mask:0xf bound_ctrl:1
	v_writelane_b32 v89, s0, 8
	s_mul_i32 s5, s4, s3
	v_or_b32_dpp v1, v1, v1 row_shl:2 row_mask:0xf bank_mask:0xf bound_ctrl:1
	v_writelane_b32 v89, s1, 9
	s_and_b32 s1, s11, 0xffff
	v_or_b32_dpp v1, v1, v1 row_shl:4 row_mask:0xf bank_mask:0xf bound_ctrl:1
	s_bfe_i32 s5, s5, 0x180000
	s_mul_i32 s1, s5, s1
	v_or_b32_dpp v1, v1, v1 row_shl:8 row_mask:0xf bank_mask:0xf bound_ctrl:1
	s_add_i32 s5, s1, 63
	s_bitcmp1_b32 exec_hi, 0
	v_mov_b32_dpp v4, v1 wave_shl:1 row_mask:0xf bank_mask:0xf bound_ctrl:1
	s_mul_hi_u32 s0, s2, s9
                                        ; kill: killed $sgpr34 killed $sgpr35
	s_nop 0
	v_or_b32_dpp v1, v4, v1 row_mirror row_mask:0xf bank_mask:0xf bound_ctrl:1
	v_readlane_b32 s1, v1, 32
	s_cselect_b32 s1, s1, 0
	v_readlane_b32 s9, v1, 0
	s_or_b32 s1, s1, s9
	s_andn2_b32 s5, s5, 63
	s_cmp_lg_u32 s5, 64
	v_mov_b32_e32 v1, s1
	s_cbranch_scc0 .LBB82_57
; %bb.51:
	v_bfe_u32 v0, v0, 20, 10
	v_mbcnt_lo_u32_b32 v1, -1, 0
	v_mad_u32_u24 v0, v0, s4, v3
	v_mbcnt_hi_u32_b32 v4, -1, v1
	v_mad_u64_u32 v[0:1], s[4:5], v0, s3, v[2:3]
	v_lshrrev_b32_e32 v1, 6, v0
	v_or_b32_e32 v1, v4, v1
	v_cmp_eq_u32_e32 vcc, 0, v1
	s_and_saveexec_b64 s[4:5], vcc
	s_cbranch_execz .LBB82_53
; %bb.52:
	v_mov_b32_e32 v1, 0
	v_mov_b32_e32 v5, s1
	ds_write_b32 v1, v5
.LBB82_53:
	s_or_b64 exec, exec, s[4:5]
	v_cmp_eq_u32_e32 vcc, 0, v4
	v_cmp_lt_u32_e64 s[4:5], 63, v0
	s_and_b64 s[10:11], s[4:5], vcc
	s_waitcnt lgkmcnt(0)
	s_barrier
	s_and_saveexec_b64 s[4:5], s[10:11]
	s_cbranch_execz .LBB82_56
; %bb.54:
	v_mbcnt_lo_u32_b32 v0, exec_lo, 0
	v_mbcnt_hi_u32_b32 v0, exec_hi, v0
	v_cmp_eq_u32_e32 vcc, 0, v0
	s_and_b64 exec, exec, vcc
	s_cbranch_execz .LBB82_56
; %bb.55:
	v_mov_b32_e32 v0, 0
	v_mov_b32_e32 v1, s1
	ds_or_b32 v0, v1
.LBB82_56:
	s_or_b64 exec, exec, s[4:5]
	v_mov_b32_e32 v0, 0
	s_waitcnt lgkmcnt(0)
	s_barrier
	ds_read_b32 v1, v0
	s_waitcnt lgkmcnt(0)
	s_barrier
.LBB82_57:
	v_cmp_ne_u32_e32 vcc, 0, v1
	s_ashr_i32 s1, s8, 31
	s_ashr_i32 s3, s31, 31
	s_cbranch_vccz .LBB82_135
; %bb.58:
	v_lshlrev_b32_e32 v72, 6, v3
	v_add_u32_e32 v74, v72, v2
	v_cmp_le_i32_e32 vcc, s20, v74
	v_and_b32_e32 v73, 15, v2
                                        ; implicit-def: $sgpr9
	s_and_saveexec_b64 s[4:5], vcc
	s_xor_b64 s[4:5], exec, s[4:5]
; %bb.59:
	v_and_b32_e32 v73, 15, v2
	s_mov_b32 s9, 0
                                        ; implicit-def: $vgpr74
; %bb.60:
	s_or_saveexec_b64 s[4:5], s[4:5]
	s_lshl_b32 s6, s6, 6
	v_accvgpr_write_b32 a0, s9
	v_accvgpr_write_b32 a1, s9
	;; [unrolled: 1-line block ×16, first 2 shown]
	v_writelane_b32 v89, s4, 10
	v_writelane_b32 v89, s5, 11
	s_xor_b64 exec, exec, s[4:5]
	s_cbranch_execz .LBB82_116
; %bb.61:
	s_xor_b32 s1, s1, s3
	s_mul_i32 s3, s0, s44
	s_sub_i32 s2, s2, s3
	s_add_i32 s3, s0, 1
	s_sub_i32 s4, s2, s44
	s_cmp_ge_u32 s2, s44
	s_cselect_b32 s0, s3, s0
	s_cselect_b32 s2, s4, s2
	s_add_i32 s3, s0, 1
	s_cmp_ge_u32 s2, s44
	s_cselect_b32 s0, s3, s0
	s_xor_b32 s0, s0, s1
	s_sub_i32 s0, s0, s1
	s_mul_hi_i32 s1, s0, s36
	s_mul_i32 s0, s0, s36
	s_mul_i32 s2, s7, s28
	v_writelane_b32 v89, s46, 12
	s_ashr_i32 s3, s2, 31
	s_lshl_b64 s[0:1], s[0:1], 2
	v_writelane_b32 v89, s47, 13
	s_add_u32 s5, s40, s0
	v_writelane_b32 v89, s6, 14
	s_mul_i32 s4, s6, s23
	s_addc_u32 s6, s41, s1
	s_lshl_b64 s[2:3], s[2:3], 2
	s_add_u32 s7, s5, s2
	s_addc_u32 s6, s6, s3
	s_ashr_i32 s5, s4, 31
	s_lshl_b64 s[4:5], s[4:5], 2
	s_add_u32 s28, s7, s4
	s_addc_u32 s10, s6, s5
	s_movk_i32 s6, 0x1080
	v_mov_b32_e32 v75, 0x100
	v_writelane_b32 v89, s8, 15
	v_mad_u32_u24 v0, v3, s6, v75
	s_mul_hi_i32 s7, s37, s8
	v_writelane_b32 v89, s36, 16
	s_mul_i32 s6, s37, s8
	s_lshl_b64 s[6:7], s[6:7], 2
	s_mul_hi_i32 s9, s56, s24
	s_mul_i32 s8, s56, s24
	s_add_u32 s11, s42, s6
	v_writelane_b32 v89, s37, 17
	s_addc_u32 s12, s43, s7
	s_lshl_b64 s[6:7], s[8:9], 2
	v_writelane_b32 v89, s38, 18
	s_add_u32 s33, s11, s6
	v_writelane_b32 v89, s39, 19
	s_addc_u32 s39, s12, s7
	s_cmp_lt_i32 s56, s21
	s_cselect_b64 s[6:7], -1, 0
	s_add_i32 s8, s56, 1
	s_cmp_lt_i32 s8, s21
	s_cselect_b64 s[18:19], -1, 0
	s_add_i32 s8, s56, 2
	s_cmp_lt_i32 s8, s21
	s_cselect_b64 s[26:27], -1, 0
	s_lshl_b32 s8, s24, 1
	v_writelane_b32 v89, s8, 20
	s_add_i32 s8, s56, 3
	s_cmp_lt_i32 s8, s21
	s_cselect_b64 s[34:35], -1, 0
	s_add_i32 s8, s56, 4
	s_cmp_lt_i32 s8, s21
	s_cselect_b64 s[36:37], -1, 0
	s_lshl_b32 s8, s24, 2
	v_writelane_b32 v89, s8, 21
	s_add_i32 s8, s56, 5
	s_cmp_lt_i32 s8, s21
	s_cselect_b64 s[42:43], -1, 0
	s_add_i32 s8, s56, 6
	s_cmp_lt_i32 s8, s21
	s_cselect_b64 s[44:45], -1, 0
	;; [unrolled: 3-line block ×4, first 2 shown]
	s_lshl_b32 s8, s24, 3
	v_writelane_b32 v89, s8, 22
	s_add_i32 s8, s56, 9
	s_cmp_lt_i32 s8, s21
	s_cselect_b64 s[50:51], -1, 0
	s_add_i32 s8, s56, 10
	s_cmp_lt_i32 s8, s21
	s_cselect_b64 s[52:53], -1, 0
	;; [unrolled: 3-line block ×3, first 2 shown]
	s_add_i32 s8, s56, 12
	s_cmp_lt_i32 s8, s21
	v_writelane_b32 v89, s56, 23
	s_cselect_b64 s[56:57], -1, 0
	s_ashr_i32 s9, s23, 31
	s_mov_b32 s8, s23
	s_lshl_b64 s[58:59], s[8:9], 2
	s_add_u32 s0, s0, s4
	s_addc_u32 s1, s1, s5
	v_lshrrev_b32_e32 v4, 1, v2
	s_add_u32 s0, s0, s2
	v_mul_u32_u24_e32 v1, 0x108, v73
	v_and_b32_e32 v4, 0x1f8, v4
	s_addc_u32 s1, s1, s3
	v_lshl_add_u32 v76, v2, 2, v0
	v_add3_u32 v77, v0, v1, v4
	v_lshlrev_b32_e32 v0, 2, v74
	s_add_u32 s0, s40, s0
	v_add_co_u32_e32 v0, vcc, s0, v0
	s_mul_i32 s0, s23, 3
	v_writelane_b32 v89, s0, 24
	s_mul_i32 s0, s23, 5
	s_addc_u32 s1, s41, s1
	v_writelane_b32 v89, s0, 25
	s_mul_i32 s0, s23, 6
	v_mov_b32_e32 v1, s1
	v_writelane_b32 v89, s0, 26
	s_mul_i32 s0, s23, 7
	v_mov_b32_e32 v78, 0
	v_addc_co_u32_e32 v1, vcc, 0, v1, vcc
	s_lshl_b32 s40, s23, 1
	s_lshl_b32 s70, s23, 2
	v_writelane_b32 v89, s0, 27
	s_lshl_b32 s74, s23, 3
	s_mul_i32 s75, s23, 9
	s_mul_i32 s76, s23, 10
	;; [unrolled: 1-line block ×7, first 2 shown]
	s_lshl_b32 s82, s23, 4
	s_mul_i32 s83, s23, 17
	v_mov_b32_e32 v79, s10
	s_mul_i32 s84, s23, 18
	v_accvgpr_write_b32 a15, 0
	v_accvgpr_write_b32 a14, 0
	;; [unrolled: 1-line block ×16, first 2 shown]
	v_mov_b32_e32 v80, s59
	s_mul_i32 s59, s23, 19
	s_mul_i32 s85, s23, 20
	;; [unrolled: 1-line block ×13, first 2 shown]
	s_lshl_b32 s13, s23, 5
	s_mul_i32 s31, s23, 33
	s_mul_i32 s38, s23, 34
	;; [unrolled: 1-line block ×31, first 2 shown]
	s_mov_b64 s[22:23], 0
	s_branch .LBB82_64
.LBB82_62:                              ;   in Loop: Header=BB82_64 Depth=1
	v_mul_lo_u32 v81, v81, s29
	s_mul_i32 vcc_lo, s24, 12
	v_add_u32_e32 v81, vcc_lo, v81
	v_add_u32_e32 v82, v81, v74
	v_ashrrev_i32_e32 v83, 31, v82
	v_lshlrev_b64 v[82:83], 2, v[82:83]
	v_mov_b32_e32 v81, s39
	v_add_co_u32_e32 v82, vcc, s33, v82
	v_addc_co_u32_e32 v83, vcc, v81, v83, vcc
	global_load_dword v81, v[82:83], off
.LBB82_63:                              ;   in Loop: Header=BB82_64 Depth=1
	v_add_u32_e32 v82, 0xc00, v76
	s_waitcnt vmcnt(0)
	ds_write2_b32 v82, v81, v78 offset0:40 offset1:106
	ds_write2_b32 v82, v78, v78 offset0:172 offset1:238
	ds_read2_b64 v[82:85], v77 offset0:8 offset1:12
	v_add_co_u32_e32 v0, vcc, 0x300, v0
	v_add_u32_e32 v74, 0xc0, v74
	v_addc_co_u32_e32 v1, vcc, 0, v1, vcc
	s_waitcnt lgkmcnt(0)
	v_mfma_f32_16x16x4f32 a[12:15], v30, v82, a[12:15]
	v_cmp_le_i32_e32 vcc, s20, v74
	s_or_b64 s[22:23], vcc, s[22:23]
	v_mfma_f32_16x16x4f32 a[8:11], v46, v82, a[8:11]
	v_mfma_f32_16x16x4f32 a[4:7], v54, v82, a[4:7]
	;; [unrolled: 1-line block ×15, first 2 shown]
	ds_read2_b64 v[64:67], v77 offset0:16 offset1:20
	s_waitcnt lgkmcnt(0)
	v_mfma_f32_16x16x4f32 a[12:15], v18, v64, a[12:15]
	v_mfma_f32_16x16x4f32 a[8:11], v36, v64, a[8:11]
	;; [unrolled: 1-line block ×14, first 2 shown]
	ds_read2_b64 v[30:33], v77 offset0:24 offset1:28
	v_mfma_f32_16x16x4f32 a[4:7], v45, v67, a[4:7]
	v_mfma_f32_16x16x4f32 a[0:3], v61, v67, a[0:3]
	s_waitcnt lgkmcnt(0)
	v_mfma_f32_16x16x4f32 a[12:15], v12, v30, a[12:15]
	v_mfma_f32_16x16x4f32 a[8:11], v26, v30, a[8:11]
	;; [unrolled: 1-line block ×5, first 2 shown]
	ds_read2_b64 v[12:15], v77 offset0:32 offset1:36
	v_mfma_f32_16x16x4f32 a[8:11], v27, v31, a[8:11]
	v_mfma_f32_16x16x4f32 a[4:7], v39, v31, a[4:7]
	;; [unrolled: 1-line block ×11, first 2 shown]
	s_waitcnt lgkmcnt(0)
	v_mfma_f32_16x16x4f32 a[12:15], v6, v12, a[12:15]
	v_mfma_f32_16x16x4f32 a[8:11], v16, v12, a[8:11]
	;; [unrolled: 1-line block ×16, first 2 shown]
	s_andn2_b64 exec, exec, s[22:23]
	s_cbranch_execz .LBB82_115
.LBB82_64:                              ; =>This Inner Loop Header: Depth=1
	v_add_co_u32_e32 v4, vcc, s58, v0
	v_addc_co_u32_e32 v5, vcc, v1, v80, vcc
	global_load_dword v20, v[0:1], off
	global_load_dword v21, v[4:5], off
	v_add_u32_e32 v4, s40, v74
	v_ashrrev_i32_e32 v5, 31, v4
	v_lshlrev_b64 v[4:5], 2, v[4:5]
	v_add_co_u32_e32 v4, vcc, s28, v4
	v_addc_co_u32_e32 v5, vcc, v79, v5, vcc
	v_readlane_b32 vcc_lo, v89, 24
	v_add_u32_e32 v6, vcc_lo, v74
	v_ashrrev_i32_e32 v7, 31, v6
	v_lshlrev_b64 v[6:7], 2, v[6:7]
	v_add_u32_e32 v8, s70, v74
	v_add_co_u32_e32 v6, vcc, s28, v6
	v_ashrrev_i32_e32 v9, 31, v8
	v_addc_co_u32_e32 v7, vcc, v79, v7, vcc
	v_lshlrev_b64 v[8:9], 2, v[8:9]
	v_add_co_u32_e32 v8, vcc, s28, v8
	v_addc_co_u32_e32 v9, vcc, v79, v9, vcc
	v_readlane_b32 vcc_lo, v89, 25
	v_add_u32_e32 v10, vcc_lo, v74
	v_ashrrev_i32_e32 v11, 31, v10
	v_lshlrev_b64 v[10:11], 2, v[10:11]
	v_add_co_u32_e32 v10, vcc, s28, v10
	v_addc_co_u32_e32 v11, vcc, v79, v11, vcc
	v_readlane_b32 vcc_lo, v89, 26
	v_add_u32_e32 v12, vcc_lo, v74
	v_ashrrev_i32_e32 v13, 31, v12
	;; [unrolled: 6-line block ×3, first 2 shown]
	v_lshlrev_b64 v[14:15], 2, v[14:15]
	v_add_u32_e32 v16, s74, v74
	v_add_co_u32_e32 v14, vcc, s28, v14
	v_ashrrev_i32_e32 v17, 31, v16
	v_addc_co_u32_e32 v15, vcc, v79, v15, vcc
	v_lshlrev_b64 v[16:17], 2, v[16:17]
	v_add_u32_e32 v18, s75, v74
	v_add_co_u32_e32 v16, vcc, s28, v16
	v_ashrrev_i32_e32 v19, 31, v18
	v_addc_co_u32_e32 v17, vcc, v79, v17, vcc
	v_lshlrev_b64 v[18:19], 2, v[18:19]
	v_add_co_u32_e32 v18, vcc, s28, v18
	v_addc_co_u32_e32 v19, vcc, v79, v19, vcc
	global_load_dword v22, v[4:5], off
	global_load_dword v23, v[6:7], off
	;; [unrolled: 1-line block ×6, first 2 shown]
	s_nop 0
	global_load_dword v16, v[16:17], off
	s_nop 0
	global_load_dword v17, v[18:19], off
	v_add_u32_e32 v4, s76, v74
	v_ashrrev_i32_e32 v5, 31, v4
	v_lshlrev_b64 v[4:5], 2, v[4:5]
	v_add_u32_e32 v6, s77, v74
	v_add_co_u32_e32 v4, vcc, s28, v4
	v_ashrrev_i32_e32 v7, 31, v6
	v_addc_co_u32_e32 v5, vcc, v79, v5, vcc
	v_lshlrev_b64 v[6:7], 2, v[6:7]
	v_add_u32_e32 v8, s78, v74
	v_add_co_u32_e32 v6, vcc, s28, v6
	v_ashrrev_i32_e32 v9, 31, v8
	v_addc_co_u32_e32 v7, vcc, v79, v7, vcc
	;; [unrolled: 5-line block ×5, first 2 shown]
	v_lshlrev_b64 v[14:15], 2, v[14:15]
	v_add_co_u32_e32 v14, vcc, s28, v14
	v_addc_co_u32_e32 v15, vcc, v79, v15, vcc
	global_load_dword v18, v[4:5], off
	global_load_dword v19, v[6:7], off
	s_nop 0
	global_load_dword v8, v[8:9], off
	s_nop 0
	;; [unrolled: 2-line block ×4, first 2 shown]
	global_load_dword v13, v[14:15], off
	v_add_u32_e32 v4, s82, v74
	v_ashrrev_i32_e32 v5, 31, v4
	v_lshlrev_b64 v[4:5], 2, v[4:5]
	v_add_u32_e32 v6, s83, v74
	v_add_co_u32_e32 v4, vcc, s28, v4
	v_ashrrev_i32_e32 v7, 31, v6
	v_addc_co_u32_e32 v5, vcc, v79, v5, vcc
	v_lshlrev_b64 v[6:7], 2, v[6:7]
	s_waitcnt vmcnt(15)
	ds_write_b32 v76, v20 offset:64
	s_waitcnt vmcnt(14)
	ds_write_b32 v76, v21 offset:328
	;; [unrolled: 2-line block ×10, first 2 shown]
	v_add_co_u32_e32 v6, vcc, s28, v6
	v_addc_co_u32_e32 v7, vcc, v79, v7, vcc
	global_load_dword v10, v[4:5], off
	global_load_dword v11, v[6:7], off
	v_add_u32_e32 v4, s84, v74
	v_ashrrev_i32_e32 v5, 31, v4
	v_lshlrev_b64 v[4:5], 2, v[4:5]
	v_add_u32_e32 v6, s59, v74
	v_add_co_u32_e32 v4, vcc, s28, v4
	v_ashrrev_i32_e32 v7, 31, v6
	s_waitcnt vmcnt(7)
	ds_write_b32 v76, v18 offset:2704
	s_waitcnt vmcnt(6)
	ds_write_b32 v76, v19 offset:2968
	;; [unrolled: 2-line block ×6, first 2 shown]
	v_addc_co_u32_e32 v5, vcc, v79, v5, vcc
	v_lshlrev_b64 v[6:7], 2, v[6:7]
	v_add_u32_e32 v8, s85, v74
	v_add_co_u32_e32 v6, vcc, s28, v6
	v_ashrrev_i32_e32 v9, 31, v8
	v_addc_co_u32_e32 v7, vcc, v79, v7, vcc
	v_lshlrev_b64 v[8:9], 2, v[8:9]
	v_add_u32_e32 v12, s86, v74
	v_add_co_u32_e32 v8, vcc, s28, v8
	v_ashrrev_i32_e32 v13, 31, v12
	v_addc_co_u32_e32 v9, vcc, v79, v9, vcc
	v_lshlrev_b64 v[12:13], 2, v[12:13]
	v_add_u32_e32 v14, s87, v74
	v_add_co_u32_e32 v12, vcc, s28, v12
	v_ashrrev_i32_e32 v15, 31, v14
	v_addc_co_u32_e32 v13, vcc, v79, v13, vcc
	v_lshlrev_b64 v[14:15], 2, v[14:15]
	v_add_u32_e32 v16, s88, v74
	v_add_co_u32_e32 v14, vcc, s28, v14
	v_ashrrev_i32_e32 v17, 31, v16
	v_addc_co_u32_e32 v15, vcc, v79, v15, vcc
	v_lshlrev_b64 v[16:17], 2, v[16:17]
	v_add_u32_e32 v18, s89, v74
	v_add_co_u32_e32 v16, vcc, s28, v16
	v_ashrrev_i32_e32 v19, 31, v18
	v_addc_co_u32_e32 v17, vcc, v79, v17, vcc
	v_lshlrev_b64 v[18:19], 2, v[18:19]
	v_add_u32_e32 v20, s90, v74
	v_add_co_u32_e32 v18, vcc, s28, v18
	v_ashrrev_i32_e32 v21, 31, v20
	v_addc_co_u32_e32 v19, vcc, v79, v19, vcc
	v_lshlrev_b64 v[20:21], 2, v[20:21]
	v_add_co_u32_e32 v20, vcc, s28, v20
	v_addc_co_u32_e32 v21, vcc, v79, v21, vcc
	global_load_dword v24, v[4:5], off
	global_load_dword v25, v[6:7], off
	global_load_dword v26, v[8:9], off
	global_load_dword v27, v[12:13], off
	global_load_dword v28, v[14:15], off
	global_load_dword v29, v[16:17], off
	global_load_dword v32, v[18:19], off
	global_load_dword v33, v[20:21], off
	v_add_u32_e32 v4, s91, v74
	v_ashrrev_i32_e32 v5, 31, v4
	v_lshlrev_b64 v[4:5], 2, v[4:5]
	v_add_u32_e32 v6, s92, v74
	v_add_co_u32_e32 v4, vcc, s28, v4
	v_ashrrev_i32_e32 v7, 31, v6
	v_addc_co_u32_e32 v5, vcc, v79, v5, vcc
	v_lshlrev_b64 v[6:7], 2, v[6:7]
	v_add_u32_e32 v8, s93, v74
	v_add_co_u32_e32 v6, vcc, s28, v6
	v_ashrrev_i32_e32 v9, 31, v8
	v_addc_co_u32_e32 v7, vcc, v79, v7, vcc
	v_lshlrev_b64 v[8:9], 2, v[8:9]
	v_add_u32_e32 v12, s94, v74
	v_add_co_u32_e32 v8, vcc, s28, v8
	v_ashrrev_i32_e32 v13, 31, v12
	v_addc_co_u32_e32 v9, vcc, v79, v9, vcc
	v_lshlrev_b64 v[12:13], 2, v[12:13]
	v_add_u32_e32 v14, s95, v74
	v_add_co_u32_e32 v12, vcc, s28, v12
	v_ashrrev_i32_e32 v15, 31, v14
	v_addc_co_u32_e32 v13, vcc, v79, v13, vcc
	v_lshlrev_b64 v[14:15], 2, v[14:15]
	v_add_u32_e32 v16, s12, v74
	v_add_co_u32_e32 v14, vcc, s28, v14
	v_ashrrev_i32_e32 v17, 31, v16
	v_addc_co_u32_e32 v15, vcc, v79, v15, vcc
	v_lshlrev_b64 v[16:17], 2, v[16:17]
	v_add_u32_e32 v18, s13, v74
	v_add_co_u32_e32 v16, vcc, s28, v16
	v_ashrrev_i32_e32 v19, 31, v18
	v_addc_co_u32_e32 v17, vcc, v79, v17, vcc
	v_lshlrev_b64 v[18:19], 2, v[18:19]
	v_add_u32_e32 v20, s31, v74
	v_add_co_u32_e32 v18, vcc, s28, v18
	v_ashrrev_i32_e32 v21, 31, v20
	v_addc_co_u32_e32 v19, vcc, v79, v19, vcc
	v_lshlrev_b64 v[20:21], 2, v[20:21]
	v_add_co_u32_e32 v20, vcc, s28, v20
	v_addc_co_u32_e32 v21, vcc, v79, v21, vcc
	global_load_dword v34, v[4:5], off
	global_load_dword v35, v[6:7], off
	global_load_dword v36, v[8:9], off
	global_load_dword v37, v[12:13], off
	global_load_dword v38, v[14:15], off
	global_load_dword v39, v[16:17], off
	global_load_dword v42, v[18:19], off
	global_load_dword v43, v[20:21], off
	v_add_u32_e32 v4, s38, v74
	v_ashrrev_i32_e32 v5, 31, v4
	v_lshlrev_b64 v[4:5], 2, v[4:5]
	v_add_u32_e32 v6, s14, v74
	v_add_co_u32_e32 v4, vcc, s28, v4
	v_ashrrev_i32_e32 v7, 31, v6
	;; [unrolled: 48-line block ×5, first 2 shown]
	v_addc_co_u32_e32 v5, vcc, v79, v5, vcc
	v_lshlrev_b64 v[6:7], 2, v[6:7]
	v_add_u32_e32 v8, s41, v74
	v_add_co_u32_e32 v6, vcc, s28, v6
	v_ashrrev_i32_e32 v9, 31, v8
	v_addc_co_u32_e32 v7, vcc, v79, v7, vcc
	v_lshlrev_b64 v[8:9], 2, v[8:9]
	v_add_u32_e32 v12, s71, v74
	v_add_co_u32_e32 v8, vcc, s28, v8
	v_ashrrev_i32_e32 v13, 31, v12
	;; [unrolled: 5-line block ×3, first 2 shown]
	v_addc_co_u32_e32 v13, vcc, v79, v13, vcc
	v_lshlrev_b64 v[14:15], 2, v[14:15]
	v_add_co_u32_e32 v16, vcc, s28, v14
	v_add_u32_e32 v14, s73, v74
	v_addc_co_u32_e32 v17, vcc, v79, v15, vcc
	v_ashrrev_i32_e32 v15, 31, v14
	v_lshlrev_b64 v[14:15], 2, v[14:15]
	v_add_co_u32_e32 v20, vcc, s28, v14
	v_addc_co_u32_e32 v21, vcc, v79, v15, vcc
	ds_read_b64 v[30:31], v77 offset:64
	ds_read_b64 v[22:23], v77 offset:96
	ds_read_b64 v[18:19], v77 offset:128
	ds_read_b64 v[14:15], v77 offset:160
	global_load_dword v83, v[4:5], off
	global_load_dword v84, v[6:7], off
	;; [unrolled: 1-line block ×6, first 2 shown]
	ds_read_b64 v[12:13], v77 offset:192
	ds_read_b64 v[8:9], v77 offset:224
	ds_read_b64 v[6:7], v77 offset:256
	ds_read_b64 v[4:5], v77 offset:288
	s_waitcnt vmcnt(47)
	ds_write_b32 v76, v10 offset:64
	s_waitcnt vmcnt(46)
	ds_write_b32 v76, v11 offset:328
	s_waitcnt vmcnt(45)
	ds_write_b32 v76, v24 offset:592
	s_waitcnt vmcnt(44)
	ds_write_b32 v76, v25 offset:856
	s_waitcnt vmcnt(43)
	ds_write_b32 v76, v26 offset:1120
	s_waitcnt vmcnt(42)
	ds_write_b32 v76, v27 offset:1384
	s_waitcnt vmcnt(41)
	ds_write_b32 v76, v28 offset:1648
	s_waitcnt vmcnt(40)
	ds_write_b32 v76, v29 offset:1912
	s_waitcnt vmcnt(39)
	ds_write_b32 v76, v32 offset:2176
	s_waitcnt vmcnt(38)
	ds_write_b32 v76, v33 offset:2440
	s_waitcnt vmcnt(37)
	ds_write_b32 v76, v34 offset:2704
	s_waitcnt vmcnt(36)
	ds_write_b32 v76, v35 offset:2968
	s_waitcnt vmcnt(35)
	ds_write_b32 v76, v36 offset:3232
	s_waitcnt vmcnt(34)
	ds_write_b32 v76, v37 offset:3496
	s_waitcnt vmcnt(33)
	ds_write_b32 v76, v38 offset:3760
	s_waitcnt vmcnt(32)
	ds_write_b32 v76, v39 offset:4024
	ds_read_b64 v[46:47], v77 offset:64
	ds_read_b64 v[40:41], v77 offset:96
	ds_read_b64 v[36:37], v77 offset:128
	ds_read_b64 v[32:33], v77 offset:160
	ds_read_b64 v[26:27], v77 offset:192
	ds_read_b64 v[20:21], v77 offset:224
	ds_read_b64 v[16:17], v77 offset:256
	ds_read_b64 v[10:11], v77 offset:288
	s_waitcnt vmcnt(31)
	ds_write_b32 v76, v42 offset:64
	s_waitcnt vmcnt(30)
	ds_write_b32 v76, v43 offset:328
	s_waitcnt vmcnt(29)
	ds_write_b32 v76, v44 offset:592
	s_waitcnt vmcnt(28)
	ds_write_b32 v76, v45 offset:856
	s_waitcnt vmcnt(27)
	ds_write_b32 v76, v48 offset:1120
	s_waitcnt vmcnt(26)
	ds_write_b32 v76, v49 offset:1384
	s_waitcnt vmcnt(25)
	ds_write_b32 v76, v50 offset:1648
	s_waitcnt vmcnt(24)
	ds_write_b32 v76, v51 offset:1912
	s_waitcnt vmcnt(23)
	ds_write_b32 v76, v52 offset:2176
	s_waitcnt vmcnt(22)
	ds_write_b32 v76, v53 offset:2440
	s_waitcnt vmcnt(21)
	ds_write_b32 v76, v54 offset:2704
	s_waitcnt vmcnt(20)
	ds_write_b32 v76, v55 offset:2968
	s_waitcnt vmcnt(19)
	ds_write_b32 v76, v56 offset:3232
	s_waitcnt vmcnt(18)
	ds_write_b32 v76, v57 offset:3496
	s_waitcnt vmcnt(17)
	ds_write_b32 v76, v58 offset:3760
	s_waitcnt vmcnt(16)
	ds_write_b32 v76, v59 offset:4024
	ds_read_b64 v[54:55], v77 offset:64
	ds_read_b64 v[50:51], v77 offset:96
	ds_read_b64 v[48:49], v77 offset:128
	ds_read_b64 v[44:45], v77 offset:160
	;; [unrolled: 40-line block ×3, first 2 shown]
	ds_read_b64 v[58:59], v77 offset:192
	ds_read_b64 v[56:57], v77 offset:224
	ds_read_b64 v[52:53], v77 offset:256
	ds_read_b64 v[42:43], v77 offset:288
	s_andn2_b64 vcc, exec, s[6:7]
	v_mov_b32_e32 v81, 0
	s_cbranch_vccnz .LBB82_68
; %bb.65:                               ;   in Loop: Header=BB82_64 Depth=1
	ds_read_b32 v81, v75
	s_waitcnt lgkmcnt(0)
	v_cmp_gt_i32_e32 vcc, 0, v81
	s_cbranch_vccnz .LBB82_67
; %bb.66:                               ;   in Loop: Header=BB82_64 Depth=1
	v_mul_lo_u32 v81, v81, s29
	v_add_u32_e32 v82, v74, v81
	v_ashrrev_i32_e32 v83, 31, v82
	v_lshlrev_b64 v[82:83], 2, v[82:83]
	v_mov_b32_e32 v81, s39
	v_add_co_u32_e32 v82, vcc, s33, v82
	v_addc_co_u32_e32 v83, vcc, v81, v83, vcc
	global_load_dword v81, v[82:83], off
	s_branch .LBB82_68
.LBB82_67:                              ;   in Loop: Header=BB82_64 Depth=1
	v_mov_b32_e32 v81, 0
.LBB82_68:                              ;   in Loop: Header=BB82_64 Depth=1
	s_waitcnt vmcnt(0)
	ds_write_b32 v76, v81 offset:64
	s_andn2_b64 vcc, exec, s[18:19]
	v_mov_b32_e32 v81, 0
	v_mov_b32_e32 v82, 0
	s_cbranch_vccnz .LBB82_71
; %bb.69:                               ;   in Loop: Header=BB82_64 Depth=1
	ds_read_b32 v82, v75 offset:4
	s_waitcnt lgkmcnt(0)
	v_cmp_gt_i32_e32 vcc, 0, v82
	s_cbranch_vccnz .LBB82_74
; %bb.70:                               ;   in Loop: Header=BB82_64 Depth=1
	v_mul_lo_u32 v82, v82, s29
	v_add_u32_e32 v82, s24, v82
	v_add_u32_e32 v82, v82, v74
	v_ashrrev_i32_e32 v83, 31, v82
	v_lshlrev_b64 v[82:83], 2, v[82:83]
	v_mov_b32_e32 v84, s39
	v_add_co_u32_e32 v82, vcc, s33, v82
	v_addc_co_u32_e32 v83, vcc, v84, v83, vcc
	global_load_dword v82, v[82:83], off
.LBB82_71:                              ;   in Loop: Header=BB82_64 Depth=1
	s_andn2_b64 vcc, exec, s[26:27]
	s_waitcnt vmcnt(0)
	ds_write_b32 v76, v82 offset:328
	s_cbranch_vccnz .LBB82_76
.LBB82_72:                              ;   in Loop: Header=BB82_64 Depth=1
	ds_read_b32 v81, v75 offset:8
	s_waitcnt lgkmcnt(0)
	v_cmp_gt_i32_e32 vcc, 0, v81
	s_cbranch_vccnz .LBB82_75
; %bb.73:                               ;   in Loop: Header=BB82_64 Depth=1
	v_mul_lo_u32 v81, v81, s29
	v_readlane_b32 vcc_lo, v89, 20
	v_add_u32_e32 v81, vcc_lo, v81
	v_add_u32_e32 v82, v81, v74
	v_ashrrev_i32_e32 v83, 31, v82
	v_lshlrev_b64 v[82:83], 2, v[82:83]
	v_mov_b32_e32 v81, s39
	v_add_co_u32_e32 v82, vcc, s33, v82
	v_addc_co_u32_e32 v83, vcc, v81, v83, vcc
	global_load_dword v81, v[82:83], off
	s_branch .LBB82_76
.LBB82_74:                              ;   in Loop: Header=BB82_64 Depth=1
	v_mov_b32_e32 v82, 0
	s_andn2_b64 vcc, exec, s[26:27]
	ds_write_b32 v76, v82 offset:328
	s_cbranch_vccz .LBB82_72
	s_branch .LBB82_76
.LBB82_75:                              ;   in Loop: Header=BB82_64 Depth=1
	v_mov_b32_e32 v81, 0
.LBB82_76:                              ;   in Loop: Header=BB82_64 Depth=1
	s_waitcnt vmcnt(0)
	ds_write_b32 v76, v81 offset:592
	s_andn2_b64 vcc, exec, s[34:35]
	v_mov_b32_e32 v81, 0
	v_mov_b32_e32 v82, 0
	s_cbranch_vccnz .LBB82_79
; %bb.77:                               ;   in Loop: Header=BB82_64 Depth=1
	ds_read_b32 v82, v75 offset:12
	s_waitcnt lgkmcnt(0)
	v_cmp_gt_i32_e32 vcc, 0, v82
	s_cbranch_vccnz .LBB82_82
; %bb.78:                               ;   in Loop: Header=BB82_64 Depth=1
	v_mul_lo_u32 v82, v82, s29
	s_mul_i32 vcc_lo, s24, 3
	v_add_u32_e32 v82, vcc_lo, v82
	v_add_u32_e32 v82, v82, v74
	v_ashrrev_i32_e32 v83, 31, v82
	v_lshlrev_b64 v[82:83], 2, v[82:83]
	v_mov_b32_e32 v84, s39
	v_add_co_u32_e32 v82, vcc, s33, v82
	v_addc_co_u32_e32 v83, vcc, v84, v83, vcc
	global_load_dword v82, v[82:83], off
.LBB82_79:                              ;   in Loop: Header=BB82_64 Depth=1
	s_andn2_b64 vcc, exec, s[36:37]
	s_waitcnt vmcnt(0)
	ds_write_b32 v76, v82 offset:856
	s_cbranch_vccnz .LBB82_84
.LBB82_80:                              ;   in Loop: Header=BB82_64 Depth=1
	ds_read_b32 v81, v75 offset:16
	s_waitcnt lgkmcnt(0)
	v_cmp_gt_i32_e32 vcc, 0, v81
	s_cbranch_vccnz .LBB82_83
; %bb.81:                               ;   in Loop: Header=BB82_64 Depth=1
	v_mul_lo_u32 v81, v81, s29
	v_readlane_b32 vcc_lo, v89, 21
	v_add_u32_e32 v81, vcc_lo, v81
	v_add_u32_e32 v82, v81, v74
	v_ashrrev_i32_e32 v83, 31, v82
	v_lshlrev_b64 v[82:83], 2, v[82:83]
	v_mov_b32_e32 v81, s39
	v_add_co_u32_e32 v82, vcc, s33, v82
	v_addc_co_u32_e32 v83, vcc, v81, v83, vcc
	global_load_dword v81, v[82:83], off
	s_branch .LBB82_84
.LBB82_82:                              ;   in Loop: Header=BB82_64 Depth=1
	v_mov_b32_e32 v82, 0
	s_andn2_b64 vcc, exec, s[36:37]
	ds_write_b32 v76, v82 offset:856
	s_cbranch_vccz .LBB82_80
	s_branch .LBB82_84
.LBB82_83:                              ;   in Loop: Header=BB82_64 Depth=1
	v_mov_b32_e32 v81, 0
.LBB82_84:                              ;   in Loop: Header=BB82_64 Depth=1
	s_waitcnt vmcnt(0)
	ds_write_b32 v76, v81 offset:1120
	s_andn2_b64 vcc, exec, s[42:43]
	v_mov_b32_e32 v81, 0
	v_mov_b32_e32 v82, 0
	s_cbranch_vccnz .LBB82_87
; %bb.85:                               ;   in Loop: Header=BB82_64 Depth=1
	ds_read_b32 v82, v75 offset:20
	s_waitcnt lgkmcnt(0)
	v_cmp_gt_i32_e32 vcc, 0, v82
	s_cbranch_vccnz .LBB82_90
; %bb.86:                               ;   in Loop: Header=BB82_64 Depth=1
	v_mul_lo_u32 v82, v82, s29
	s_mul_i32 vcc_lo, s24, 5
	v_add_u32_e32 v82, vcc_lo, v82
	v_add_u32_e32 v82, v82, v74
	v_ashrrev_i32_e32 v83, 31, v82
	v_lshlrev_b64 v[82:83], 2, v[82:83]
	v_mov_b32_e32 v84, s39
	v_add_co_u32_e32 v82, vcc, s33, v82
	v_addc_co_u32_e32 v83, vcc, v84, v83, vcc
	global_load_dword v82, v[82:83], off
.LBB82_87:                              ;   in Loop: Header=BB82_64 Depth=1
	s_andn2_b64 vcc, exec, s[44:45]
	s_waitcnt vmcnt(0)
	ds_write_b32 v76, v82 offset:1384
	s_cbranch_vccnz .LBB82_92
.LBB82_88:                              ;   in Loop: Header=BB82_64 Depth=1
	ds_read_b32 v81, v75 offset:24
	s_waitcnt lgkmcnt(0)
	v_cmp_gt_i32_e32 vcc, 0, v81
	s_cbranch_vccnz .LBB82_91
; %bb.89:                               ;   in Loop: Header=BB82_64 Depth=1
	v_mul_lo_u32 v81, v81, s29
	s_mul_i32 vcc_lo, s24, 6
	v_add_u32_e32 v81, vcc_lo, v81
	v_add_u32_e32 v82, v81, v74
	v_ashrrev_i32_e32 v83, 31, v82
	v_lshlrev_b64 v[82:83], 2, v[82:83]
	v_mov_b32_e32 v81, s39
	v_add_co_u32_e32 v82, vcc, s33, v82
	v_addc_co_u32_e32 v83, vcc, v81, v83, vcc
	global_load_dword v81, v[82:83], off
	s_branch .LBB82_92
.LBB82_90:                              ;   in Loop: Header=BB82_64 Depth=1
	v_mov_b32_e32 v82, 0
	s_andn2_b64 vcc, exec, s[44:45]
	ds_write_b32 v76, v82 offset:1384
	s_cbranch_vccz .LBB82_88
	s_branch .LBB82_92
.LBB82_91:                              ;   in Loop: Header=BB82_64 Depth=1
	v_mov_b32_e32 v81, 0
.LBB82_92:                              ;   in Loop: Header=BB82_64 Depth=1
	s_waitcnt vmcnt(0)
	ds_write_b32 v76, v81 offset:1648
	s_andn2_b64 vcc, exec, s[46:47]
	v_mov_b32_e32 v81, 0
	v_mov_b32_e32 v82, 0
	s_cbranch_vccnz .LBB82_95
; %bb.93:                               ;   in Loop: Header=BB82_64 Depth=1
	ds_read_b32 v82, v75 offset:28
	s_waitcnt lgkmcnt(0)
	v_cmp_gt_i32_e32 vcc, 0, v82
	s_cbranch_vccnz .LBB82_98
; %bb.94:                               ;   in Loop: Header=BB82_64 Depth=1
	v_mul_lo_u32 v82, v82, s29
	s_mul_i32 vcc_lo, s24, 7
	v_add_u32_e32 v82, vcc_lo, v82
	v_add_u32_e32 v82, v82, v74
	v_ashrrev_i32_e32 v83, 31, v82
	v_lshlrev_b64 v[82:83], 2, v[82:83]
	v_mov_b32_e32 v84, s39
	v_add_co_u32_e32 v82, vcc, s33, v82
	v_addc_co_u32_e32 v83, vcc, v84, v83, vcc
	global_load_dword v82, v[82:83], off
.LBB82_95:                              ;   in Loop: Header=BB82_64 Depth=1
	s_andn2_b64 vcc, exec, s[48:49]
	s_waitcnt vmcnt(0)
	ds_write_b32 v76, v82 offset:1912
	s_cbranch_vccnz .LBB82_100
.LBB82_96:                              ;   in Loop: Header=BB82_64 Depth=1
	ds_read_b32 v81, v75 offset:32
	s_waitcnt lgkmcnt(0)
	v_cmp_gt_i32_e32 vcc, 0, v81
	s_cbranch_vccnz .LBB82_99
; %bb.97:                               ;   in Loop: Header=BB82_64 Depth=1
	v_mul_lo_u32 v81, v81, s29
	v_readlane_b32 vcc_lo, v89, 22
	v_add_u32_e32 v81, vcc_lo, v81
	v_add_u32_e32 v82, v81, v74
	v_ashrrev_i32_e32 v83, 31, v82
	v_lshlrev_b64 v[82:83], 2, v[82:83]
	v_mov_b32_e32 v81, s39
	v_add_co_u32_e32 v82, vcc, s33, v82
	v_addc_co_u32_e32 v83, vcc, v81, v83, vcc
	global_load_dword v81, v[82:83], off
	s_branch .LBB82_100
.LBB82_98:                              ;   in Loop: Header=BB82_64 Depth=1
	v_mov_b32_e32 v82, 0
	s_andn2_b64 vcc, exec, s[48:49]
	ds_write_b32 v76, v82 offset:1912
	s_cbranch_vccz .LBB82_96
	s_branch .LBB82_100
.LBB82_99:                              ;   in Loop: Header=BB82_64 Depth=1
	v_mov_b32_e32 v81, 0
.LBB82_100:                             ;   in Loop: Header=BB82_64 Depth=1
	s_waitcnt vmcnt(0)
	ds_write_b32 v76, v81 offset:2176
	s_andn2_b64 vcc, exec, s[50:51]
	v_mov_b32_e32 v81, 0
	v_mov_b32_e32 v82, 0
	s_cbranch_vccnz .LBB82_103
; %bb.101:                              ;   in Loop: Header=BB82_64 Depth=1
	ds_read_b32 v82, v75 offset:36
	s_waitcnt lgkmcnt(0)
	v_cmp_gt_i32_e32 vcc, 0, v82
	s_cbranch_vccnz .LBB82_106
; %bb.102:                              ;   in Loop: Header=BB82_64 Depth=1
	v_mul_lo_u32 v82, v82, s29
	s_mul_i32 vcc_lo, s24, 9
	v_add_u32_e32 v82, vcc_lo, v82
	v_add_u32_e32 v82, v82, v74
	v_ashrrev_i32_e32 v83, 31, v82
	v_lshlrev_b64 v[82:83], 2, v[82:83]
	v_mov_b32_e32 v84, s39
	v_add_co_u32_e32 v82, vcc, s33, v82
	v_addc_co_u32_e32 v83, vcc, v84, v83, vcc
	global_load_dword v82, v[82:83], off
.LBB82_103:                             ;   in Loop: Header=BB82_64 Depth=1
	s_andn2_b64 vcc, exec, s[52:53]
	s_waitcnt vmcnt(0)
	ds_write_b32 v76, v82 offset:2440
	s_cbranch_vccnz .LBB82_108
.LBB82_104:                             ;   in Loop: Header=BB82_64 Depth=1
	ds_read_b32 v81, v75 offset:40
	s_waitcnt lgkmcnt(0)
	v_cmp_gt_i32_e32 vcc, 0, v81
	s_cbranch_vccnz .LBB82_107
; %bb.105:                              ;   in Loop: Header=BB82_64 Depth=1
	v_mul_lo_u32 v81, v81, s29
	s_mul_i32 vcc_lo, s24, 10
	v_add_u32_e32 v81, vcc_lo, v81
	v_add_u32_e32 v82, v81, v74
	v_ashrrev_i32_e32 v83, 31, v82
	v_lshlrev_b64 v[82:83], 2, v[82:83]
	v_mov_b32_e32 v81, s39
	v_add_co_u32_e32 v82, vcc, s33, v82
	v_addc_co_u32_e32 v83, vcc, v81, v83, vcc
	global_load_dword v81, v[82:83], off
	s_branch .LBB82_108
.LBB82_106:                             ;   in Loop: Header=BB82_64 Depth=1
	v_mov_b32_e32 v82, 0
	s_andn2_b64 vcc, exec, s[52:53]
	ds_write_b32 v76, v82 offset:2440
	s_cbranch_vccz .LBB82_104
	s_branch .LBB82_108
.LBB82_107:                             ;   in Loop: Header=BB82_64 Depth=1
	v_mov_b32_e32 v81, 0
.LBB82_108:                             ;   in Loop: Header=BB82_64 Depth=1
	s_waitcnt vmcnt(0)
	ds_write_b32 v76, v81 offset:2704
	s_andn2_b64 vcc, exec, s[54:55]
	v_mov_b32_e32 v81, 0
	v_mov_b32_e32 v82, 0
	s_cbranch_vccnz .LBB82_111
; %bb.109:                              ;   in Loop: Header=BB82_64 Depth=1
	ds_read_b32 v82, v75 offset:44
	s_waitcnt lgkmcnt(0)
	v_cmp_gt_i32_e32 vcc, 0, v82
	s_cbranch_vccnz .LBB82_114
; %bb.110:                              ;   in Loop: Header=BB82_64 Depth=1
	v_mul_lo_u32 v82, v82, s29
	s_mul_i32 vcc_lo, s24, 11
	v_add_u32_e32 v82, vcc_lo, v82
	v_add_u32_e32 v82, v82, v74
	v_ashrrev_i32_e32 v83, 31, v82
	v_lshlrev_b64 v[82:83], 2, v[82:83]
	v_mov_b32_e32 v84, s39
	v_add_co_u32_e32 v82, vcc, s33, v82
	v_addc_co_u32_e32 v83, vcc, v84, v83, vcc
	global_load_dword v82, v[82:83], off
.LBB82_111:                             ;   in Loop: Header=BB82_64 Depth=1
	s_andn2_b64 vcc, exec, s[56:57]
	s_waitcnt vmcnt(0)
	ds_write_b32 v76, v82 offset:2968
	s_cbranch_vccnz .LBB82_63
.LBB82_112:                             ;   in Loop: Header=BB82_64 Depth=1
	ds_read_b32 v81, v75 offset:48
	s_waitcnt lgkmcnt(0)
	v_cmp_gt_i32_e32 vcc, 0, v81
	s_cbranch_vccz .LBB82_62
; %bb.113:                              ;   in Loop: Header=BB82_64 Depth=1
	v_mov_b32_e32 v81, 0
	s_branch .LBB82_63
.LBB82_114:                             ;   in Loop: Header=BB82_64 Depth=1
	v_mov_b32_e32 v82, 0
	s_andn2_b64 vcc, exec, s[56:57]
	ds_write_b32 v76, v82 offset:2968
	s_cbranch_vccnz .LBB82_63
	s_branch .LBB82_112
.LBB82_115:
	s_or_b64 exec, exec, s[22:23]
	v_readlane_b32 s46, v89, 12
	v_readlane_b32 s36, v89, 16
	;; [unrolled: 1-line block ×9, first 2 shown]
.LBB82_116:
	v_readlane_b32 s0, v89, 10
	v_readlane_b32 s1, v89, 11
	s_or_b64 exec, exec, s[0:1]
	v_mul_u32_u24_e32 v0, 0x308, v73
	s_movk_i32 s1, 0x100
	v_lshlrev_b32_e32 v1, 2, v72
	v_add3_u32 v0, s1, v0, v1
	v_and_b32_e32 v4, 0x3f0, v2
	v_add_u32_e32 v5, v0, v4
	s_barrier
	ds_write2_b32 v5, a12, a13 offset0:16 offset1:17
	v_or_b32_e32 v5, 12, v2
	v_add_u32_e32 v1, 64, v0
	v_and_b32_e32 v5, 0x3fc, v5
	v_add_u32_e32 v4, v1, v4
	v_add_u32_e32 v0, v0, v5
	ds_write_b32 v4, a14 offset:8
	ds_write_b32 v0, a15 offset:64
	ds_write2_b32 v4, a8, a9 offset0:16 offset1:17
	ds_write_b32 v4, a10 offset:72
	v_add_u32_e32 v0, v1, v5
	v_mov_b32_e32 v5, 0x100
	s_movk_i32 s0, 0x308
	ds_write_b32 v0, a11 offset:64
	ds_write2_b32 v4, a4, a5 offset0:32 offset1:33
	ds_write_b32 v4, a6 offset:136
	ds_write_b32 v0, a7 offset:128
	ds_write2_b32 v4, a0, a1 offset0:48 offset1:49
	ds_write_b32 v4, a2 offset:200
	ds_write_b32 v0, a3 offset:192
	v_lshl_add_u32 v4, v2, 2, v5
	v_mad_u32_u24 v6, v3, s0, v4
	s_waitcnt lgkmcnt(0)
	s_barrier
	ds_read2_b32 v[0:1], v6 offset0:16 offset1:80
	ds_read_b32 v6, v6 offset:576
	v_cmp_gt_u32_e32 vcc, 13, v3
	v_mov_b32_e32 v7, -1
	s_and_saveexec_b64 s[4:5], vcc
	s_cbranch_execz .LBB82_118
; %bb.117:
	v_lshl_add_u32 v5, v3, 2, v5
	ds_read_b32 v7, v5
.LBB82_118:
	s_or_b64 exec, exec, s[4:5]
	s_mul_hi_i32 s1, s38, s8
	s_mul_i32 s0, s38, s8
	s_lshl_b64 s[0:1], s[0:1], 2
	v_readlane_b32 s4, v89, 8
	s_mul_hi_i32 s3, s56, s25
	s_mul_i32 s2, s56, s25
	v_readlane_b32 s5, v89, 9
	s_add_u32 s4, s4, s0
	s_addc_u32 s5, s5, s1
	s_lshl_b64 s[0:1], s[2:3], 2
	s_add_u32 s2, s4, s0
	s_waitcnt lgkmcnt(0)
	v_cmp_lt_i32_e32 vcc, -1, v7
	v_mul_u32_u24_e32 v5, 0x308, v3
	v_add_u32_e32 v2, s6, v2
	s_addc_u32 s3, s5, s1
	s_and_b64 s[4:5], vcc, s[46:47]
	s_and_saveexec_b64 s[0:1], s[4:5]
	s_cbranch_execz .LBB82_120
; %bb.119:
	v_add_f32_e32 v0, 0, v0
	v_add_f32_e32 v0, v0, v1
	;; [unrolled: 1-line block ×3, first 2 shown]
	v_mul_lo_u32 v0, v7, s30
	v_mul_lo_u32 v1, v3, s25
	v_add3_u32 v0, v2, v1, v0
	v_mov_b32_e32 v1, 0
	v_lshlrev_b64 v[0:1], 2, v[0:1]
	v_mov_b32_e32 v7, s3
	v_add_co_u32_e32 v0, vcc, s2, v0
	v_addc_co_u32_e32 v1, vcc, v7, v1, vcc
	global_store_dword v[0:1], v6, off
.LBB82_120:
	s_or_b64 exec, exec, s[0:1]
	v_add_u32_e32 v4, v5, v4
	v_add_u32_e32 v0, 0x58, v4
	ds_read2st64_b32 v[0:1], v0 offset0:9 offset1:10
	ds_read_b32 v5, v4 offset:2904
	v_cmp_gt_u32_e32 vcc, 10, v3
	v_mov_b32_e32 v6, -1
	s_and_saveexec_b64 s[0:1], vcc
	s_cbranch_execz .LBB82_122
; %bb.121:
	v_mov_b32_e32 v6, 0x100
	v_lshl_add_u32 v6, v3, 2, v6
	ds_read_b32 v6, v6 offset:12
.LBB82_122:
	s_or_b64 exec, exec, s[0:1]
	v_readlane_b32 s0, v89, 0
	s_waitcnt lgkmcnt(0)
	v_cmp_lt_i32_e32 vcc, -1, v6
	v_readlane_b32 s1, v89, 1
	s_and_b64 s[4:5], vcc, s[0:1]
	s_and_saveexec_b64 s[0:1], s[4:5]
	s_cbranch_execz .LBB82_124
; %bb.123:
	v_add_f32_e32 v0, 0, v0
	v_add_f32_e32 v0, v0, v1
	v_add_f32_e32 v5, v0, v5
	v_mul_lo_u32 v0, v6, s30
	v_mul_lo_u32 v1, v68, s25
	v_add3_u32 v0, v2, v1, v0
	v_mov_b32_e32 v1, 0
	v_lshlrev_b64 v[0:1], 2, v[0:1]
	v_mov_b32_e32 v6, s3
	v_add_co_u32_e32 v0, vcc, s2, v0
	v_addc_co_u32_e32 v1, vcc, v6, v1, vcc
	global_store_dword v[0:1], v5, off
.LBB82_124:
	s_or_b64 exec, exec, s[0:1]
	v_add_u32_e32 v0, 0x70, v4
	ds_read2st64_b32 v[0:1], v0 offset0:18 offset1:19
	ds_read_b32 v5, v4 offset:5232
	v_cmp_gt_u32_e32 vcc, 7, v3
	v_mov_b32_e32 v6, -1
	s_and_saveexec_b64 s[0:1], vcc
	s_cbranch_execz .LBB82_126
; %bb.125:
	v_mov_b32_e32 v6, 0x100
	v_lshl_add_u32 v6, v3, 2, v6
	ds_read_b32 v6, v6 offset:24
.LBB82_126:
	s_or_b64 exec, exec, s[0:1]
	v_readlane_b32 s0, v89, 2
	s_waitcnt lgkmcnt(0)
	v_cmp_lt_i32_e32 vcc, -1, v6
	v_readlane_b32 s1, v89, 3
	s_and_b64 s[4:5], vcc, s[0:1]
	s_and_saveexec_b64 s[0:1], s[4:5]
	s_cbranch_execz .LBB82_128
; %bb.127:
	v_add_f32_e32 v0, 0, v0
	v_add_f32_e32 v0, v0, v1
	v_add_f32_e32 v5, v0, v5
	v_mul_lo_u32 v0, v6, s30
	v_mul_lo_u32 v1, v69, s25
	v_add3_u32 v0, v2, v1, v0
	v_mov_b32_e32 v1, 0
	v_lshlrev_b64 v[0:1], 2, v[0:1]
	v_mov_b32_e32 v6, s3
	v_add_co_u32_e32 v0, vcc, s2, v0
	v_addc_co_u32_e32 v1, vcc, v6, v1, vcc
	global_store_dword v[0:1], v5, off
.LBB82_128:
	s_or_b64 exec, exec, s[0:1]
	;; [unrolled: 35-line block ×3, first 2 shown]
	v_cmp_eq_u32_e32 vcc, 0, v3
	s_and_saveexec_b64 s[0:1], vcc
	s_cbranch_execz .LBB82_135
; %bb.133:
	v_mov_b32_e32 v0, 0x100
	ds_read_b32 v0, v0 offset:48
	v_readlane_b32 s4, v89, 6
	v_readlane_b32 s5, v89, 7
	s_waitcnt lgkmcnt(0)
	v_readfirstlane_b32 s0, v0
	s_cmp_gt_i32 s0, -1
	s_cselect_b64 s[0:1], -1, 0
	s_and_b64 s[0:1], s[0:1], s[4:5]
	s_and_b64 exec, exec, s[0:1]
	s_cbranch_execz .LBB82_135
; %bb.134:
	v_add_u32_e32 v1, 0xa0, v4
	ds_read2st64_b32 v[6:7], v1 offset0:36 offset1:37
	ds_read_b32 v1, v4 offset:9888
	v_mul_lo_u32 v0, v0, s30
	v_mul_lo_u32 v3, v71, s25
	v_add3_u32 v0, v2, v3, v0
	s_waitcnt lgkmcnt(1)
	v_add_f32_e32 v2, 0, v6
	v_add_f32_e32 v2, v2, v7
	s_waitcnt lgkmcnt(0)
	v_add_f32_e32 v2, v2, v1
	v_mov_b32_e32 v1, 0
	v_lshlrev_b64 v[0:1], 2, v[0:1]
	v_mov_b32_e32 v3, s3
	v_add_co_u32_e32 v0, vcc, s2, v0
	v_addc_co_u32_e32 v1, vcc, v3, v1, vcc
	global_store_dword v[0:1], v2, off
.LBB82_135:
	s_endpgm
	.section	.rodata,"a",@progbits
	.p2align	6, 0x0
	.amdhsa_kernel _ZL9mul_mat_fIfLi64ELi13ELi3ELb1EEvPKT_PKfPKiPfiiiiiiiiiiiiiiii
		.amdhsa_group_segment_fixed_size 256
		.amdhsa_private_segment_fixed_size 0
		.amdhsa_kernarg_size 352
		.amdhsa_user_sgpr_count 6
		.amdhsa_user_sgpr_private_segment_buffer 1
		.amdhsa_user_sgpr_dispatch_ptr 0
		.amdhsa_user_sgpr_queue_ptr 0
		.amdhsa_user_sgpr_kernarg_segment_ptr 1
		.amdhsa_user_sgpr_dispatch_id 0
		.amdhsa_user_sgpr_flat_scratch_init 0
		.amdhsa_user_sgpr_kernarg_preload_length 0
		.amdhsa_user_sgpr_kernarg_preload_offset 0
		.amdhsa_user_sgpr_private_segment_size 0
		.amdhsa_uses_dynamic_stack 0
		.amdhsa_system_sgpr_private_segment_wavefront_offset 0
		.amdhsa_system_sgpr_workgroup_id_x 1
		.amdhsa_system_sgpr_workgroup_id_y 1
		.amdhsa_system_sgpr_workgroup_id_z 1
		.amdhsa_system_sgpr_workgroup_info 0
		.amdhsa_system_vgpr_workitem_id 2
		.amdhsa_next_free_vgpr 108
		.amdhsa_next_free_sgpr 96
		.amdhsa_accum_offset 92
		.amdhsa_reserve_vcc 1
		.amdhsa_reserve_flat_scratch 0
		.amdhsa_float_round_mode_32 0
		.amdhsa_float_round_mode_16_64 0
		.amdhsa_float_denorm_mode_32 3
		.amdhsa_float_denorm_mode_16_64 3
		.amdhsa_dx10_clamp 1
		.amdhsa_ieee_mode 1
		.amdhsa_fp16_overflow 0
		.amdhsa_tg_split 0
		.amdhsa_exception_fp_ieee_invalid_op 0
		.amdhsa_exception_fp_denorm_src 0
		.amdhsa_exception_fp_ieee_div_zero 0
		.amdhsa_exception_fp_ieee_overflow 0
		.amdhsa_exception_fp_ieee_underflow 0
		.amdhsa_exception_fp_ieee_inexact 0
		.amdhsa_exception_int_div_zero 0
	.end_amdhsa_kernel
	.section	.text._ZL9mul_mat_fIfLi64ELi13ELi3ELb1EEvPKT_PKfPKiPfiiiiiiiiiiiiiiii,"axG",@progbits,_ZL9mul_mat_fIfLi64ELi13ELi3ELb1EEvPKT_PKfPKiPfiiiiiiiiiiiiiiii,comdat
.Lfunc_end82:
	.size	_ZL9mul_mat_fIfLi64ELi13ELi3ELb1EEvPKT_PKfPKiPfiiiiiiiiiiiiiiii, .Lfunc_end82-_ZL9mul_mat_fIfLi64ELi13ELi3ELb1EEvPKT_PKfPKiPfiiiiiiiiiiiiiiii
                                        ; -- End function
	.section	.AMDGPU.csdata,"",@progbits
; Kernel info:
; codeLenInByte = 9792
; NumSgprs: 100
; NumVgprs: 90
; NumAgprs: 16
; TotalNumVgprs: 108
; ScratchSize: 0
; MemoryBound: 0
; FloatMode: 240
; IeeeMode: 1
; LDSByteSize: 256 bytes/workgroup (compile time only)
; SGPRBlocks: 12
; VGPRBlocks: 13
; NumSGPRsForWavesPerEU: 100
; NumVGPRsForWavesPerEU: 108
; AccumOffset: 92
; Occupancy: 4
; WaveLimiterHint : 0
; COMPUTE_PGM_RSRC2:SCRATCH_EN: 0
; COMPUTE_PGM_RSRC2:USER_SGPR: 6
; COMPUTE_PGM_RSRC2:TRAP_HANDLER: 0
; COMPUTE_PGM_RSRC2:TGID_X_EN: 1
; COMPUTE_PGM_RSRC2:TGID_Y_EN: 1
; COMPUTE_PGM_RSRC2:TGID_Z_EN: 1
; COMPUTE_PGM_RSRC2:TIDIG_COMP_CNT: 2
; COMPUTE_PGM_RSRC3_GFX90A:ACCUM_OFFSET: 22
; COMPUTE_PGM_RSRC3_GFX90A:TG_SPLIT: 0
	.section	.text._ZL9mul_mat_fIfLi64ELi13ELi3ELb0EEvPKT_PKfPKiPfiiiiiiiiiiiiiiii,"axG",@progbits,_ZL9mul_mat_fIfLi64ELi13ELi3ELb0EEvPKT_PKfPKiPfiiiiiiiiiiiiiiii,comdat
	.globl	_ZL9mul_mat_fIfLi64ELi13ELi3ELb0EEvPKT_PKfPKiPfiiiiiiiiiiiiiiii ; -- Begin function _ZL9mul_mat_fIfLi64ELi13ELi3ELb0EEvPKT_PKfPKiPfiiiiiiiiiiiiiiii
	.p2align	8
	.type	_ZL9mul_mat_fIfLi64ELi13ELi3ELb0EEvPKT_PKfPKiPfiiiiiiiiiiiiiiii,@function
_ZL9mul_mat_fIfLi64ELi13ELi3ELb0EEvPKT_PKfPKiPfiiiiiiiiiiiiiiii: ; @_ZL9mul_mat_fIfLi64ELi13ELi3ELb0EEvPKT_PKfPKiPfiiiiiiiiiiiiiiii
; %bb.0:
	s_load_dwordx8 s[12:19], s[4:5], 0x40
	s_load_dword s9, s[4:5], 0x20
	s_load_dwordx4 s[0:3], s[4:5], 0x2c
	v_bfe_u32 v25, v0, 10, 10
	v_lshlrev_b32_e32 v95, 6, v25
	v_and_b32_e32 v94, 0x3ff, v0
	s_waitcnt lgkmcnt(0)
	s_abs_i32 s27, s12
	s_abs_i32 s26, s16
	v_cvt_f32_u32_e32 v1, s27
	v_cvt_f32_u32_e32 v2, s26
	v_add_u32_e32 v97, v95, v94
	s_mov_b32 s22, 0
	v_rcp_iflag_f32_e32 v1, v1
	v_rcp_iflag_f32_e32 v2, v2
	s_ashr_i32 s28, s8, 31
	v_cmp_le_i32_e32 vcc, s9, v97
	v_mul_f32_e32 v1, 0x4f7ffffe, v1
	v_mul_f32_e32 v2, 0x4f7ffffe, v2
	v_cvt_u32_f32_e32 v1, v1
	v_cvt_u32_f32_e32 v2, v2
	v_and_b32_e32 v96, 15, v94
	v_readfirstlane_b32 s21, v1
	v_readfirstlane_b32 s20, v2
	s_and_saveexec_b64 s[10:11], vcc
	s_xor_b64 s[10:11], exec, s[10:11]
; %bb.1:
	v_and_b32_e32 v96, 15, v94
                                        ; implicit-def: $vgpr97
; %bb.2:
	s_or_saveexec_b64 s[24:25], s[10:11]
	s_load_dwordx2 s[10:11], s[4:5], 0x18
	s_lshl_b32 s3, s6, 6
	v_accvgpr_write_b32 a0, s22
	v_accvgpr_write_b32 a1, s22
	;; [unrolled: 1-line block ×16, first 2 shown]
	s_xor_b64 exec, exec, s[24:25]
	s_cbranch_execz .LBB83_6
; %bb.3:
	s_sub_i32 s6, 0, s27
	s_sub_i32 s22, 0, s26
	s_mul_i32 s6, s6, s21
	s_mul_i32 s22, s22, s20
	s_mul_hi_u32 s6, s21, s6
	s_mul_hi_u32 s22, s20, s22
	s_abs_i32 s29, s7
	s_add_i32 s6, s21, s6
	s_add_i32 s31, s20, s22
	s_load_dwordx4 s[20:23], s[4:5], 0x0
	s_mul_hi_u32 s4, s29, s6
	s_ashr_i32 s6, s7, 31
	s_ashr_i32 s12, s12, 31
	s_xor_b32 s6, s6, s12
	s_mul_i32 s12, s4, s27
	s_abs_i32 s30, s8
	s_sub_i32 s12, s29, s12
	s_mul_hi_u32 s5, s30, s31
	s_ashr_i32 s16, s16, 31
	s_add_i32 s29, s4, 1
	s_sub_i32 s31, s12, s27
	s_cmp_ge_u32 s12, s27
	s_cselect_b32 s4, s29, s4
	s_cselect_b32 s12, s31, s12
	s_add_i32 s29, s4, 1
	s_cmp_ge_u32 s12, s27
	s_cselect_b32 s4, s29, s4
	s_mul_i32 s12, s5, s26
	s_xor_b32 s4, s4, s6
	s_sub_i32 s12, s30, s12
	s_sub_i32 s6, s4, s6
	s_xor_b32 s4, s28, s16
	s_add_i32 s16, s5, 1
	s_sub_i32 s27, s12, s26
	s_cmp_ge_u32 s12, s26
	s_cselect_b32 s5, s16, s5
	s_cselect_b32 s12, s27, s12
	s_add_i32 s16, s5, 1
	s_cmp_ge_u32 s12, s26
	s_cselect_b32 s5, s16, s5
	s_xor_b32 s5, s5, s4
	s_sub_i32 s4, s5, s4
	s_mul_i32 s12, s6, s13
	s_mul_i32 s16, s3, s0
	s_mul_hi_i32 s5, s4, s17
	s_mul_i32 s4, s4, s17
	s_ashr_i32 s13, s12, 31
	s_ashr_i32 s17, s16, 31
	s_lshl_b64 s[30:31], s[4:5], 2
	s_lshl_b64 s[4:5], s[16:17], 2
	;; [unrolled: 1-line block ×3, first 2 shown]
	s_waitcnt lgkmcnt(0)
	s_add_u32 s6, s20, s12
	s_addc_u32 s12, s21, s13
	s_add_u32 s6, s6, s4
	s_mul_i32 s28, s7, s14
	s_addc_u32 s14, s12, s5
	s_add_u32 s4, s6, s30
	s_mul_hi_i32 s27, s18, s8
	s_mul_i32 s26, s18, s8
	s_addc_u32 s73, s14, s31
	s_ashr_i32 s29, s28, 31
	s_lshl_b64 s[12:13], s[26:27], 2
	s_lshl_b64 s[16:17], s[28:29], 2
	s_add_u32 s18, s22, s16
	s_addc_u32 s22, s23, s17
	s_add_u32 s5, s18, s12
	s_movk_i32 s16, 0x1080
	v_lshrrev_b32_e32 v2, 1, v94
	s_addc_u32 s74, s22, s13
	v_mad_u32_u24 v0, v25, s16, 0
	v_lshlrev_b32_e32 v16, 2, v94
	v_mul_u32_u24_e32 v1, 0x108, v96
	v_and_b32_e32 v2, 0x1f8, v2
	s_ashr_i32 s17, s0, 31
	s_mov_b32 s16, s0
	v_add_u32_e32 v98, v0, v16
	v_add3_u32 v99, v0, v1, v2
	s_ashr_i32 s21, s1, 31
	v_lshlrev_b32_e32 v0, 8, v25
	s_lshl_b64 s[16:17], s[16:17], 2
	v_mov_b32_e32 v1, s31
	v_add_co_u32_e32 v2, vcc, s30, v0
	s_add_u32 s16, s6, s16
	v_addc_co_u32_e32 v1, vcc, 0, v1, vcc
	s_addc_u32 s17, s14, s17
	v_mov_b32_e32 v3, s17
	v_add_co_u32_e32 v18, vcc, s16, v2
	v_addc_co_u32_e32 v17, vcc, v3, v1, vcc
	v_mov_b32_e32 v3, s14
	v_add_co_u32_e32 v20, vcc, s6, v2
	s_mov_b32 s20, s1
	v_addc_co_u32_e32 v19, vcc, v3, v1, vcc
	v_mov_b32_e32 v1, s13
	v_add_co_u32_e32 v0, vcc, s12, v0
	s_lshl_b64 s[12:13], s[20:21], 2
	s_add_u32 s6, s18, s12
	v_addc_co_u32_e32 v1, vcc, 0, v1, vcc
	s_addc_u32 s12, s22, s13
	v_mov_b32_e32 v2, s12
	v_add_co_u32_e32 v22, vcc, s6, v0
	v_addc_co_u32_e32 v21, vcc, v2, v1, vcc
	v_mov_b32_e32 v2, s22
	v_add_co_u32_e32 v24, vcc, s18, v0
	v_addc_co_u32_e32 v23, vcc, v2, v1, vcc
	s_lshl_b32 s6, s1, 1
	s_mul_i32 s12, s1, 3
	s_lshl_b32 s13, s1, 2
	s_mul_i32 s14, s1, 5
	s_mul_i32 s16, s1, 6
	;; [unrolled: 1-line block ×3, first 2 shown]
	s_lshl_b32 s18, s1, 3
	s_mul_i32 s20, s1, 9
	s_mul_i32 s21, s1, 10
	;; [unrolled: 1-line block ×4, first 2 shown]
	s_lshl_b32 s26, s0, 1
	s_mul_i32 s27, s0, 3
	s_lshl_b32 s28, s0, 2
	s_mul_i32 s29, s0, 5
	s_mul_i32 s30, s0, 6
	;; [unrolled: 1-line block ×3, first 2 shown]
	s_lshl_b32 s33, s0, 3
	s_mul_i32 s34, s0, 9
	s_mul_i32 s35, s0, 10
	;; [unrolled: 1-line block ×7, first 2 shown]
	s_lshl_b32 s41, s0, 4
	s_mul_i32 s42, s0, 17
	s_mul_i32 s43, s0, 18
	;; [unrolled: 1-line block ×15, first 2 shown]
	s_lshl_b32 s57, s0, 5
	s_mul_i32 s58, s0, 33
	s_mul_i32 s59, s0, 34
	;; [unrolled: 1-line block ×15, first 2 shown]
	v_mov_b32_e32 v100, s73
	s_mul_i32 s73, s0, 48
	v_mov_b32_e32 v101, s74
	s_mul_i32 s74, s0, 49
	v_mov_b32_e32 v102, 0
	v_accvgpr_write_b32 a15, 0
	v_accvgpr_write_b32 a14, 0
	;; [unrolled: 1-line block ×16, first 2 shown]
	s_mul_i32 s75, s0, 50
	s_mul_i32 s76, s0, 51
	;; [unrolled: 1-line block ×14, first 2 shown]
	s_movk_i32 s89, 0x300
	s_mov_b64 s[0:1], 0
.LBB83_4:                               ; =>This Inner Loop Header: Depth=1
	v_add_co_u32_e32 v26, vcc, v20, v16
	v_addc_co_u32_e32 v27, vcc, 0, v19, vcc
	global_load_dword v26, v[26:27], off
	v_add_u32_e32 v42, s41, v97
	v_ashrrev_i32_e32 v43, 31, v42
	v_lshlrev_b64 v[42:43], 2, v[42:43]
	v_add_u32_e32 v54, s57, v97
	v_ashrrev_i32_e32 v55, 31, v54
	v_lshlrev_b64 v[54:55], 2, v[54:55]
	;; [unrolled: 3-line block ×3, first 2 shown]
	v_accvgpr_read_b32 v8, a4
	v_accvgpr_read_b32 v7, a11
	;; [unrolled: 1-line block ×8, first 2 shown]
	v_accvgpr_write_b32 a8, v8
	v_accvgpr_write_b32 a9, v9
	;; [unrolled: 1-line block ×4, first 2 shown]
	v_accvgpr_read_b32 v0, a12
	v_accvgpr_read_b32 v12, a0
	;; [unrolled: 1-line block ×8, first 2 shown]
	v_accvgpr_write_b32 a0, v0
	v_accvgpr_write_b32 a4, v4
	;; [unrolled: 1-line block ×12, first 2 shown]
	s_waitcnt vmcnt(0)
	ds_write_b32 v98, v26
	v_add_co_u32_e32 v26, vcc, v18, v16
	v_addc_co_u32_e32 v27, vcc, 0, v17, vcc
	global_load_dword v26, v[26:27], off
	s_waitcnt vmcnt(0)
	ds_write_b32 v98, v26 offset:264
	v_add_u32_e32 v26, s26, v97
	v_ashrrev_i32_e32 v27, 31, v26
	v_lshlrev_b64 v[26:27], 2, v[26:27]
	v_add_co_u32_e32 v26, vcc, s4, v26
	v_addc_co_u32_e32 v27, vcc, v100, v27, vcc
	global_load_dword v26, v[26:27], off
	s_waitcnt vmcnt(0)
	ds_write_b32 v98, v26 offset:528
	v_add_u32_e32 v26, s27, v97
	v_ashrrev_i32_e32 v27, 31, v26
	v_lshlrev_b64 v[26:27], 2, v[26:27]
	;; [unrolled: 8-line block ×14, first 2 shown]
	v_add_co_u32_e32 v26, vcc, s4, v26
	v_addc_co_u32_e32 v27, vcc, v100, v27, vcc
	global_load_dword v26, v[26:27], off
	v_add_co_u32_e32 v42, vcc, s4, v42
	v_addc_co_u32_e32 v43, vcc, v100, v43, vcc
	s_waitcnt vmcnt(0)
	ds_write_b32 v98, v26 offset:3960
	ds_read_b64 v[40:41], v99
	ds_read_b64 v[38:39], v99 offset:32
	ds_read_b64 v[36:37], v99 offset:64
	ds_read_b64 v[34:35], v99 offset:96
	ds_read_b64 v[32:33], v99 offset:128
	ds_read_b64 v[30:31], v99 offset:160
	ds_read_b64 v[28:29], v99 offset:192
	ds_read_b64 v[26:27], v99 offset:224
	global_load_dword v42, v[42:43], off
	s_waitcnt vmcnt(0)
	ds_write_b32 v98, v42
	v_add_u32_e32 v42, s42, v97
	v_ashrrev_i32_e32 v43, 31, v42
	v_lshlrev_b64 v[42:43], 2, v[42:43]
	v_add_co_u32_e32 v42, vcc, s4, v42
	v_addc_co_u32_e32 v43, vcc, v100, v43, vcc
	global_load_dword v42, v[42:43], off
	s_waitcnt vmcnt(0)
	ds_write_b32 v98, v42 offset:264
	v_add_u32_e32 v42, s43, v97
	v_ashrrev_i32_e32 v43, 31, v42
	v_lshlrev_b64 v[42:43], 2, v[42:43]
	v_add_co_u32_e32 v42, vcc, s4, v42
	v_addc_co_u32_e32 v43, vcc, v100, v43, vcc
	global_load_dword v42, v[42:43], off
	s_waitcnt vmcnt(0)
	ds_write_b32 v98, v42 offset:528
	;; [unrolled: 8-line block ×14, first 2 shown]
	v_add_u32_e32 v42, s56, v97
	v_ashrrev_i32_e32 v43, 31, v42
	v_lshlrev_b64 v[42:43], 2, v[42:43]
	v_add_co_u32_e32 v42, vcc, s4, v42
	v_addc_co_u32_e32 v43, vcc, v100, v43, vcc
	global_load_dword v42, v[42:43], off
	v_add_co_u32_e32 v54, vcc, s4, v54
	v_addc_co_u32_e32 v55, vcc, v100, v55, vcc
	s_waitcnt vmcnt(0)
	ds_write_b32 v98, v42 offset:3960
	ds_read_b64 v[62:63], v99
	ds_read_b64 v[60:61], v99 offset:32
	ds_read_b64 v[52:53], v99 offset:64
	;; [unrolled: 1-line block ×7, first 2 shown]
	global_load_dword v54, v[54:55], off
	s_waitcnt vmcnt(0)
	ds_write_b32 v98, v54
	v_add_u32_e32 v54, s58, v97
	v_ashrrev_i32_e32 v55, 31, v54
	v_lshlrev_b64 v[54:55], 2, v[54:55]
	v_add_co_u32_e32 v54, vcc, s4, v54
	v_addc_co_u32_e32 v55, vcc, v100, v55, vcc
	global_load_dword v54, v[54:55], off
	s_waitcnt vmcnt(0)
	ds_write_b32 v98, v54 offset:264
	v_add_u32_e32 v54, s59, v97
	v_ashrrev_i32_e32 v55, 31, v54
	v_lshlrev_b64 v[54:55], 2, v[54:55]
	v_add_co_u32_e32 v54, vcc, s4, v54
	v_addc_co_u32_e32 v55, vcc, v100, v55, vcc
	global_load_dword v54, v[54:55], off
	s_waitcnt vmcnt(0)
	ds_write_b32 v98, v54 offset:528
	;; [unrolled: 8-line block ×14, first 2 shown]
	v_add_u32_e32 v54, s72, v97
	v_ashrrev_i32_e32 v55, 31, v54
	v_lshlrev_b64 v[54:55], 2, v[54:55]
	v_add_co_u32_e32 v54, vcc, s4, v54
	v_addc_co_u32_e32 v55, vcc, v100, v55, vcc
	global_load_dword v54, v[54:55], off
	v_add_co_u32_e32 v74, vcc, s4, v74
	v_addc_co_u32_e32 v75, vcc, v100, v75, vcc
	s_waitcnt vmcnt(0)
	ds_write_b32 v98, v54 offset:3960
	ds_read_b64 v[72:73], v99
	ds_read_b64 v[70:71], v99 offset:32
	ds_read_b64 v[68:69], v99 offset:64
	;; [unrolled: 1-line block ×7, first 2 shown]
	global_load_dword v74, v[74:75], off
	s_waitcnt vmcnt(0)
	ds_write_b32 v98, v74
	v_add_u32_e32 v74, s74, v97
	v_ashrrev_i32_e32 v75, 31, v74
	v_lshlrev_b64 v[74:75], 2, v[74:75]
	v_add_co_u32_e32 v74, vcc, s4, v74
	v_addc_co_u32_e32 v75, vcc, v100, v75, vcc
	global_load_dword v74, v[74:75], off
	s_waitcnt vmcnt(0)
	ds_write_b32 v98, v74 offset:264
	v_add_u32_e32 v74, s75, v97
	v_ashrrev_i32_e32 v75, 31, v74
	v_lshlrev_b64 v[74:75], 2, v[74:75]
	v_add_co_u32_e32 v74, vcc, s4, v74
	v_addc_co_u32_e32 v75, vcc, v100, v75, vcc
	global_load_dword v74, v[74:75], off
	s_waitcnt vmcnt(0)
	ds_write_b32 v98, v74 offset:528
	;; [unrolled: 8-line block ×14, first 2 shown]
	v_add_u32_e32 v74, s88, v97
	v_ashrrev_i32_e32 v75, 31, v74
	v_lshlrev_b64 v[74:75], 2, v[74:75]
	v_add_co_u32_e32 v74, vcc, s4, v74
	v_addc_co_u32_e32 v75, vcc, v100, v75, vcc
	global_load_dword v74, v[74:75], off
	v_add_co_u32_e32 v90, vcc, v24, v16
	v_addc_co_u32_e32 v91, vcc, 0, v23, vcc
	s_waitcnt vmcnt(0)
	ds_write_b32 v98, v74 offset:3960
	ds_read_b64 v[88:89], v99
	ds_read_b64 v[86:87], v99 offset:32
	ds_read_b64 v[84:85], v99 offset:64
	;; [unrolled: 1-line block ×7, first 2 shown]
	global_load_dword v90, v[90:91], off
	s_waitcnt vmcnt(0)
	ds_write_b32 v98, v90
	v_add_co_u32_e32 v90, vcc, v22, v16
	v_addc_co_u32_e32 v91, vcc, 0, v21, vcc
	global_load_dword v90, v[90:91], off
	s_waitcnt vmcnt(0)
	ds_write_b32 v98, v90 offset:264
	v_add_u32_e32 v90, s6, v97
	v_ashrrev_i32_e32 v91, 31, v90
	v_lshlrev_b64 v[90:91], 2, v[90:91]
	v_add_co_u32_e32 v90, vcc, s5, v90
	v_addc_co_u32_e32 v91, vcc, v101, v91, vcc
	global_load_dword v90, v[90:91], off
	s_waitcnt vmcnt(0)
	ds_write_b32 v98, v90 offset:528
	v_add_u32_e32 v90, s12, v97
	v_ashrrev_i32_e32 v91, 31, v90
	v_lshlrev_b64 v[90:91], 2, v[90:91]
	;; [unrolled: 8-line block ×11, first 2 shown]
	v_add_co_u32_e32 v90, vcc, s5, v90
	v_addc_co_u32_e32 v91, vcc, v101, v91, vcc
	global_load_dword v90, v[90:91], off
	s_waitcnt vmcnt(0)
	ds_write_b32 v98, v90 offset:3168
	ds_write_b32 v98, v102 offset:3432
	;; [unrolled: 1-line block ×4, first 2 shown]
	ds_read_b64 v[92:93], v99
	ds_read_b64 v[90:91], v99 offset:32
	s_waitcnt lgkmcnt(1)
	v_mfma_f32_16x16x4f32 a[8:11], v72, v92, a[8:11]
	ds_read_b64 v[0:1], v99 offset:64
	v_add_co_u32_e32 v18, vcc, s89, v18
	v_addc_co_u32_e32 v17, vcc, 0, v17, vcc
	v_add_co_u32_e32 v20, vcc, 0x300, v20
	v_mfma_f32_16x16x4f32 a[0:3], v40, v92, a[0:3]
	v_addc_co_u32_e32 v19, vcc, 0, v19, vcc
	v_add_co_u32_e32 v22, vcc, 0x300, v22
	v_addc_co_u32_e32 v21, vcc, 0, v21, vcc
	v_add_co_u32_e32 v24, vcc, 0x300, v24
	v_mfma_f32_16x16x4f32 a[4:7], v62, v92, a[4:7]
	v_add_u32_e32 v97, 0xc0, v97
	v_addc_co_u32_e32 v23, vcc, 0, v23, vcc
	v_cmp_le_i32_e32 vcc, s9, v97
	s_or_b64 s[0:1], vcc, s[0:1]
	v_mfma_f32_16x16x4f32 a[12:15], v88, v92, a[12:15]
	v_mfma_f32_16x16x4f32 a[8:11], v73, v93, a[8:11]
	;; [unrolled: 1-line block ×5, first 2 shown]
	s_waitcnt lgkmcnt(1)
	v_mfma_f32_16x16x4f32 a[8:11], v70, v90, a[8:11]
	v_mfma_f32_16x16x4f32 a[0:3], v38, v90, a[0:3]
	;; [unrolled: 1-line block ×8, first 2 shown]
	s_waitcnt lgkmcnt(0)
	v_mfma_f32_16x16x4f32 a[8:11], v68, v0, a[8:11]
	v_mfma_f32_16x16x4f32 a[0:3], v36, v0, a[0:3]
	v_mfma_f32_16x16x4f32 a[4:7], v52, v0, a[4:7]
	v_mfma_f32_16x16x4f32 a[12:15], v84, v0, a[12:15]
	v_mfma_f32_16x16x4f32 a[8:11], v69, v1, a[8:11]
	v_mfma_f32_16x16x4f32 a[0:3], v37, v1, a[0:3]
	v_mfma_f32_16x16x4f32 a[4:7], v53, v1, a[4:7]
	v_mfma_f32_16x16x4f32 a[12:15], v85, v1, a[12:15]
	ds_read_b64 v[0:1], v99 offset:96
	s_waitcnt lgkmcnt(0)
	v_mfma_f32_16x16x4f32 a[8:11], v66, v0, a[8:11]
	v_mfma_f32_16x16x4f32 a[0:3], v34, v0, a[0:3]
	v_mfma_f32_16x16x4f32 a[4:7], v50, v0, a[4:7]
	v_mfma_f32_16x16x4f32 a[12:15], v82, v0, a[12:15]
	v_mfma_f32_16x16x4f32 a[8:11], v67, v1, a[8:11]
	v_mfma_f32_16x16x4f32 a[0:3], v35, v1, a[0:3]
	v_mfma_f32_16x16x4f32 a[4:7], v51, v1, a[4:7]
	v_mfma_f32_16x16x4f32 a[12:15], v83, v1, a[12:15]
	ds_read_b64 v[0:1], v99 offset:128
	;; [unrolled: 10-line block ×5, first 2 shown]
	s_waitcnt lgkmcnt(0)
	v_mfma_f32_16x16x4f32 a[0:3], v26, v0, a[0:3]
	v_mfma_f32_16x16x4f32 a[12:15], v27, v1, a[0:3]
	;; [unrolled: 1-line block ×8, first 2 shown]
	s_andn2_b64 exec, exec, s[0:1]
	s_cbranch_execnz .LBB83_4
; %bb.5:
	s_or_b64 exec, exec, s[0:1]
.LBB83_6:
	s_or_b64 exec, exec, s[24:25]
	s_mul_hi_i32 s1, s19, s8
	s_mul_i32 s0, s19, s8
	s_lshl_b64 s[0:1], s[0:1], 2
	v_mul_u32_u24_e32 v0, 0x308, v96
	v_lshlrev_b32_e32 v1, 2, v95
	v_or_b32_e32 v2, 12, v94
	s_mul_i32 s4, s7, s15
	s_waitcnt lgkmcnt(0)
	s_add_u32 s6, s10, s0
	v_add3_u32 v0, 0, v0, v1
	v_and_b32_e32 v1, 0x3f0, v94
	v_and_b32_e32 v2, 0x3fc, v2
	s_addc_u32 s7, s11, s1
	s_ashr_i32 s5, s4, 31
	v_add_u32_e32 v1, v0, v1
	v_add_u32_e32 v0, v0, v2
	s_lshl_b64 s[0:1], s[4:5], 2
	s_barrier
	s_movk_i32 s4, 0x308
	ds_write2_b32 v1, a12, a13 offset1:1
	ds_write_b32 v1, a14 offset:8
	ds_write_b32 v0, a15
	ds_write2_b32 v1, a8, a9 offset0:16 offset1:17
	ds_write_b32 v1, a10 offset:72
	ds_write_b32 v0, a11 offset:64
	ds_write2_b32 v1, a4, a5 offset0:32 offset1:33
	ds_write_b32 v1, a6 offset:136
	ds_write_b32 v0, a7 offset:128
	;; [unrolled: 3-line block ×3, first 2 shown]
	v_lshl_add_u32 v1, v94, 2, 0
	v_mad_u32_u24 v8, v25, s4, v1
	s_waitcnt lgkmcnt(0)
	s_barrier
	ds_read2st64_b32 v[2:3], v8 offset1:1
	ds_read_b32 v4, v8 offset:512
	ds_read_b32 v9, v8 offset:2840
	;; [unrolled: 1-line block ×4, first 2 shown]
	s_waitcnt lgkmcnt(4)
	v_add_f32_e32 v2, 0, v2
	v_add_u32_e32 v0, s3, v94
	v_add_f32_e32 v2, v2, v3
	v_add_u32_e32 v6, 24, v8
	s_waitcnt lgkmcnt(3)
	v_add_f32_e32 v12, v2, v4
	v_mad_u64_u32 v[2:3], s[4:5], v25, s2, v[0:1]
	ds_read2st64_b32 v[6:7], v6 offset0:9 offset1:10
	s_add_u32 s0, s6, s0
	v_mov_b32_e32 v3, 0
	s_addc_u32 s1, s7, s1
	v_lshlrev_b64 v[4:5], 2, v[2:3]
	v_mov_b32_e32 v13, s1
	v_add_co_u32_e32 v4, vcc, s0, v4
	v_addc_co_u32_e32 v5, vcc, v13, v5, vcc
	global_store_dword v[4:5], v12, off
	s_waitcnt lgkmcnt(0)
	v_add_f32_e32 v4, 0, v6
	v_add_u32_e32 v6, 48, v8
	v_add_f32_e32 v4, v4, v7
	s_mul_i32 s3, s2, 3
	ds_read2st64_b32 v[6:7], v6 offset0:18 offset1:19
	v_add_u32_e32 v2, s3, v2
	v_add_f32_e32 v9, v4, v9
	v_lshlrev_b64 v[4:5], 2, v[2:3]
	v_mov_b32_e32 v12, s1
	v_add_co_u32_e32 v4, vcc, s0, v4
	v_addc_co_u32_e32 v5, vcc, v12, v5, vcc
	global_store_dword v[4:5], v9, off
	s_waitcnt lgkmcnt(0)
	v_add_f32_e32 v4, 0, v6
	v_add_u32_e32 v6, 0x48, v8
	v_add_f32_e32 v4, v4, v7
	ds_read2st64_b32 v[6:7], v6 offset0:27 offset1:28
	v_add_u32_e32 v2, s3, v2
	v_add_f32_e32 v9, v4, v10
	v_lshlrev_b64 v[4:5], 2, v[2:3]
	v_mov_b32_e32 v10, s1
	v_add_co_u32_e32 v4, vcc, s0, v4
	v_addc_co_u32_e32 v5, vcc, v10, v5, vcc
	global_store_dword v[4:5], v9, off
	s_waitcnt lgkmcnt(0)
	v_add_f32_e32 v4, 0, v6
	v_add_f32_e32 v4, v4, v7
	v_add_u32_e32 v2, s3, v2
	v_add_f32_e32 v6, v4, v11
	v_lshlrev_b64 v[4:5], 2, v[2:3]
	v_mov_b32_e32 v2, s1
	v_add_co_u32_e32 v4, vcc, s0, v4
	v_addc_co_u32_e32 v5, vcc, v2, v5, vcc
	v_cmp_eq_u32_e32 vcc, 0, v25
	global_store_dword v[4:5], v6, off
	s_and_saveexec_b64 s[4:5], vcc
	s_cbranch_execz .LBB83_8
; %bb.7:
	v_add_u32_e32 v2, 0x60, v1
	ds_read2st64_b32 v[4:5], v2 offset0:36 offset1:37
	ds_read_b32 v2, v1 offset:9824
	v_mad_u64_u32 v[0:1], s[2:3], s2, 12, v[0:1]
	v_mov_b32_e32 v1, v3
	s_waitcnt lgkmcnt(1)
	v_add_f32_e32 v3, 0, v4
	v_add_f32_e32 v3, v3, v5
	v_lshlrev_b64 v[0:1], 2, v[0:1]
	s_waitcnt lgkmcnt(0)
	v_add_f32_e32 v2, v3, v2
	v_mov_b32_e32 v3, s1
	v_add_co_u32_e32 v0, vcc, s0, v0
	v_addc_co_u32_e32 v1, vcc, v3, v1, vcc
	global_store_dword v[0:1], v2, off
.LBB83_8:
	s_endpgm
	.section	.rodata,"a",@progbits
	.p2align	6, 0x0
	.amdhsa_kernel _ZL9mul_mat_fIfLi64ELi13ELi3ELb0EEvPKT_PKfPKiPfiiiiiiiiiiiiiiii
		.amdhsa_group_segment_fixed_size 0
		.amdhsa_private_segment_fixed_size 0
		.amdhsa_kernarg_size 96
		.amdhsa_user_sgpr_count 6
		.amdhsa_user_sgpr_private_segment_buffer 1
		.amdhsa_user_sgpr_dispatch_ptr 0
		.amdhsa_user_sgpr_queue_ptr 0
		.amdhsa_user_sgpr_kernarg_segment_ptr 1
		.amdhsa_user_sgpr_dispatch_id 0
		.amdhsa_user_sgpr_flat_scratch_init 0
		.amdhsa_user_sgpr_kernarg_preload_length 0
		.amdhsa_user_sgpr_kernarg_preload_offset 0
		.amdhsa_user_sgpr_private_segment_size 0
		.amdhsa_uses_dynamic_stack 0
		.amdhsa_system_sgpr_private_segment_wavefront_offset 0
		.amdhsa_system_sgpr_workgroup_id_x 1
		.amdhsa_system_sgpr_workgroup_id_y 1
		.amdhsa_system_sgpr_workgroup_id_z 1
		.amdhsa_system_sgpr_workgroup_info 0
		.amdhsa_system_vgpr_workitem_id 1
		.amdhsa_next_free_vgpr 128
		.amdhsa_next_free_sgpr 90
		.amdhsa_accum_offset 104
		.amdhsa_reserve_vcc 1
		.amdhsa_reserve_flat_scratch 0
		.amdhsa_float_round_mode_32 0
		.amdhsa_float_round_mode_16_64 0
		.amdhsa_float_denorm_mode_32 3
		.amdhsa_float_denorm_mode_16_64 3
		.amdhsa_dx10_clamp 1
		.amdhsa_ieee_mode 1
		.amdhsa_fp16_overflow 0
		.amdhsa_tg_split 0
		.amdhsa_exception_fp_ieee_invalid_op 0
		.amdhsa_exception_fp_denorm_src 0
		.amdhsa_exception_fp_ieee_div_zero 0
		.amdhsa_exception_fp_ieee_overflow 0
		.amdhsa_exception_fp_ieee_underflow 0
		.amdhsa_exception_fp_ieee_inexact 0
		.amdhsa_exception_int_div_zero 0
	.end_amdhsa_kernel
	.section	.text._ZL9mul_mat_fIfLi64ELi13ELi3ELb0EEvPKT_PKfPKiPfiiiiiiiiiiiiiiii,"axG",@progbits,_ZL9mul_mat_fIfLi64ELi13ELi3ELb0EEvPKT_PKfPKiPfiiiiiiiiiiiiiiii,comdat
.Lfunc_end83:
	.size	_ZL9mul_mat_fIfLi64ELi13ELi3ELb0EEvPKT_PKfPKiPfiiiiiiiiiiiiiiii, .Lfunc_end83-_ZL9mul_mat_fIfLi64ELi13ELi3ELb0EEvPKT_PKfPKiPfiiiiiiiiiiiiiiii
                                        ; -- End function
	.section	.AMDGPU.csdata,"",@progbits
; Kernel info:
; codeLenInByte = 6324
; NumSgprs: 94
; NumVgprs: 103
; NumAgprs: 24
; TotalNumVgprs: 128
; ScratchSize: 0
; MemoryBound: 0
; FloatMode: 240
; IeeeMode: 1
; LDSByteSize: 0 bytes/workgroup (compile time only)
; SGPRBlocks: 11
; VGPRBlocks: 15
; NumSGPRsForWavesPerEU: 94
; NumVGPRsForWavesPerEU: 128
; AccumOffset: 104
; Occupancy: 4
; WaveLimiterHint : 0
; COMPUTE_PGM_RSRC2:SCRATCH_EN: 0
; COMPUTE_PGM_RSRC2:USER_SGPR: 6
; COMPUTE_PGM_RSRC2:TRAP_HANDLER: 0
; COMPUTE_PGM_RSRC2:TGID_X_EN: 1
; COMPUTE_PGM_RSRC2:TGID_Y_EN: 1
; COMPUTE_PGM_RSRC2:TGID_Z_EN: 1
; COMPUTE_PGM_RSRC2:TIDIG_COMP_CNT: 1
; COMPUTE_PGM_RSRC3_GFX90A:ACCUM_OFFSET: 25
; COMPUTE_PGM_RSRC3_GFX90A:TG_SPLIT: 0
	.section	.text._ZL13mul_mat_f_idsIfLi64ELi13ELi4EEvPKT_PKfPKiS6_S6_Pfiiiiiiiiiiiiii15HIP_vector_typeIjLj3EES9_,"axG",@progbits,_ZL13mul_mat_f_idsIfLi64ELi13ELi4EEvPKT_PKfPKiS6_S6_Pfiiiiiiiiiiiiii15HIP_vector_typeIjLj3EES9_,comdat
	.globl	_ZL13mul_mat_f_idsIfLi64ELi13ELi4EEvPKT_PKfPKiS6_S6_Pfiiiiiiiiiiiiii15HIP_vector_typeIjLj3EES9_ ; -- Begin function _ZL13mul_mat_f_idsIfLi64ELi13ELi4EEvPKT_PKfPKiS6_S6_Pfiiiiiiiiiiiiii15HIP_vector_typeIjLj3EES9_
	.p2align	8
	.type	_ZL13mul_mat_f_idsIfLi64ELi13ELi4EEvPKT_PKfPKiS6_S6_Pfiiiiiiiiiiiiii15HIP_vector_typeIjLj3EES9_,@function
_ZL13mul_mat_f_idsIfLi64ELi13ELi4EEvPKT_PKfPKiS6_S6_Pfiiiiiiiiiiiiii15HIP_vector_typeIjLj3EES9_: ; @_ZL13mul_mat_f_idsIfLi64ELi13ELi4EEvPKT_PKfPKiS6_S6_Pfiiiiiiiiiiiiii15HIP_vector_typeIjLj3EES9_
; %bb.0:
	s_load_dwordx2 s[0:1], s[4:5], 0x20
	s_mov_b32 s34, s7
	s_ashr_i32 s35, s7, 31
	s_lshl_b64 s[2:3], s[34:35], 2
	s_waitcnt lgkmcnt(0)
	s_add_u32 s0, s0, s2
	s_addc_u32 s1, s1, s3
	s_load_dwordx2 s[26:27], s[0:1], 0x0
	s_waitcnt lgkmcnt(0)
	s_sub_i32 s33, s27, s26
	s_add_i32 s0, s33, 12
	s_mul_hi_i32 s0, s0, 0x4ec4ec4f
	s_lshr_b32 s1, s0, 31
	s_ashr_i32 s0, s0, 2
	s_add_i32 s0, s0, s1
	s_cmp_ge_i32 s8, s0
	s_cbranch_scc1 .LBB84_59
; %bb.1:
	v_bfe_u32 v66, v0, 10, 10
	v_lshlrev_b32_e32 v68, 6, v66
	v_and_b32_e32 v67, 0x3ff, v0
	s_load_dwordx4 s[12:15], s[4:5], 0x30
	s_load_dwordx2 s[20:21], s[4:5], 0x40
	s_load_dwordx4 s[0:3], s[4:5], 0x4c
	s_load_dwordx4 s[16:19], s[4:5], 0x68
	s_load_dwordx2 s[24:25], s[4:5], 0x78
	v_add_u32_e32 v70, v68, v67
	s_ashr_i32 s27, s26, 31
	s_waitcnt lgkmcnt(0)
	v_cmp_le_i32_e32 vcc, s12, v70
	v_and_b32_e32 v69, 15, v67
                                        ; implicit-def: $sgpr3
	s_and_saveexec_b64 s[10:11], vcc
	s_xor_b64 s[10:11], exec, s[10:11]
; %bb.2:
	v_and_b32_e32 v69, 15, v67
	s_mov_b32 s3, 0
                                        ; implicit-def: $vgpr70
; %bb.3:
	s_or_saveexec_b64 s[22:23], s[10:11]
	s_load_dwordx2 s[10:11], s[4:5], 0x18
                                        ; implicit-def: $vgpr92 : SGPR spill to VGPR lane
	s_lshl_b32 s7, s6, 6
	s_mul_i32 s6, s8, 13
	v_accvgpr_write_b32 a0, s3
	v_accvgpr_write_b32 a1, s3
	s_waitcnt lgkmcnt(0)
	v_writelane_b32 v92, s10, 0
	v_writelane_b32 v92, s11, 1
	s_load_dwordx2 s[10:11], s[4:5], 0x28
	v_accvgpr_write_b32 a2, s3
	v_accvgpr_write_b32 a3, s3
	;; [unrolled: 1-line block ×4, first 2 shown]
	s_waitcnt lgkmcnt(0)
	v_writelane_b32 v92, s10, 2
	v_writelane_b32 v92, s11, 3
	v_accvgpr_write_b32 a6, s3
	v_accvgpr_write_b32 a7, s3
	;; [unrolled: 1-line block ×10, first 2 shown]
	v_writelane_b32 v92, s22, 4
	v_writelane_b32 v92, s23, 5
	s_xor_b64 exec, exec, s[22:23]
	s_cbranch_execz .LBB84_46
; %bb.4:
	v_writelane_b32 v92, s24, 6
	v_writelane_b32 v92, s25, 7
	s_load_dwordx4 s[8:11], s[4:5], 0x0
	s_load_dwordx2 s[22:23], s[4:5], 0x10
	s_mul_i32 s4, s34, s0
	s_mul_i32 s24, s7, s15
	s_ashr_i32 s5, s4, 31
	s_ashr_i32 s25, s24, 31
	s_lshl_b64 s[24:25], s[24:25], 2
	s_lshl_b64 s[4:5], s[4:5], 2
	s_add_u32 s3, s4, s24
	s_addc_u32 s24, s5, s25
	v_writelane_b32 v92, s7, 8
	s_waitcnt lgkmcnt(0)
	s_add_u32 s0, s3, s8
	s_addc_u32 s25, s24, s9
	v_writelane_b32 v92, s26, 9
	s_lshl_b64 s[4:5], s[26:27], 2
	v_writelane_b32 v92, s27, 10
	s_add_u32 s26, s22, s4
	s_addc_u32 s27, s23, s5
	s_movk_i32 s4, 0x1080
	s_cmp_lt_i32 s6, s33
	v_mad_u32_u24 v0, v66, s4, 0
	s_cselect_b64 s[4:5], -1, 0
	s_ashr_i32 s7, s6, 31
	s_lshl_b64 s[22:23], s[6:7], 2
	s_add_u32 s34, s26, s22
	s_addc_u32 s35, s27, s23
	s_add_i32 s7, s6, 1
	s_cmp_lt_i32 s7, s33
	s_cselect_b64 s[36:37], -1, 0
	s_add_i32 s7, s6, 2
	s_cmp_lt_i32 s7, s33
	s_cselect_b64 s[38:39], -1, 0
	;; [unrolled: 3-line block ×3, first 2 shown]
	s_add_i32 s7, s6, 4
	s_cmp_lt_i32 s7, s33
	v_lshrrev_b32_e32 v3, 1, v67
	s_cselect_b64 s[42:43], -1, 0
	s_add_i32 s7, s6, 5
	v_lshlrev_b32_e32 v1, 2, v67
	v_mul_u32_u24_e32 v2, 0x108, v69
	v_and_b32_e32 v3, 0x1f8, v3
	s_cmp_lt_i32 s7, s33
	v_add_u32_e32 v71, v0, v1
	v_add3_u32 v72, v0, v2, v3
	s_cselect_b64 s[44:45], -1, 0
	s_add_i32 s7, s6, 6
	v_lshlrev_b32_e32 v0, 8, v66
	s_cmp_lt_i32 s7, s33
	v_add_co_u32_e32 v0, vcc, s3, v0
	s_mul_i32 s3, s15, 3
	s_cselect_b64 s[46:47], -1, 0
	s_add_i32 s7, s6, 7
	v_writelane_b32 v92, s3, 11
	s_mul_i32 s3, s15, 5
	s_cmp_lt_i32 s7, s33
	v_writelane_b32 v92, s3, 12
	s_mul_i32 s3, s15, 6
	s_cselect_b64 s[48:49], -1, 0
	s_add_i32 s7, s6, 8
	v_writelane_b32 v92, s3, 13
	s_mul_i32 s3, s15, 7
	s_cmp_lt_i32 s7, s33
	v_writelane_b32 v92, s3, 14
	;; [unrolled: 7-line block ×4, first 2 shown]
	s_mul_i32 s3, s15, 13
	s_cselect_b64 s[54:55], -1, 0
	s_add_i32 s7, s6, 11
	v_writelane_b32 v92, s3, 19
	s_mul_i32 s3, s15, 14
	s_cmp_lt_i32 s7, s33
	v_mov_b32_e32 v2, s24
	v_writelane_b32 v92, s3, 20
	s_mul_i32 s3, s15, 15
	s_cselect_b64 s[56:57], -1, 0
	s_add_i32 s7, s6, 12
	v_addc_co_u32_e32 v2, vcc, 0, v2, vcc
	v_writelane_b32 v92, s3, 21
	s_mul_i32 s3, s15, 17
	s_cmp_lt_i32 s7, s33
	v_add_co_u32_e32 v0, vcc, v0, v1
	v_writelane_b32 v92, s3, 22
	s_mul_i32 s3, s15, 18
	s_cselect_b64 s[58:59], -1, 0
	s_ashr_i32 s23, s15, 31
	s_mov_b32 s22, s15
	v_addc_co_u32_e32 v1, vcc, 0, v2, vcc
	v_writelane_b32 v92, s3, 23
	s_mul_i32 s3, s15, 19
	s_lshl_b64 s[60:61], s[22:23], 2
	v_mov_b32_e32 v2, s9
	v_add_co_u32_e32 v0, vcc, s8, v0
	v_writelane_b32 v92, s3, 24
	s_mul_i32 s3, s15, 20
	v_addc_co_u32_e32 v1, vcc, v2, v1, vcc
	s_lshl_b32 s7, s15, 1
	s_lshl_b32 s63, s15, 2
	;; [unrolled: 1-line block ×4, first 2 shown]
	v_writelane_b32 v92, s3, 25
	s_mul_i32 s80, s15, 21
	s_mul_i32 s81, s15, 22
	;; [unrolled: 1-line block ×9, first 2 shown]
	v_mov_b32_e32 v73, s25
	s_mul_i32 s89, s15, 30
	v_mov_b32_e32 v74, 0
	v_accvgpr_write_b32 a15, 0
	v_accvgpr_write_b32 a14, 0
	v_accvgpr_write_b32 a13, 0
	v_accvgpr_write_b32 a12, 0
	v_accvgpr_write_b32 a11, 0
	v_accvgpr_write_b32 a10, 0
	v_accvgpr_write_b32 a9, 0
	v_accvgpr_write_b32 a8, 0
	v_accvgpr_write_b32 a7, 0
	v_accvgpr_write_b32 a6, 0
	v_accvgpr_write_b32 a5, 0
	v_accvgpr_write_b32 a4, 0
	v_accvgpr_write_b32 a3, 0
	v_accvgpr_write_b32 a2, 0
	v_accvgpr_write_b32 a1, 0
	v_accvgpr_write_b32 a0, 0
	v_mov_b32_e32 v75, s61
	s_mul_i32 s61, s15, 31
	s_lshl_b32 s90, s15, 5
	s_mul_i32 s91, s15, 33
	s_mul_i32 s92, s15, 34
	;; [unrolled: 1-line block ×31, first 2 shown]
	s_mov_b64 s[8:9], 0
	s_branch .LBB84_6
.LBB84_5:                               ;   in Loop: Header=BB84_6 Depth=1
	s_waitcnt vmcnt(0)
	ds_write2_b32 v71, v76, v78 offset1:66
	ds_write2_b32 v71, v77, v80 offset0:132 offset1:198
	v_add_u32_e32 v76, 0x400, v71
	ds_write2_b32 v76, v79, v82 offset0:8 offset1:74
	ds_write2_b32 v76, v81, v84 offset0:140 offset1:206
	v_add_u32_e32 v76, 0x800, v71
	ds_write2_b32 v76, v83, v86 offset0:16 offset1:82
	;; [unrolled: 3-line block ×3, first 2 shown]
	ds_write2_b32 v76, v74, v74 offset0:156 offset1:222
	ds_read2_b64 v[76:79], v72 offset1:4
	v_add_co_u32_e32 v0, vcc, 0x400, v0
	s_waitcnt lgkmcnt(0)
	v_mfma_f32_16x16x4f32 a[0:3], v28, v76, a[0:3]
	v_add_u32_e32 v70, 0x100, v70
	v_addc_co_u32_e32 v1, vcc, 0, v1, vcc
	v_cmp_le_i32_e32 vcc, s12, v70
	s_or_b64 s[8:9], vcc, s[8:9]
	v_mfma_f32_16x16x4f32 a[4:7], v44, v76, a[4:7]
	v_mfma_f32_16x16x4f32 a[8:11], v52, v76, a[8:11]
	v_mfma_f32_16x16x4f32 a[12:15], v64, v76, a[12:15]
	v_mfma_f32_16x16x4f32 a[0:3], v29, v77, a[0:3]
	v_mfma_f32_16x16x4f32 a[4:7], v45, v77, a[4:7]
	v_mfma_f32_16x16x4f32 a[8:11], v53, v77, a[8:11]
	v_mfma_f32_16x16x4f32 a[12:15], v65, v77, a[12:15]
	v_mfma_f32_16x16x4f32 a[0:3], v20, v78, a[0:3]
	v_mfma_f32_16x16x4f32 a[4:7], v38, v78, a[4:7]
	v_mfma_f32_16x16x4f32 a[8:11], v48, v78, a[8:11]
	v_mfma_f32_16x16x4f32 a[12:15], v62, v78, a[12:15]
	v_mfma_f32_16x16x4f32 a[0:3], v21, v79, a[0:3]
	v_mfma_f32_16x16x4f32 a[4:7], v39, v79, a[4:7]
	v_mfma_f32_16x16x4f32 a[8:11], v49, v79, a[8:11]
	v_mfma_f32_16x16x4f32 a[12:15], v63, v79, a[12:15]
	ds_read2_b64 v[62:65], v72 offset0:8 offset1:12
	s_waitcnt lgkmcnt(0)
	v_mfma_f32_16x16x4f32 a[0:3], v16, v62, a[0:3]
	v_mfma_f32_16x16x4f32 a[4:7], v34, v62, a[4:7]
	;; [unrolled: 1-line block ×14, first 2 shown]
	ds_read2_b64 v[28:31], v72 offset0:16 offset1:20
	v_mfma_f32_16x16x4f32 a[8:11], v43, v65, a[8:11]
	v_mfma_f32_16x16x4f32 a[12:15], v59, v65, a[12:15]
	s_waitcnt lgkmcnt(0)
	v_mfma_f32_16x16x4f32 a[0:3], v10, v28, a[0:3]
	v_mfma_f32_16x16x4f32 a[4:7], v24, v28, a[4:7]
	;; [unrolled: 1-line block ×5, first 2 shown]
	ds_read2_b64 v[10:13], v72 offset0:24 offset1:28
	v_mfma_f32_16x16x4f32 a[4:7], v25, v29, a[4:7]
	v_mfma_f32_16x16x4f32 a[8:11], v37, v29, a[8:11]
	;; [unrolled: 1-line block ×11, first 2 shown]
	s_waitcnt lgkmcnt(0)
	v_mfma_f32_16x16x4f32 a[0:3], v4, v10, a[0:3]
	v_mfma_f32_16x16x4f32 a[4:7], v14, v10, a[4:7]
	;; [unrolled: 1-line block ×16, first 2 shown]
	s_andn2_b64 exec, exec, s[8:9]
	s_cbranch_execz .LBB84_45
.LBB84_6:                               ; =>This Inner Loop Header: Depth=1
	v_add_co_u32_e32 v2, vcc, s60, v0
	v_addc_co_u32_e32 v3, vcc, v1, v75, vcc
	global_load_dword v18, v[0:1], off
	global_load_dword v19, v[2:3], off
	v_add_u32_e32 v2, s7, v70
	v_ashrrev_i32_e32 v3, 31, v2
	v_readlane_b32 s79, v92, 11
	v_lshlrev_b64 v[2:3], 2, v[2:3]
	v_add_u32_e32 v4, s79, v70
	v_add_co_u32_e32 v2, vcc, s0, v2
	v_ashrrev_i32_e32 v5, 31, v4
	v_addc_co_u32_e32 v3, vcc, v73, v3, vcc
	v_lshlrev_b64 v[4:5], 2, v[4:5]
	v_add_u32_e32 v6, s63, v70
	v_add_co_u32_e32 v4, vcc, s0, v4
	v_ashrrev_i32_e32 v7, 31, v6
	v_readlane_b32 s79, v92, 12
	v_addc_co_u32_e32 v5, vcc, v73, v5, vcc
	v_lshlrev_b64 v[6:7], 2, v[6:7]
	v_add_u32_e32 v8, s79, v70
	v_add_co_u32_e32 v6, vcc, s0, v6
	v_ashrrev_i32_e32 v9, 31, v8
	v_readlane_b32 s79, v92, 13
	;; [unrolled: 6-line block ×3, first 2 shown]
	v_addc_co_u32_e32 v9, vcc, v73, v9, vcc
	v_lshlrev_b64 v[10:11], 2, v[10:11]
	v_add_u32_e32 v12, s79, v70
	v_add_co_u32_e32 v10, vcc, s0, v10
	v_ashrrev_i32_e32 v13, 31, v12
	v_addc_co_u32_e32 v11, vcc, v73, v11, vcc
	v_lshlrev_b64 v[12:13], 2, v[12:13]
	v_add_u32_e32 v14, s67, v70
	v_add_co_u32_e32 v12, vcc, s0, v12
	v_ashrrev_i32_e32 v15, 31, v14
	v_readlane_b32 s79, v92, 15
	v_addc_co_u32_e32 v13, vcc, v73, v13, vcc
	v_lshlrev_b64 v[14:15], 2, v[14:15]
	v_add_u32_e32 v16, s79, v70
	v_add_co_u32_e32 v14, vcc, s0, v14
	v_ashrrev_i32_e32 v17, 31, v16
	v_addc_co_u32_e32 v15, vcc, v73, v15, vcc
	v_lshlrev_b64 v[16:17], 2, v[16:17]
	v_add_co_u32_e32 v16, vcc, s0, v16
	v_readlane_b32 s79, v92, 16
	v_addc_co_u32_e32 v17, vcc, v73, v17, vcc
	global_load_dword v20, v[2:3], off
	global_load_dword v21, v[4:5], off
	;; [unrolled: 1-line block ×6, first 2 shown]
	s_nop 0
	global_load_dword v14, v[14:15], off
	s_nop 0
	global_load_dword v15, v[16:17], off
	v_add_u32_e32 v2, s79, v70
	v_ashrrev_i32_e32 v3, 31, v2
	v_readlane_b32 s79, v92, 17
	v_lshlrev_b64 v[2:3], 2, v[2:3]
	v_add_u32_e32 v4, s79, v70
	v_add_co_u32_e32 v2, vcc, s0, v2
	v_ashrrev_i32_e32 v5, 31, v4
	v_readlane_b32 s79, v92, 18
	v_addc_co_u32_e32 v3, vcc, v73, v3, vcc
	v_lshlrev_b64 v[4:5], 2, v[4:5]
	v_add_u32_e32 v6, s79, v70
	v_add_co_u32_e32 v4, vcc, s0, v4
	v_ashrrev_i32_e32 v7, 31, v6
	v_readlane_b32 s79, v92, 19
	v_addc_co_u32_e32 v5, vcc, v73, v5, vcc
	;; [unrolled: 6-line block ×4, first 2 shown]
	v_lshlrev_b64 v[10:11], 2, v[10:11]
	v_add_u32_e32 v12, s79, v70
	v_add_co_u32_e32 v10, vcc, s0, v10
	v_ashrrev_i32_e32 v13, 31, v12
	v_addc_co_u32_e32 v11, vcc, v73, v11, vcc
	v_lshlrev_b64 v[12:13], 2, v[12:13]
	v_add_co_u32_e32 v12, vcc, s0, v12
	v_addc_co_u32_e32 v13, vcc, v73, v13, vcc
	global_load_dword v16, v[2:3], off
	global_load_dword v17, v[4:5], off
	s_nop 0
	global_load_dword v6, v[6:7], off
	s_nop 0
	global_load_dword v7, v[8:9], off
	s_nop 0
	global_load_dword v10, v[10:11], off
	s_nop 0
	global_load_dword v11, v[12:13], off
	v_add_u32_e32 v2, s75, v70
	v_ashrrev_i32_e32 v3, 31, v2
	v_readlane_b32 s79, v92, 22
	v_lshlrev_b64 v[2:3], 2, v[2:3]
	v_add_u32_e32 v4, s79, v70
	v_add_co_u32_e32 v2, vcc, s0, v2
	v_ashrrev_i32_e32 v5, 31, v4
	v_addc_co_u32_e32 v3, vcc, v73, v3, vcc
	v_lshlrev_b64 v[4:5], 2, v[4:5]
	s_waitcnt vmcnt(15)
	ds_write_b32 v71, v18
	s_waitcnt vmcnt(14)
	ds_write_b32 v71, v19 offset:264
	s_waitcnt vmcnt(13)
	ds_write_b32 v71, v20 offset:528
	;; [unrolled: 2-line block ×9, first 2 shown]
	v_add_co_u32_e32 v4, vcc, s0, v4
	v_readlane_b32 s79, v92, 23
	v_addc_co_u32_e32 v5, vcc, v73, v5, vcc
	global_load_dword v8, v[2:3], off
	global_load_dword v9, v[4:5], off
	v_add_u32_e32 v2, s79, v70
	v_ashrrev_i32_e32 v3, 31, v2
	v_readlane_b32 s79, v92, 24
	v_lshlrev_b64 v[2:3], 2, v[2:3]
	v_add_u32_e32 v4, s79, v70
	v_add_co_u32_e32 v2, vcc, s0, v2
	v_ashrrev_i32_e32 v5, 31, v4
	v_readlane_b32 s79, v92, 25
	s_waitcnt vmcnt(7)
	ds_write_b32 v71, v16 offset:2640
	s_waitcnt vmcnt(6)
	ds_write_b32 v71, v17 offset:2904
	;; [unrolled: 2-line block ×6, first 2 shown]
	v_addc_co_u32_e32 v3, vcc, v73, v3, vcc
	v_lshlrev_b64 v[4:5], 2, v[4:5]
	v_add_u32_e32 v6, s79, v70
	v_add_co_u32_e32 v4, vcc, s0, v4
	v_ashrrev_i32_e32 v7, 31, v6
	v_addc_co_u32_e32 v5, vcc, v73, v5, vcc
	v_lshlrev_b64 v[6:7], 2, v[6:7]
	v_add_u32_e32 v10, s80, v70
	v_add_co_u32_e32 v6, vcc, s0, v6
	v_ashrrev_i32_e32 v11, 31, v10
	v_addc_co_u32_e32 v7, vcc, v73, v7, vcc
	v_lshlrev_b64 v[10:11], 2, v[10:11]
	v_add_u32_e32 v12, s81, v70
	v_add_co_u32_e32 v10, vcc, s0, v10
	v_ashrrev_i32_e32 v13, 31, v12
	v_addc_co_u32_e32 v11, vcc, v73, v11, vcc
	v_lshlrev_b64 v[12:13], 2, v[12:13]
	v_add_u32_e32 v14, s82, v70
	v_add_co_u32_e32 v12, vcc, s0, v12
	v_ashrrev_i32_e32 v15, 31, v14
	v_addc_co_u32_e32 v13, vcc, v73, v13, vcc
	v_lshlrev_b64 v[14:15], 2, v[14:15]
	v_add_u32_e32 v16, s83, v70
	v_add_co_u32_e32 v14, vcc, s0, v14
	v_ashrrev_i32_e32 v17, 31, v16
	v_addc_co_u32_e32 v15, vcc, v73, v15, vcc
	v_lshlrev_b64 v[16:17], 2, v[16:17]
	v_add_u32_e32 v18, s84, v70
	v_add_co_u32_e32 v16, vcc, s0, v16
	v_ashrrev_i32_e32 v19, 31, v18
	v_addc_co_u32_e32 v17, vcc, v73, v17, vcc
	v_lshlrev_b64 v[18:19], 2, v[18:19]
	v_add_co_u32_e32 v18, vcc, s0, v18
	v_addc_co_u32_e32 v19, vcc, v73, v19, vcc
	global_load_dword v22, v[2:3], off
	global_load_dword v23, v[4:5], off
	global_load_dword v24, v[6:7], off
	global_load_dword v25, v[10:11], off
	global_load_dword v26, v[12:13], off
	global_load_dword v27, v[14:15], off
	global_load_dword v30, v[16:17], off
	global_load_dword v31, v[18:19], off
	v_add_u32_e32 v2, s85, v70
	v_ashrrev_i32_e32 v3, 31, v2
	v_lshlrev_b64 v[2:3], 2, v[2:3]
	v_add_u32_e32 v4, s86, v70
	v_add_co_u32_e32 v2, vcc, s0, v2
	v_ashrrev_i32_e32 v5, 31, v4
	v_addc_co_u32_e32 v3, vcc, v73, v3, vcc
	v_lshlrev_b64 v[4:5], 2, v[4:5]
	v_add_u32_e32 v6, s87, v70
	v_add_co_u32_e32 v4, vcc, s0, v4
	v_ashrrev_i32_e32 v7, 31, v6
	v_addc_co_u32_e32 v5, vcc, v73, v5, vcc
	v_lshlrev_b64 v[6:7], 2, v[6:7]
	v_add_u32_e32 v10, s88, v70
	v_add_co_u32_e32 v6, vcc, s0, v6
	v_ashrrev_i32_e32 v11, 31, v10
	v_addc_co_u32_e32 v7, vcc, v73, v7, vcc
	v_lshlrev_b64 v[10:11], 2, v[10:11]
	v_add_u32_e32 v12, s89, v70
	v_add_co_u32_e32 v10, vcc, s0, v10
	v_ashrrev_i32_e32 v13, 31, v12
	v_addc_co_u32_e32 v11, vcc, v73, v11, vcc
	v_lshlrev_b64 v[12:13], 2, v[12:13]
	v_add_u32_e32 v14, s61, v70
	v_add_co_u32_e32 v12, vcc, s0, v12
	v_ashrrev_i32_e32 v15, 31, v14
	v_addc_co_u32_e32 v13, vcc, v73, v13, vcc
	v_lshlrev_b64 v[14:15], 2, v[14:15]
	v_add_u32_e32 v16, s90, v70
	v_add_co_u32_e32 v14, vcc, s0, v14
	v_ashrrev_i32_e32 v17, 31, v16
	v_addc_co_u32_e32 v15, vcc, v73, v15, vcc
	v_lshlrev_b64 v[16:17], 2, v[16:17]
	v_add_u32_e32 v18, s91, v70
	v_add_co_u32_e32 v16, vcc, s0, v16
	v_ashrrev_i32_e32 v19, 31, v18
	v_addc_co_u32_e32 v17, vcc, v73, v17, vcc
	v_lshlrev_b64 v[18:19], 2, v[18:19]
	v_add_co_u32_e32 v18, vcc, s0, v18
	v_addc_co_u32_e32 v19, vcc, v73, v19, vcc
	global_load_dword v32, v[2:3], off
	global_load_dword v33, v[4:5], off
	global_load_dword v34, v[6:7], off
	global_load_dword v35, v[10:11], off
	global_load_dword v36, v[12:13], off
	global_load_dword v37, v[14:15], off
	global_load_dword v40, v[16:17], off
	global_load_dword v41, v[18:19], off
	v_add_u32_e32 v2, s92, v70
	v_ashrrev_i32_e32 v3, 31, v2
	v_lshlrev_b64 v[2:3], 2, v[2:3]
	v_add_u32_e32 v4, s93, v70
	v_add_co_u32_e32 v2, vcc, s0, v2
	v_ashrrev_i32_e32 v5, 31, v4
	;; [unrolled: 48-line block ×5, first 2 shown]
	v_addc_co_u32_e32 v3, vcc, v73, v3, vcc
	v_lshlrev_b64 v[4:5], 2, v[4:5]
	v_add_u32_e32 v6, s76, v70
	v_add_co_u32_e32 v4, vcc, s0, v4
	v_ashrrev_i32_e32 v7, 31, v6
	v_addc_co_u32_e32 v5, vcc, v73, v5, vcc
	v_lshlrev_b64 v[6:7], 2, v[6:7]
	v_add_u32_e32 v10, s77, v70
	v_add_co_u32_e32 v6, vcc, s0, v6
	v_ashrrev_i32_e32 v11, 31, v10
	;; [unrolled: 5-line block ×3, first 2 shown]
	v_addc_co_u32_e32 v11, vcc, v73, v11, vcc
	v_lshlrev_b64 v[12:13], 2, v[12:13]
	v_add_co_u32_e32 v14, vcc, s0, v12
	v_add_u32_e32 v12, s15, v70
	v_addc_co_u32_e32 v15, vcc, v73, v13, vcc
	v_ashrrev_i32_e32 v13, 31, v12
	v_lshlrev_b64 v[12:13], 2, v[12:13]
	v_add_co_u32_e32 v18, vcc, s0, v12
	v_addc_co_u32_e32 v19, vcc, v73, v13, vcc
	ds_read_b64 v[28:29], v72
	ds_read_b64 v[20:21], v72 offset:32
	ds_read_b64 v[16:17], v72 offset:64
	;; [unrolled: 1-line block ×3, first 2 shown]
	global_load_dword v78, v[2:3], off
	global_load_dword v79, v[4:5], off
	;; [unrolled: 1-line block ×6, first 2 shown]
	ds_read_b64 v[10:11], v72 offset:128
	ds_read_b64 v[6:7], v72 offset:160
	ds_read_b64 v[4:5], v72 offset:192
	ds_read_b64 v[2:3], v72 offset:224
	s_waitcnt vmcnt(47)
	ds_write_b32 v71, v8
	s_waitcnt vmcnt(46)
	ds_write_b32 v71, v9 offset:264
	s_waitcnt vmcnt(45)
	ds_write_b32 v71, v22 offset:528
	s_waitcnt vmcnt(44)
	ds_write_b32 v71, v23 offset:792
	s_waitcnt vmcnt(43)
	ds_write_b32 v71, v24 offset:1056
	s_waitcnt vmcnt(42)
	ds_write_b32 v71, v25 offset:1320
	s_waitcnt vmcnt(41)
	ds_write_b32 v71, v26 offset:1584
	s_waitcnt vmcnt(40)
	ds_write_b32 v71, v27 offset:1848
	s_waitcnt vmcnt(39)
	ds_write_b32 v71, v30 offset:2112
	s_waitcnt vmcnt(38)
	ds_write_b32 v71, v31 offset:2376
	s_waitcnt vmcnt(37)
	ds_write_b32 v71, v32 offset:2640
	s_waitcnt vmcnt(36)
	ds_write_b32 v71, v33 offset:2904
	s_waitcnt vmcnt(35)
	ds_write_b32 v71, v34 offset:3168
	s_waitcnt vmcnt(34)
	ds_write_b32 v71, v35 offset:3432
	s_waitcnt vmcnt(33)
	ds_write_b32 v71, v36 offset:3696
	s_waitcnt vmcnt(32)
	ds_write_b32 v71, v37 offset:3960
	ds_read_b64 v[44:45], v72
	ds_read_b64 v[38:39], v72 offset:32
	ds_read_b64 v[34:35], v72 offset:64
	ds_read_b64 v[30:31], v72 offset:96
	ds_read_b64 v[24:25], v72 offset:128
	ds_read_b64 v[18:19], v72 offset:160
	ds_read_b64 v[14:15], v72 offset:192
	ds_read_b64 v[8:9], v72 offset:224
	s_waitcnt vmcnt(31)
	ds_write_b32 v71, v40
	s_waitcnt vmcnt(30)
	ds_write_b32 v71, v41 offset:264
	s_waitcnt vmcnt(29)
	ds_write_b32 v71, v42 offset:528
	s_waitcnt vmcnt(28)
	ds_write_b32 v71, v43 offset:792
	s_waitcnt vmcnt(27)
	ds_write_b32 v71, v46 offset:1056
	s_waitcnt vmcnt(26)
	ds_write_b32 v71, v47 offset:1320
	s_waitcnt vmcnt(25)
	ds_write_b32 v71, v48 offset:1584
	s_waitcnt vmcnt(24)
	ds_write_b32 v71, v49 offset:1848
	s_waitcnt vmcnt(23)
	ds_write_b32 v71, v50 offset:2112
	s_waitcnt vmcnt(22)
	ds_write_b32 v71, v51 offset:2376
	s_waitcnt vmcnt(21)
	ds_write_b32 v71, v52 offset:2640
	s_waitcnt vmcnt(20)
	ds_write_b32 v71, v53 offset:2904
	s_waitcnt vmcnt(19)
	ds_write_b32 v71, v54 offset:3168
	s_waitcnt vmcnt(18)
	ds_write_b32 v71, v55 offset:3432
	s_waitcnt vmcnt(17)
	ds_write_b32 v71, v56 offset:3696
	s_waitcnt vmcnt(16)
	ds_write_b32 v71, v57 offset:3960
	ds_read_b64 v[52:53], v72
	ds_read_b64 v[48:49], v72 offset:32
	ds_read_b64 v[46:47], v72 offset:64
	ds_read_b64 v[42:43], v72 offset:96
	;; [unrolled: 40-line block ×3, first 2 shown]
	ds_read_b64 v[56:57], v72 offset:128
	ds_read_b64 v[54:55], v72 offset:160
	;; [unrolled: 1-line block ×4, first 2 shown]
	s_andn2_b64 vcc, exec, s[4:5]
	v_mov_b32_e32 v76, 0
	s_cbranch_vccnz .LBB84_9
; %bb.7:                                ;   in Loop: Header=BB84_6 Depth=1
	s_load_dword vcc_lo, s[34:35], 0x0
	v_mov_b32_e32 v76, 0
	s_waitcnt lgkmcnt(0)
	s_mul_hi_u32 vcc_hi, vcc_lo, s16
	s_add_i32 vcc_hi, vcc_lo, vcc_hi
	s_lshr_b32 s79, vcc_hi, s17
	s_cmp_ge_i32 s79, s13
	s_cbranch_scc1 .LBB84_9
; %bb.8:                                ;   in Loop: Header=BB84_6 Depth=1
	s_mul_i32 vcc_hi, s79, s18
	s_sub_i32 vcc_lo, vcc_lo, vcc_hi
	s_mul_i32 vcc_lo, vcc_lo, s1
	s_mul_i32 s79, s79, s20
	s_add_i32 s79, s79, vcc_lo
	v_add_u32_e32 v76, s79, v70
	v_ashrrev_i32_e32 v77, 31, v76
	v_lshlrev_b64 v[76:77], 2, v[76:77]
	v_mov_b32_e32 v78, s11
	v_add_co_u32_e32 v76, vcc, s10, v76
	v_addc_co_u32_e32 v77, vcc, v78, v77, vcc
	global_load_dword v76, v[76:77], off
.LBB84_9:                               ;   in Loop: Header=BB84_6 Depth=1
	s_andn2_b64 vcc, exec, s[36:37]
	v_mov_b32_e32 v77, 0
	v_mov_b32_e32 v78, 0
	s_cbranch_vccnz .LBB84_12
; %bb.10:                               ;   in Loop: Header=BB84_6 Depth=1
	s_load_dword vcc_lo, s[34:35], 0x4
	v_mov_b32_e32 v78, 0
	s_waitcnt lgkmcnt(0)
	s_mul_hi_u32 s79, vcc_lo, s16
	s_add_i32 s79, vcc_lo, s79
	s_lshr_b32 vcc_hi, s79, s17
	s_cmp_ge_i32 vcc_hi, s13
	s_cbranch_scc1 .LBB84_12
; %bb.11:                               ;   in Loop: Header=BB84_6 Depth=1
	s_mul_i32 s79, vcc_hi, s18
	s_sub_i32 s79, vcc_lo, s79
	s_mul_i32 s79, s79, s1
	s_mul_i32 vcc_lo, vcc_hi, s20
	s_add_i32 vcc_lo, vcc_lo, s79
	v_add_u32_e32 v78, vcc_lo, v70
	v_ashrrev_i32_e32 v79, 31, v78
	v_lshlrev_b64 v[78:79], 2, v[78:79]
	v_mov_b32_e32 v80, s11
	v_add_co_u32_e32 v78, vcc, s10, v78
	v_addc_co_u32_e32 v79, vcc, v80, v79, vcc
	global_load_dword v78, v[78:79], off
.LBB84_12:                              ;   in Loop: Header=BB84_6 Depth=1
	s_andn2_b64 vcc, exec, s[38:39]
	s_cbranch_vccnz .LBB84_15
; %bb.13:                               ;   in Loop: Header=BB84_6 Depth=1
	s_load_dword vcc_lo, s[34:35], 0x8
	v_mov_b32_e32 v77, 0
	s_waitcnt lgkmcnt(0)
	s_mul_hi_u32 s79, vcc_lo, s16
	s_add_i32 s79, vcc_lo, s79
	s_lshr_b32 vcc_hi, s79, s17
	s_cmp_ge_i32 vcc_hi, s13
	s_cbranch_scc1 .LBB84_15
; %bb.14:                               ;   in Loop: Header=BB84_6 Depth=1
	s_mul_i32 s79, vcc_hi, s18
	s_sub_i32 s79, vcc_lo, s79
	s_mul_i32 s79, s79, s1
	s_mul_i32 vcc_lo, vcc_hi, s20
	s_add_i32 vcc_lo, vcc_lo, s79
	v_add_u32_e32 v80, vcc_lo, v70
	v_ashrrev_i32_e32 v81, 31, v80
	v_lshlrev_b64 v[80:81], 2, v[80:81]
	v_mov_b32_e32 v77, s11
	v_add_co_u32_e32 v80, vcc, s10, v80
	v_addc_co_u32_e32 v81, vcc, v77, v81, vcc
	global_load_dword v77, v[80:81], off
.LBB84_15:                              ;   in Loop: Header=BB84_6 Depth=1
	s_andn2_b64 vcc, exec, s[40:41]
	v_mov_b32_e32 v79, 0
	v_mov_b32_e32 v80, 0
	s_cbranch_vccnz .LBB84_18
; %bb.16:                               ;   in Loop: Header=BB84_6 Depth=1
	s_load_dword vcc_lo, s[34:35], 0xc
	v_mov_b32_e32 v80, 0
	s_waitcnt lgkmcnt(0)
	s_mul_hi_u32 s79, vcc_lo, s16
	s_add_i32 s79, vcc_lo, s79
	s_lshr_b32 vcc_hi, s79, s17
	s_cmp_ge_i32 vcc_hi, s13
	s_cbranch_scc1 .LBB84_18
; %bb.17:                               ;   in Loop: Header=BB84_6 Depth=1
	s_mul_i32 s79, vcc_hi, s18
	s_sub_i32 s79, vcc_lo, s79
	s_mul_i32 s79, s79, s1
	s_mul_i32 vcc_lo, vcc_hi, s20
	s_add_i32 vcc_lo, vcc_lo, s79
	v_add_u32_e32 v80, vcc_lo, v70
	v_ashrrev_i32_e32 v81, 31, v80
	v_lshlrev_b64 v[80:81], 2, v[80:81]
	v_mov_b32_e32 v82, s11
	v_add_co_u32_e32 v80, vcc, s10, v80
	v_addc_co_u32_e32 v81, vcc, v82, v81, vcc
	global_load_dword v80, v[80:81], off
.LBB84_18:                              ;   in Loop: Header=BB84_6 Depth=1
	s_andn2_b64 vcc, exec, s[42:43]
	s_cbranch_vccnz .LBB84_21
; %bb.19:                               ;   in Loop: Header=BB84_6 Depth=1
	s_load_dword vcc_lo, s[34:35], 0x10
	v_mov_b32_e32 v79, 0
	s_waitcnt lgkmcnt(0)
	s_mul_hi_u32 s79, vcc_lo, s16
	s_add_i32 s79, vcc_lo, s79
	s_lshr_b32 vcc_hi, s79, s17
	s_cmp_ge_i32 vcc_hi, s13
	s_cbranch_scc1 .LBB84_21
; %bb.20:                               ;   in Loop: Header=BB84_6 Depth=1
	s_mul_i32 s79, vcc_hi, s18
	s_sub_i32 s79, vcc_lo, s79
	s_mul_i32 s79, s79, s1
	s_mul_i32 vcc_lo, vcc_hi, s20
	s_add_i32 vcc_lo, vcc_lo, s79
	v_add_u32_e32 v82, vcc_lo, v70
	v_ashrrev_i32_e32 v83, 31, v82
	v_lshlrev_b64 v[82:83], 2, v[82:83]
	v_mov_b32_e32 v79, s11
	v_add_co_u32_e32 v82, vcc, s10, v82
	v_addc_co_u32_e32 v83, vcc, v79, v83, vcc
	global_load_dword v79, v[82:83], off
.LBB84_21:                              ;   in Loop: Header=BB84_6 Depth=1
	;; [unrolled: 52-line block ×5, first 2 shown]
	s_andn2_b64 vcc, exec, s[56:57]
	v_mov_b32_e32 v87, 0
	v_mov_b32_e32 v88, 0
	s_cbranch_vccnz .LBB84_42
; %bb.40:                               ;   in Loop: Header=BB84_6 Depth=1
	s_load_dword vcc_lo, s[34:35], 0x2c
	v_mov_b32_e32 v88, 0
	s_waitcnt lgkmcnt(0)
	s_mul_hi_u32 s79, vcc_lo, s16
	s_add_i32 s79, vcc_lo, s79
	s_lshr_b32 vcc_hi, s79, s17
	s_cmp_ge_i32 vcc_hi, s13
	s_cbranch_scc1 .LBB84_42
; %bb.41:                               ;   in Loop: Header=BB84_6 Depth=1
	s_mul_i32 s79, vcc_hi, s18
	s_sub_i32 s79, vcc_lo, s79
	s_mul_i32 s79, s79, s1
	s_mul_i32 vcc_lo, vcc_hi, s20
	s_add_i32 vcc_lo, vcc_lo, s79
	v_add_u32_e32 v88, vcc_lo, v70
	v_ashrrev_i32_e32 v89, 31, v88
	v_lshlrev_b64 v[88:89], 2, v[88:89]
	v_mov_b32_e32 v90, s11
	v_add_co_u32_e32 v88, vcc, s10, v88
	v_addc_co_u32_e32 v89, vcc, v90, v89, vcc
	global_load_dword v88, v[88:89], off
.LBB84_42:                              ;   in Loop: Header=BB84_6 Depth=1
	s_andn2_b64 vcc, exec, s[58:59]
	s_cbranch_vccnz .LBB84_5
; %bb.43:                               ;   in Loop: Header=BB84_6 Depth=1
	s_load_dword vcc_lo, s[34:35], 0x30
	v_mov_b32_e32 v87, 0
	s_waitcnt lgkmcnt(0)
	s_mul_hi_u32 s79, vcc_lo, s16
	s_add_i32 s79, vcc_lo, s79
	s_lshr_b32 vcc_hi, s79, s17
	s_cmp_ge_i32 vcc_hi, s13
	s_cbranch_scc1 .LBB84_5
; %bb.44:                               ;   in Loop: Header=BB84_6 Depth=1
	s_mul_i32 s79, vcc_hi, s18
	s_sub_i32 s79, vcc_lo, s79
	s_mul_i32 s79, s79, s1
	s_mul_i32 vcc_lo, vcc_hi, s20
	s_add_i32 vcc_lo, vcc_lo, s79
	v_add_u32_e32 v90, vcc_lo, v70
	v_ashrrev_i32_e32 v91, 31, v90
	v_lshlrev_b64 v[90:91], 2, v[90:91]
	v_mov_b32_e32 v87, s11
	v_add_co_u32_e32 v90, vcc, s10, v90
	v_addc_co_u32_e32 v91, vcc, v87, v91, vcc
	global_load_dword v87, v[90:91], off
	s_branch .LBB84_5
.LBB84_45:
	s_or_b64 exec, exec, s[8:9]
	v_readlane_b32 s24, v92, 6
	v_readlane_b32 s26, v92, 9
	;; [unrolled: 1-line block ×5, first 2 shown]
.LBB84_46:
	v_readlane_b32 s0, v92, 4
	v_readlane_b32 s1, v92, 5
	s_or_b64 exec, exec, s[0:1]
	s_lshl_b64 s[0:1], s[26:27], 2
	v_readlane_b32 s4, v92, 0
	v_mul_u32_u24_e32 v0, 0x408, v69
	v_lshlrev_b32_e32 v1, 2, v68
	v_or_b32_e32 v2, 12, v67
	v_readlane_b32 s5, v92, 1
	s_add_u32 s3, s4, s0
	v_add3_u32 v0, 0, v0, v1
	v_and_b32_e32 v1, 0x3f0, v67
	v_and_b32_e32 v2, 0x3fc, v2
	s_addc_u32 s8, s5, s1
	v_add_u32_e32 v1, v0, v1
	v_add_u32_e32 v0, v0, v2
	s_barrier
	ds_write2_b32 v1, a0, a1 offset1:1
	ds_write_b32 v1, a2 offset:8
	ds_write_b32 v0, a3
	ds_write2_b32 v1, a4, a5 offset0:16 offset1:17
	ds_write_b32 v1, a6 offset:72
	ds_write_b32 v0, a7 offset:64
	ds_write2_b32 v1, a8, a9 offset0:32 offset1:33
	ds_write_b32 v1, a10 offset:136
	ds_write_b32 v0, a11 offset:128
	ds_write2_b32 v1, a12, a13 offset0:48 offset1:49
	ds_write_b32 v1, a14 offset:200
	ds_write_b32 v0, a15 offset:192
	s_cmp_gt_i32 s14, 0
	v_add_u32_e32 v0, s6, v66
	s_cselect_b64 s[4:5], -1, 0
	v_cmp_gt_i32_e64 s[0:1], s33, v0
	v_cmp_gt_u32_e32 vcc, 13, v66
	s_and_b64 s[0:1], s[4:5], s[0:1]
	v_lshl_add_u32 v5, v67, 2, 0
	v_add_u32_e32 v4, s7, v67
	v_mul_u32_u24_e32 v6, 0x408, v66
	s_and_b64 s[10:11], vcc, s[0:1]
	s_waitcnt lgkmcnt(0)
	s_barrier
	s_and_saveexec_b64 s[0:1], s[10:11]
	s_cbranch_execz .LBB84_49
; %bb.47:
	v_ashrrev_i32_e32 v1, 31, v0
	v_lshlrev_b64 v[2:3], 2, v[0:1]
	v_mov_b32_e32 v1, s8
	v_add_co_u32_e32 v2, vcc, s3, v2
	v_addc_co_u32_e32 v3, vcc, v1, v3, vcc
	global_load_dword v2, v[2:3], off
	s_waitcnt vmcnt(0)
	v_mul_hi_u32 v1, v2, s19
	v_add_u32_e32 v1, v2, v1
	v_lshrrev_b32_e32 v1, s24, v1
	v_cmp_gt_i32_e32 vcc, s13, v1
	s_and_b64 exec, exec, vcc
	s_cbranch_execz .LBB84_49
; %bb.48:
	v_add_u32_e32 v3, v5, v6
	ds_read2st64_b32 v[8:9], v3 offset1:1
	ds_read2st64_b32 v[10:11], v3 offset0:2 offset1:3
	v_mul_lo_u32 v7, v1, s25
	v_sub_u32_e32 v2, v2, v7
	v_mul_lo_u32 v2, v2, s2
	s_waitcnt lgkmcnt(1)
	v_add_f32_e32 v3, 0, v8
	v_add_f32_e32 v3, v3, v9
	s_waitcnt lgkmcnt(0)
	v_add_f32_e32 v3, v3, v10
	v_mul_lo_u32 v1, v1, s21
	v_add_f32_e32 v7, v3, v11
	v_add3_u32 v2, v4, v1, v2
	v_mov_b32_e32 v3, 0
	v_readlane_b32 s10, v92, 2
	v_lshlrev_b64 v[2:3], 2, v[2:3]
	v_readlane_b32 s11, v92, 3
	v_mov_b32_e32 v1, s11
	v_add_co_u32_e32 v2, vcc, s10, v2
	v_addc_co_u32_e32 v3, vcc, v1, v3, vcc
	global_store_dword v[2:3], v7, off
.LBB84_49:
	s_or_b64 exec, exec, s[0:1]
	v_add_u32_e32 v1, 4, v0
	v_cmp_gt_i32_e64 s[0:1], s33, v1
	v_cmp_gt_u32_e32 vcc, 9, v66
	s_and_b64 s[0:1], s[4:5], s[0:1]
	s_and_b64 s[10:11], vcc, s[0:1]
	s_and_saveexec_b64 s[0:1], s[10:11]
	s_cbranch_execz .LBB84_52
; %bb.50:
	s_ashr_i32 s7, s6, 31
	v_mov_b32_e32 v1, s7
	v_add_co_u32_e32 v2, vcc, s6, v66
	v_addc_co_u32_e32 v3, vcc, 0, v1, vcc
	v_lshlrev_b64 v[2:3], 2, v[2:3]
	v_mov_b32_e32 v1, s8
	v_add_co_u32_e32 v2, vcc, s3, v2
	v_addc_co_u32_e32 v3, vcc, v1, v3, vcc
	global_load_dword v2, v[2:3], off offset:16
	v_mov_b32_e32 v3, 0
	s_waitcnt vmcnt(0)
	v_mul_hi_u32 v1, v2, s19
	v_add_u32_e32 v1, v2, v1
	v_lshrrev_b32_e32 v1, s24, v1
	v_cmp_gt_i32_e32 vcc, s13, v1
	s_and_b64 exec, exec, vcc
	s_cbranch_execz .LBB84_52
; %bb.51:
	v_add_u32_e32 v7, v6, v5
	v_add_u32_e32 v7, 32, v7
	ds_read2st64_b32 v[8:9], v7 offset0:16 offset1:17
	ds_read2st64_b32 v[10:11], v7 offset0:18 offset1:19
	v_mul_lo_u32 v12, v1, s25
	v_sub_u32_e32 v2, v2, v12
	v_mul_lo_u32 v2, v2, s2
	v_mul_lo_u32 v1, v1, s21
	s_waitcnt lgkmcnt(1)
	v_add_f32_e32 v7, 0, v8
	v_add3_u32 v2, v4, v1, v2
	v_readlane_b32 s10, v92, 2
	v_add_f32_e32 v7, v7, v9
	v_lshlrev_b64 v[2:3], 2, v[2:3]
	v_readlane_b32 s11, v92, 3
	s_waitcnt lgkmcnt(0)
	v_add_f32_e32 v7, v7, v10
	v_mov_b32_e32 v1, s11
	v_add_co_u32_e32 v2, vcc, s10, v2
	v_add_f32_e32 v7, v7, v11
	v_addc_co_u32_e32 v3, vcc, v1, v3, vcc
	global_store_dword v[2:3], v7, off
.LBB84_52:
	s_or_b64 exec, exec, s[0:1]
	v_add_u32_e32 v0, 8, v0
	v_cmp_gt_i32_e64 s[0:1], s33, v0
	v_cmp_gt_u32_e32 vcc, 5, v66
	s_and_b64 s[0:1], s[4:5], s[0:1]
	s_and_b64 s[10:11], vcc, s[0:1]
	s_and_saveexec_b64 s[0:1], s[10:11]
	s_cbranch_execz .LBB84_55
; %bb.53:
	s_ashr_i32 s7, s6, 31
	v_mov_b32_e32 v1, s7
	v_add_co_u32_e32 v0, vcc, s6, v66
	v_addc_co_u32_e32 v1, vcc, 0, v1, vcc
	v_lshlrev_b64 v[0:1], 2, v[0:1]
	v_mov_b32_e32 v2, s8
	v_add_co_u32_e32 v0, vcc, s3, v0
	v_addc_co_u32_e32 v1, vcc, v2, v1, vcc
	global_load_dword v2, v[0:1], off offset:32
	v_mov_b32_e32 v1, 0
	s_waitcnt vmcnt(0)
	v_mul_hi_u32 v0, v2, s19
	v_add_u32_e32 v0, v2, v0
	v_lshrrev_b32_e32 v0, s24, v0
	v_cmp_gt_i32_e32 vcc, s13, v0
	s_and_b64 exec, exec, vcc
	s_cbranch_execz .LBB84_55
; %bb.54:
	v_add_u32_e32 v3, v5, v6
	v_add_u32_e32 v3, 64, v3
	ds_read2st64_b32 v[6:7], v3 offset0:32 offset1:33
	ds_read2st64_b32 v[8:9], v3 offset0:34 offset1:35
	v_mul_lo_u32 v10, v0, s25
	v_sub_u32_e32 v2, v2, v10
	v_mul_lo_u32 v2, v2, s2
	v_mul_lo_u32 v0, v0, s21
	s_waitcnt lgkmcnt(1)
	v_add_f32_e32 v3, 0, v6
	v_add3_u32 v0, v4, v0, v2
	v_readlane_b32 s10, v92, 2
	v_add_f32_e32 v3, v3, v7
	v_lshlrev_b64 v[0:1], 2, v[0:1]
	v_readlane_b32 s11, v92, 3
	s_waitcnt lgkmcnt(0)
	v_add_f32_e32 v3, v3, v8
	v_mov_b32_e32 v2, s11
	v_add_co_u32_e32 v0, vcc, s10, v0
	v_add_f32_e32 v3, v3, v9
	v_addc_co_u32_e32 v1, vcc, v2, v1, vcc
	global_store_dword v[0:1], v3, off
.LBB84_55:
	s_or_b64 exec, exec, s[0:1]
	v_cmp_eq_u32_e32 vcc, 0, v66
	s_and_saveexec_b64 s[0:1], vcc
	s_cbranch_execz .LBB84_59
; %bb.56:
	s_add_i32 s0, s6, 12
	s_cmp_ge_i32 s0, s33
	s_cselect_b64 s[0:1], -1, 0
	s_xor_b64 s[4:5], s[4:5], -1
	s_or_b64 s[0:1], s[4:5], s[0:1]
	s_and_b64 vcc, exec, s[0:1]
	s_cbranch_vccnz .LBB84_59
; %bb.57:
	s_ashr_i32 s7, s6, 31
	s_lshl_b64 s[0:1], s[6:7], 2
	s_add_u32 s0, s3, s0
	s_addc_u32 s1, s8, s1
	s_load_dword s1, s[0:1], 0x30
	s_waitcnt lgkmcnt(0)
	s_mul_hi_u32 s0, s1, s19
	s_add_i32 s0, s1, s0
	s_lshr_b32 s0, s0, s24
	s_cmp_ge_i32 s0, s13
	s_cbranch_scc1 .LBB84_59
; %bb.58:
	v_add_u32_e32 v2, 0x60, v5
	ds_read2st64_b32 v[0:1], v2 offset0:48 offset1:49
	ds_read2st64_b32 v[2:3], v2 offset0:50 offset1:51
	s_mul_i32 s3, s0, s25
	s_sub_i32 s1, s1, s3
	s_mul_i32 s1, s1, s2
	s_waitcnt lgkmcnt(1)
	v_add_f32_e32 v0, 0, v0
	v_add_f32_e32 v0, v0, v1
	s_mul_i32 s0, s0, s21
	s_waitcnt lgkmcnt(0)
	v_add_f32_e32 v0, v0, v2
	s_add_i32 s1, s1, s0
	v_add_f32_e32 v2, v0, v3
	v_add_u32_e32 v0, s1, v4
	v_mov_b32_e32 v1, 0
	v_readlane_b32 s0, v92, 2
	v_lshlrev_b64 v[0:1], 2, v[0:1]
	v_readlane_b32 s1, v92, 3
	v_mov_b32_e32 v3, s1
	v_add_co_u32_e32 v0, vcc, s0, v0
	v_addc_co_u32_e32 v1, vcc, v3, v1, vcc
	global_store_dword v[0:1], v2, off
.LBB84_59:
	s_endpgm
	.section	.rodata,"a",@progbits
	.p2align	6, 0x0
	.amdhsa_kernel _ZL13mul_mat_f_idsIfLi64ELi13ELi4EEvPKT_PKfPKiS6_S6_Pfiiiiiiiiiiiiii15HIP_vector_typeIjLj3EES9_
		.amdhsa_group_segment_fixed_size 0
		.amdhsa_private_segment_fixed_size 0
		.amdhsa_kernarg_size 128
		.amdhsa_user_sgpr_count 6
		.amdhsa_user_sgpr_private_segment_buffer 1
		.amdhsa_user_sgpr_dispatch_ptr 0
		.amdhsa_user_sgpr_queue_ptr 0
		.amdhsa_user_sgpr_kernarg_segment_ptr 1
		.amdhsa_user_sgpr_dispatch_id 0
		.amdhsa_user_sgpr_flat_scratch_init 0
		.amdhsa_user_sgpr_kernarg_preload_length 0
		.amdhsa_user_sgpr_kernarg_preload_offset 0
		.amdhsa_user_sgpr_private_segment_size 0
		.amdhsa_uses_dynamic_stack 0
		.amdhsa_system_sgpr_private_segment_wavefront_offset 0
		.amdhsa_system_sgpr_workgroup_id_x 1
		.amdhsa_system_sgpr_workgroup_id_y 1
		.amdhsa_system_sgpr_workgroup_id_z 1
		.amdhsa_system_sgpr_workgroup_info 0
		.amdhsa_system_vgpr_workitem_id 1
		.amdhsa_next_free_vgpr 112
		.amdhsa_next_free_sgpr 96
		.amdhsa_accum_offset 96
		.amdhsa_reserve_vcc 1
		.amdhsa_reserve_flat_scratch 0
		.amdhsa_float_round_mode_32 0
		.amdhsa_float_round_mode_16_64 0
		.amdhsa_float_denorm_mode_32 3
		.amdhsa_float_denorm_mode_16_64 3
		.amdhsa_dx10_clamp 1
		.amdhsa_ieee_mode 1
		.amdhsa_fp16_overflow 0
		.amdhsa_tg_split 0
		.amdhsa_exception_fp_ieee_invalid_op 0
		.amdhsa_exception_fp_denorm_src 0
		.amdhsa_exception_fp_ieee_div_zero 0
		.amdhsa_exception_fp_ieee_overflow 0
		.amdhsa_exception_fp_ieee_underflow 0
		.amdhsa_exception_fp_ieee_inexact 0
		.amdhsa_exception_int_div_zero 0
	.end_amdhsa_kernel
	.section	.text._ZL13mul_mat_f_idsIfLi64ELi13ELi4EEvPKT_PKfPKiS6_S6_Pfiiiiiiiiiiiiii15HIP_vector_typeIjLj3EES9_,"axG",@progbits,_ZL13mul_mat_f_idsIfLi64ELi13ELi4EEvPKT_PKfPKiS6_S6_Pfiiiiiiiiiiiiii15HIP_vector_typeIjLj3EES9_,comdat
.Lfunc_end84:
	.size	_ZL13mul_mat_f_idsIfLi64ELi13ELi4EEvPKT_PKfPKiS6_S6_Pfiiiiiiiiiiiiii15HIP_vector_typeIjLj3EES9_, .Lfunc_end84-_ZL13mul_mat_f_idsIfLi64ELi13ELi4EEvPKT_PKfPKiS6_S6_Pfiiiiiiiiiiiiii15HIP_vector_typeIjLj3EES9_
                                        ; -- End function
	.section	.AMDGPU.csdata,"",@progbits
; Kernel info:
; codeLenInByte = 7712
; NumSgprs: 100
; NumVgprs: 93
; NumAgprs: 16
; TotalNumVgprs: 112
; ScratchSize: 0
; MemoryBound: 0
; FloatMode: 240
; IeeeMode: 1
; LDSByteSize: 0 bytes/workgroup (compile time only)
; SGPRBlocks: 12
; VGPRBlocks: 13
; NumSGPRsForWavesPerEU: 100
; NumVGPRsForWavesPerEU: 112
; AccumOffset: 96
; Occupancy: 4
; WaveLimiterHint : 1
; COMPUTE_PGM_RSRC2:SCRATCH_EN: 0
; COMPUTE_PGM_RSRC2:USER_SGPR: 6
; COMPUTE_PGM_RSRC2:TRAP_HANDLER: 0
; COMPUTE_PGM_RSRC2:TGID_X_EN: 1
; COMPUTE_PGM_RSRC2:TGID_Y_EN: 1
; COMPUTE_PGM_RSRC2:TGID_Z_EN: 1
; COMPUTE_PGM_RSRC2:TIDIG_COMP_CNT: 1
; COMPUTE_PGM_RSRC3_GFX90A:ACCUM_OFFSET: 23
; COMPUTE_PGM_RSRC3_GFX90A:TG_SPLIT: 0
	.section	.text._ZL9mul_mat_fIfLi64ELi13ELi4ELb1EEvPKT_PKfPKiPfiiiiiiiiiiiiiiii,"axG",@progbits,_ZL9mul_mat_fIfLi64ELi13ELi4ELb1EEvPKT_PKfPKiPfiiiiiiiiiiiiiiii,comdat
	.globl	_ZL9mul_mat_fIfLi64ELi13ELi4ELb1EEvPKT_PKfPKiPfiiiiiiiiiiiiiiii ; -- Begin function _ZL9mul_mat_fIfLi64ELi13ELi4ELb1EEvPKT_PKfPKiPfiiiiiiiiiiiiiiii
	.p2align	8
	.type	_ZL9mul_mat_fIfLi64ELi13ELi4ELb1EEvPKT_PKfPKiPfiiiiiiiiiiiiiiii,@function
_ZL9mul_mat_fIfLi64ELi13ELi4ELb1EEvPKT_PKfPKiPfiiiiiiiiiiiiiiii: ; @_ZL9mul_mat_fIfLi64ELi13ELi4ELb1EEvPKT_PKfPKiPfiiiiiiiiiiiiiiii
; %bb.0:
	s_load_dwordx8 s[20:27], s[4:5], 0x20
	v_bfe_u32 v68, v0, 10, 10
	s_waitcnt lgkmcnt(0)
	s_add_i32 s0, s21, 12
	s_mul_hi_i32 s0, s0, 0x4ec4ec4f
	s_lshr_b32 s1, s0, 31
	s_ashr_i32 s0, s0, 2
	s_add_i32 s0, s0, s1
	v_cvt_f32_u32_e32 v1, s0
	s_load_dwordx4 s[28:31], s[4:5], 0x44
	s_load_dword s1, s[4:5], 0x64
	s_add_u32 s34, s4, 0x60
	s_addc_u32 s35, s5, 0
	v_rcp_iflag_f32_e32 v1, v1
	s_sub_i32 s2, 0, s0
	v_mul_f32_e32 v1, 0x4f7ffffe, v1
	v_cvt_u32_f32_e32 v1, v1
	v_readfirstlane_b32 s3, v1
	s_mul_i32 s2, s2, s3
	s_mul_hi_u32 s2, s3, s2
	s_add_i32 s3, s3, s2
	s_waitcnt lgkmcnt(0)
	s_mul_hi_u32 s2, s1, s3
	s_mul_i32 s3, s2, s0
	s_sub_i32 s1, s1, s3
	s_add_i32 s9, s2, 1
	s_sub_i32 s3, s1, s0
	s_cmp_ge_u32 s1, s0
	s_cselect_b32 s2, s9, s2
	s_cselect_b32 s1, s3, s1
	s_add_i32 s3, s2, 1
	s_cmp_ge_u32 s1, s0
	s_cselect_b32 s10, s3, s2
	v_cvt_f32_u32_e32 v1, s10
	s_abs_i32 s42, s31
	v_cvt_f32_u32_e32 v2, s42
	s_load_dwordx2 s[0:1], s[4:5], 0x10
	v_rcp_iflag_f32_e32 v1, v1
	s_sub_i32 s2, 0, s10
	v_rcp_iflag_f32_e32 v2, v2
	v_mul_f32_e32 v1, 0x4f7ffffe, v1
	v_cvt_u32_f32_e32 v1, v1
	v_mul_f32_e32 v2, 0x4f7ffffe, v2
	v_cvt_u32_f32_e32 v3, v2
	v_and_b32_e32 v2, 0x3ff, v0
	v_readfirstlane_b32 s3, v1
	s_mul_i32 s2, s2, s3
	s_mul_hi_u32 s2, s3, s2
	s_add_i32 s3, s3, s2
	v_readfirstlane_b32 s9, v3
	s_mul_hi_u32 s11, s7, s3
	v_cmp_eq_u32_e32 vcc, 0, v2
	s_and_saveexec_b64 s[2:3], vcc
	s_cbranch_execz .LBB85_2
; %bb.1:
	v_mov_b32_e32 v1, 0x100
	v_lshl_add_u32 v1, v68, 2, v1
	v_mov_b32_e32 v3, -1
	ds_write_b32 v1, v3
.LBB85_2:
	s_or_b64 exec, exec, s[2:3]
	s_mul_i32 s2, s11, s10
	s_sub_i32 s2, s7, s2
	s_add_i32 s3, s11, 1
	s_sub_i32 s12, s2, s10
	s_cmp_ge_u32 s2, s10
	s_cselect_b32 s3, s3, s11
	s_cselect_b32 s2, s12, s2
	s_add_i32 s11, s3, 1
	s_cmp_ge_u32 s2, s10
	s_cselect_b32 s2, s11, s3
	s_mul_i32 s3, s2, s10
	s_mul_i32 s54, s2, 13
	s_sub_i32 s7, s7, s3
	s_mul_hi_i32 s3, s54, s27
	s_mul_i32 s2, s54, s27
	s_lshl_b64 s[2:3], s[2:3], 2
	s_waitcnt lgkmcnt(0)
	s_add_u32 s0, s0, s2
	v_add_u32_e32 v1, s54, v68
	s_addc_u32 s1, s1, s3
	v_cmp_gt_i32_e64 s[10:11], s22, v2
	v_cmp_gt_i32_e64 s[44:45], s21, v1
	v_mov_b32_e32 v1, 0
	s_and_saveexec_b64 s[14:15], s[44:45]
	s_cbranch_execz .LBB85_10
; %bb.3:
	v_mov_b32_e32 v1, 0
	s_and_saveexec_b64 s[16:17], s[10:11]
	s_cbranch_execz .LBB85_9
; %bb.4:
	v_mul_lo_u32 v4, v68, s27
	v_ashrrev_i32_e32 v5, 31, v4
	v_lshlrev_b64 v[4:5], 2, v[4:5]
	v_mov_b32_e32 v1, s1
	v_add_co_u32_e64 v3, s[2:3], s0, v4
	v_addc_co_u32_e64 v6, s[2:3], v1, v5, s[2:3]
	v_mov_b32_e32 v1, 0x100
	v_lshl_add_u32 v7, v68, 2, v1
	v_mul_lo_u32 v4, v2, s26
	s_lshl_b32 s33, s26, 6
	s_mov_b64 s[18:19], 0
	v_mov_b32_e32 v1, 0
	v_mov_b32_e32 v8, v2
	s_branch .LBB85_6
.LBB85_5:                               ;   in Loop: Header=BB85_6 Depth=1
	s_or_b64 exec, exec, s[36:37]
	v_add_u32_e32 v8, 64, v8
	v_cmp_le_i32_e64 s[12:13], s22, v8
	s_xor_b64 s[2:3], s[2:3], -1
	s_or_b64 s[2:3], s[2:3], s[12:13]
	s_and_b64 s[2:3], exec, s[2:3]
	s_or_b64 s[18:19], s[2:3], s[18:19]
	v_add_u32_e32 v4, s33, v4
	s_andn2_b64 exec, exec, s[18:19]
	s_cbranch_execz .LBB85_8
.LBB85_6:                               ; =>This Inner Loop Header: Depth=1
	v_ashrrev_i32_e32 v5, 31, v4
	v_lshlrev_b64 v[10:11], 2, v[4:5]
	v_add_co_u32_e64 v10, s[2:3], v3, v10
	v_addc_co_u32_e64 v11, s[2:3], v6, v11, s[2:3]
	global_load_dword v5, v[10:11], off
	s_waitcnt vmcnt(0)
	v_cmp_ne_u32_e64 s[2:3], s7, v5
	v_cmp_eq_u32_e64 s[12:13], s7, v5
	s_and_saveexec_b64 s[36:37], s[12:13]
	s_cbranch_execz .LBB85_5
; %bb.7:                                ;   in Loop: Header=BB85_6 Depth=1
	v_mov_b32_e32 v1, 1
	ds_write_b32 v7, v8
	s_branch .LBB85_5
.LBB85_8:
	s_or_b64 exec, exec, s[18:19]
.LBB85_9:
	s_or_b64 exec, exec, s[16:17]
.LBB85_10:
	s_or_b64 exec, exec, s[14:15]
	s_and_saveexec_b64 s[2:3], vcc
	s_cbranch_execz .LBB85_12
; %bb.11:
	v_mov_b32_e32 v3, 0x100
	v_lshl_add_u32 v3, v68, 2, v3
	v_mov_b32_e32 v4, -1
	ds_write_b32 v3, v4 offset:16
.LBB85_12:
	s_or_b64 exec, exec, s[2:3]
	v_add_u32_e32 v69, 4, v68
	v_add_u32_e32 v3, s54, v69
	v_cmp_gt_i32_e64 s[2:3], s21, v3
	s_mov_b64 s[16:17], exec
                                        ; implicit-def: $vgpr88 : SGPR spill to VGPR lane
	v_writelane_b32 v88, s2, 0
	v_writelane_b32 v88, s3, 1
	s_and_b64 s[2:3], s[16:17], s[2:3]
	s_mov_b64 exec, s[2:3]
	s_cbranch_execz .LBB85_20
; %bb.13:
	s_and_saveexec_b64 s[18:19], s[10:11]
	s_cbranch_execz .LBB85_19
; %bb.14:
	v_mul_lo_u32 v4, v69, s27
	v_ashrrev_i32_e32 v5, 31, v4
	v_lshlrev_b64 v[4:5], 2, v[4:5]
	v_mov_b32_e32 v6, s1
	v_add_co_u32_e64 v3, s[12:13], s0, v4
	v_mov_b32_e32 v4, 0x100
	v_addc_co_u32_e64 v6, s[12:13], v6, v5, s[12:13]
	v_lshl_add_u32 v7, v68, 2, v4
	v_mul_lo_u32 v4, v2, s26
	s_lshl_b32 s2, s26, 6
	s_mov_b64 s[36:37], 0
	v_mov_b32_e32 v8, v2
	s_branch .LBB85_16
.LBB85_15:                              ;   in Loop: Header=BB85_16 Depth=1
	s_or_b64 exec, exec, s[38:39]
	v_add_u32_e32 v8, 64, v8
	v_cmp_le_i32_e64 s[14:15], s22, v8
	s_xor_b64 s[12:13], s[12:13], -1
	s_or_b64 s[12:13], s[12:13], s[14:15]
	s_and_b64 s[12:13], exec, s[12:13]
	s_or_b64 s[36:37], s[12:13], s[36:37]
	v_add_u32_e32 v4, s2, v4
	s_andn2_b64 exec, exec, s[36:37]
	s_cbranch_execz .LBB85_18
.LBB85_16:                              ; =>This Inner Loop Header: Depth=1
	v_ashrrev_i32_e32 v5, 31, v4
	v_lshlrev_b64 v[10:11], 2, v[4:5]
	v_add_co_u32_e64 v10, s[12:13], v3, v10
	v_addc_co_u32_e64 v11, s[12:13], v6, v11, s[12:13]
	global_load_dword v5, v[10:11], off
	s_waitcnt vmcnt(0)
	v_cmp_ne_u32_e64 s[12:13], s7, v5
	v_cmp_eq_u32_e64 s[14:15], s7, v5
	s_and_saveexec_b64 s[38:39], s[14:15]
	s_cbranch_execz .LBB85_15
; %bb.17:                               ;   in Loop: Header=BB85_16 Depth=1
	v_mov_b32_e32 v1, 1
	ds_write_b32 v7, v8 offset:16
	s_branch .LBB85_15
.LBB85_18:
	s_or_b64 exec, exec, s[36:37]
.LBB85_19:
	s_or_b64 exec, exec, s[18:19]
.LBB85_20:
	s_or_b64 exec, exec, s[16:17]
	s_sub_i32 s2, 0, s42
	s_and_saveexec_b64 s[12:13], vcc
	s_cbranch_execz .LBB85_22
; %bb.21:
	v_mov_b32_e32 v3, 0x100
	v_lshl_add_u32 v3, v68, 2, v3
	v_mov_b32_e32 v4, -1
	ds_write_b32 v3, v4 offset:32
.LBB85_22:
	s_or_b64 exec, exec, s[12:13]
	v_add_u32_e32 v70, 8, v68
	s_mul_i32 s2, s2, s9
	v_add_u32_e32 v3, s54, v70
	v_cmp_gt_i32_e64 s[12:13], s21, v3
	s_mov_b64 s[18:19], exec
	v_writelane_b32 v88, s12, 2
	v_writelane_b32 v88, s13, 3
	s_and_b64 s[12:13], s[18:19], s[12:13]
	s_mov_b64 exec, s[12:13]
	s_cbranch_execz .LBB85_30
; %bb.23:
	s_and_saveexec_b64 s[36:37], s[10:11]
	s_cbranch_execz .LBB85_29
; %bb.24:
	v_mul_lo_u32 v4, v70, s27
	v_ashrrev_i32_e32 v5, 31, v4
	v_lshlrev_b64 v[4:5], 2, v[4:5]
	v_mov_b32_e32 v6, s1
	v_add_co_u32_e64 v3, s[14:15], s0, v4
	v_mov_b32_e32 v4, 0x100
	v_addc_co_u32_e64 v6, s[14:15], v6, v5, s[14:15]
	v_lshl_add_u32 v7, v68, 2, v4
	v_mul_lo_u32 v4, v2, s26
	s_lshl_b32 s3, s26, 6
	s_mov_b64 s[38:39], 0
	v_mov_b32_e32 v8, v2
	s_branch .LBB85_26
.LBB85_25:                              ;   in Loop: Header=BB85_26 Depth=1
	s_or_b64 exec, exec, s[40:41]
	v_add_u32_e32 v8, 64, v8
	v_cmp_le_i32_e64 s[16:17], s22, v8
	s_xor_b64 s[12:13], s[14:15], -1
	s_or_b64 s[12:13], s[12:13], s[16:17]
	s_and_b64 s[12:13], exec, s[12:13]
	s_or_b64 s[38:39], s[12:13], s[38:39]
	v_add_u32_e32 v4, s3, v4
	s_andn2_b64 exec, exec, s[38:39]
	s_cbranch_execz .LBB85_28
.LBB85_26:                              ; =>This Inner Loop Header: Depth=1
	v_ashrrev_i32_e32 v5, 31, v4
	v_lshlrev_b64 v[10:11], 2, v[4:5]
	v_add_co_u32_e64 v10, s[14:15], v3, v10
	v_addc_co_u32_e64 v11, s[14:15], v6, v11, s[14:15]
	global_load_dword v5, v[10:11], off
	s_waitcnt vmcnt(0)
	v_cmp_ne_u32_e64 s[14:15], s7, v5
	v_cmp_eq_u32_e64 s[16:17], s7, v5
	s_and_saveexec_b64 s[40:41], s[16:17]
	s_cbranch_execz .LBB85_25
; %bb.27:                               ;   in Loop: Header=BB85_26 Depth=1
	v_mov_b32_e32 v1, 1
	ds_write_b32 v7, v8 offset:32
	s_branch .LBB85_25
.LBB85_28:
	s_or_b64 exec, exec, s[38:39]
.LBB85_29:
	s_or_b64 exec, exec, s[36:37]
.LBB85_30:
	s_or_b64 exec, exec, s[18:19]
	s_mul_hi_u32 s3, s9, s2
	s_and_saveexec_b64 s[14:15], vcc
	s_cbranch_execz .LBB85_32
; %bb.31:
	v_mov_b32_e32 v3, 0x100
	v_lshl_add_u32 v3, v68, 2, v3
	v_mov_b32_e32 v4, -1
	ds_write_b32 v3, v4 offset:48
.LBB85_32:
	s_or_b64 exec, exec, s[14:15]
	s_load_dwordx4 s[16:19], s[4:5], 0x54
	v_add_u32_e32 v71, 12, v68
	s_abs_i32 s2, s8
	s_add_i32 s9, s9, s3
	v_add_u32_e32 v3, s54, v71
	v_cmp_gt_i32_e64 s[12:13], s21, v3
	s_mov_b64 s[36:37], exec
	v_writelane_b32 v88, s12, 4
	v_writelane_b32 v88, s13, 5
	s_and_b64 s[12:13], s[36:37], s[12:13]
	s_mov_b64 exec, s[12:13]
	s_cbranch_execz .LBB85_40
; %bb.33:
	s_and_saveexec_b64 s[38:39], s[10:11]
	s_cbranch_execz .LBB85_39
; %bb.34:
	v_mul_lo_u32 v4, v71, s27
	v_ashrrev_i32_e32 v5, 31, v4
	v_lshlrev_b64 v[4:5], 2, v[4:5]
	v_mov_b32_e32 v6, s1
	v_add_co_u32_e32 v3, vcc, s0, v4
	v_mov_b32_e32 v4, 0x100
	v_addc_co_u32_e32 v6, vcc, v6, v5, vcc
	v_lshl_add_u32 v7, v68, 2, v4
	v_mul_lo_u32 v4, v2, s26
	s_lshl_b32 s0, s26, 6
	s_mov_b64 s[26:27], 0
	v_mov_b32_e32 v8, v2
	s_branch .LBB85_36
.LBB85_35:                              ;   in Loop: Header=BB85_36 Depth=1
	s_or_b64 exec, exec, s[40:41]
	v_add_u32_e32 v8, 64, v8
	v_cmp_le_i32_e64 s[10:11], s22, v8
	s_xor_b64 s[12:13], vcc, -1
	s_or_b64 s[10:11], s[12:13], s[10:11]
	s_and_b64 s[10:11], exec, s[10:11]
	s_or_b64 s[26:27], s[10:11], s[26:27]
	v_add_u32_e32 v4, s0, v4
	s_andn2_b64 exec, exec, s[26:27]
	s_cbranch_execz .LBB85_38
.LBB85_36:                              ; =>This Inner Loop Header: Depth=1
	v_ashrrev_i32_e32 v5, 31, v4
	v_lshlrev_b64 v[10:11], 2, v[4:5]
	v_add_co_u32_e32 v10, vcc, v3, v10
	v_addc_co_u32_e32 v11, vcc, v6, v11, vcc
	global_load_dword v5, v[10:11], off
	s_waitcnt vmcnt(0)
	v_cmp_ne_u32_e32 vcc, s7, v5
	v_cmp_eq_u32_e64 s[10:11], s7, v5
	s_and_saveexec_b64 s[40:41], s[10:11]
	s_cbranch_execz .LBB85_35
; %bb.37:                               ;   in Loop: Header=BB85_36 Depth=1
	v_mov_b32_e32 v1, 1
	ds_write_b32 v7, v8 offset:48
	s_branch .LBB85_35
.LBB85_38:
	s_or_b64 exec, exec, s[26:27]
.LBB85_39:
	s_or_b64 exec, exec, s[38:39]
.LBB85_40:
	s_or_b64 exec, exec, s[36:37]
	s_load_dwordx2 s[10:11], s[34:35], 0xc
	s_load_dwordx4 s[36:39], s[4:5], 0x0
	s_load_dwordx2 s[0:1], s[4:5], 0x18
	v_cmp_ne_u32_e32 vcc, 0, v1
	v_cndmask_b32_e64 v1, 0, 1, vcc
                                        ; kill: killed $sgpr4 killed $sgpr5
	s_waitcnt lgkmcnt(0)
	s_lshr_b32 s4, s10, 16
	s_and_b32 s3, s10, 0xffff
	v_or_b32_dpp v1, v1, v1 row_shl:1 row_mask:0xf bank_mask:0xf bound_ctrl:1
	v_writelane_b32 v88, s0, 6
	s_mul_i32 s5, s4, s3
	v_or_b32_dpp v1, v1, v1 row_shl:2 row_mask:0xf bank_mask:0xf bound_ctrl:1
	v_writelane_b32 v88, s1, 7
	s_and_b32 s1, s11, 0xffff
	v_or_b32_dpp v1, v1, v1 row_shl:4 row_mask:0xf bank_mask:0xf bound_ctrl:1
	s_bfe_i32 s5, s5, 0x180000
	s_mul_i32 s1, s5, s1
	v_or_b32_dpp v1, v1, v1 row_shl:8 row_mask:0xf bank_mask:0xf bound_ctrl:1
	s_add_i32 s5, s1, 63
	s_bitcmp1_b32 exec_hi, 0
	v_mov_b32_dpp v3, v1 wave_shl:1 row_mask:0xf bank_mask:0xf bound_ctrl:1
	s_mul_hi_u32 s0, s2, s9
                                        ; kill: killed $sgpr34 killed $sgpr35
	s_nop 0
	v_or_b32_dpp v1, v3, v1 row_mirror row_mask:0xf bank_mask:0xf bound_ctrl:1
	v_readlane_b32 s1, v1, 32
	s_cselect_b32 s1, s1, 0
	v_readlane_b32 s9, v1, 0
	s_or_b32 s1, s1, s9
	s_andn2_b32 s5, s5, 63
	s_cmp_lg_u32 s5, 64
	v_mov_b32_e32 v1, s1
	s_cbranch_scc0 .LBB85_47
; %bb.41:
	v_mbcnt_lo_u32_b32 v1, -1, 0
	v_bfe_u32 v0, v0, 20, 10
	v_mbcnt_hi_u32_b32 v3, -1, v1
	v_mad_u32_u24 v0, v0, s4, v68
	v_mad_u64_u32 v[0:1], s[4:5], v0, s3, v[2:3]
	v_lshrrev_b32_e32 v1, 6, v0
	v_or_b32_e32 v1, v3, v1
	v_cmp_eq_u32_e32 vcc, 0, v1
	s_and_saveexec_b64 s[4:5], vcc
	s_cbranch_execz .LBB85_43
; %bb.42:
	v_mov_b32_e32 v1, 0
	v_mov_b32_e32 v4, s1
	ds_write_b32 v1, v4
.LBB85_43:
	s_or_b64 exec, exec, s[4:5]
	v_cmp_eq_u32_e32 vcc, 0, v3
	v_cmp_lt_u32_e64 s[4:5], 63, v0
	s_and_b64 s[10:11], s[4:5], vcc
	s_waitcnt lgkmcnt(0)
	s_barrier
	s_and_saveexec_b64 s[4:5], s[10:11]
	s_cbranch_execz .LBB85_46
; %bb.44:
	v_mbcnt_lo_u32_b32 v0, exec_lo, 0
	v_mbcnt_hi_u32_b32 v0, exec_hi, v0
	v_cmp_eq_u32_e32 vcc, 0, v0
	s_and_b64 exec, exec, vcc
	s_cbranch_execz .LBB85_46
; %bb.45:
	v_mov_b32_e32 v0, 0
	v_mov_b32_e32 v1, s1
	ds_or_b32 v0, v1
.LBB85_46:
	s_or_b64 exec, exec, s[4:5]
	v_mov_b32_e32 v0, 0
	s_waitcnt lgkmcnt(0)
	s_barrier
	ds_read_b32 v1, v0
	s_waitcnt lgkmcnt(0)
	s_barrier
.LBB85_47:
	v_cmp_ne_u32_e32 vcc, 0, v1
	s_ashr_i32 s1, s8, 31
	s_ashr_i32 s3, s31, 31
	s_cbranch_vccz .LBB85_121
; %bb.48:
	v_lshlrev_b32_e32 v3, 6, v68
	v_add_u32_e32 v73, v3, v2
	v_cmp_le_i32_e32 vcc, s20, v73
	v_and_b32_e32 v72, 15, v2
                                        ; implicit-def: $sgpr9
	s_and_saveexec_b64 s[4:5], vcc
	s_xor_b64 s[4:5], exec, s[4:5]
; %bb.49:
	v_and_b32_e32 v72, 15, v2
	s_mov_b32 s9, 0
                                        ; implicit-def: $vgpr73
; %bb.50:
	s_or_saveexec_b64 s[4:5], s[4:5]
	s_lshl_b32 s6, s6, 6
	v_accvgpr_write_b32 a0, s9
	v_accvgpr_write_b32 a1, s9
	;; [unrolled: 1-line block ×16, first 2 shown]
	v_writelane_b32 v88, s4, 8
	v_writelane_b32 v88, s5, 9
	s_xor_b64 exec, exec, s[4:5]
	s_cbranch_execz .LBB85_106
; %bb.51:
	s_xor_b32 s1, s1, s3
	s_mul_i32 s3, s0, s42
	s_sub_i32 s2, s2, s3
	s_add_i32 s3, s0, 1
	s_sub_i32 s4, s2, s42
	s_cmp_ge_u32 s2, s42
	s_cselect_b32 s0, s3, s0
	s_cselect_b32 s2, s4, s2
	s_add_i32 s3, s0, 1
	s_cmp_ge_u32 s2, s42
	s_cselect_b32 s0, s3, s0
	s_xor_b32 s0, s0, s1
	s_sub_i32 s0, s0, s1
	s_mul_hi_i32 s1, s0, s16
	s_mul_i32 s0, s0, s16
	s_mul_i32 s2, s7, s28
	v_writelane_b32 v88, s44, 10
	s_ashr_i32 s3, s2, 31
	s_lshl_b64 s[0:1], s[0:1], 2
	v_writelane_b32 v88, s45, 11
	s_add_u32 s5, s36, s0
	v_writelane_b32 v88, s6, 12
	s_mul_i32 s4, s6, s23
	s_addc_u32 s6, s37, s1
	s_lshl_b64 s[2:3], s[2:3], 2
	s_add_u32 s7, s5, s2
	s_addc_u32 s6, s6, s3
	s_ashr_i32 s5, s4, 31
	s_lshl_b64 s[4:5], s[4:5], 2
	s_add_u32 s28, s7, s4
	s_addc_u32 s10, s6, s5
	s_movk_i32 s6, 0x1080
	v_mov_b32_e32 v74, 0x100
	v_writelane_b32 v88, s8, 13
	v_mad_u32_u24 v0, v68, s6, v74
	s_mul_hi_i32 s7, s17, s8
	v_writelane_b32 v88, s16, 14
	s_mul_i32 s6, s17, s8
	s_lshl_b64 s[6:7], s[6:7], 2
	s_mul_hi_i32 s9, s54, s24
	s_mul_i32 s8, s54, s24
	s_add_u32 s11, s38, s6
	s_addc_u32 s12, s39, s7
	s_lshl_b64 s[6:7], s[8:9], 2
	s_add_u32 s31, s11, s6
	s_addc_u32 s33, s12, s7
	s_cmp_lt_i32 s54, s21
	v_writelane_b32 v88, s17, 15
	s_cselect_b64 s[6:7], -1, 0
	s_add_i32 s8, s54, 1
	v_writelane_b32 v88, s18, 16
	s_cmp_lt_i32 s8, s21
	v_writelane_b32 v88, s19, 17
	s_cselect_b64 s[16:17], -1, 0
	s_add_i32 s8, s54, 2
	s_cmp_lt_i32 s8, s21
	s_cselect_b64 s[26:27], -1, 0
	s_lshl_b32 s8, s24, 1
	v_writelane_b32 v88, s8, 18
	s_add_i32 s8, s54, 3
	s_cmp_lt_i32 s8, s21
	s_cselect_b64 s[34:35], -1, 0
	s_add_i32 s8, s54, 4
	s_cmp_lt_i32 s8, s21
	s_cselect_b64 s[38:39], -1, 0
	s_lshl_b32 s8, s24, 2
	v_writelane_b32 v88, s8, 19
	s_add_i32 s8, s54, 5
	s_cmp_lt_i32 s8, s21
	s_cselect_b64 s[40:41], -1, 0
	s_add_i32 s8, s54, 6
	s_cmp_lt_i32 s8, s21
	s_cselect_b64 s[42:43], -1, 0
	;; [unrolled: 3-line block ×4, first 2 shown]
	s_lshl_b32 s8, s24, 3
	v_writelane_b32 v88, s8, 20
	s_add_i32 s8, s54, 9
	s_cmp_lt_i32 s8, s21
	s_cselect_b64 s[48:49], -1, 0
	s_add_i32 s8, s54, 10
	s_cmp_lt_i32 s8, s21
	s_cselect_b64 s[50:51], -1, 0
	;; [unrolled: 3-line block ×3, first 2 shown]
	s_add_i32 s8, s54, 12
	s_cmp_lt_i32 s8, s21
	v_writelane_b32 v88, s54, 21
	s_cselect_b64 s[54:55], -1, 0
	s_ashr_i32 s9, s23, 31
	s_mov_b32 s8, s23
	s_lshl_b64 s[56:57], s[8:9], 2
	s_add_u32 s0, s0, s4
	s_addc_u32 s1, s1, s5
	v_lshrrev_b32_e32 v4, 1, v2
	s_add_u32 s0, s0, s2
	v_mul_u32_u24_e32 v1, 0x108, v72
	v_and_b32_e32 v4, 0x1f8, v4
	s_addc_u32 s1, s1, s3
	v_lshl_add_u32 v75, v2, 2, v0
	v_add3_u32 v76, v0, v1, v4
	v_lshlrev_b32_e32 v0, 2, v73
	s_add_u32 s0, s36, s0
	v_add_co_u32_e32 v0, vcc, s0, v0
	s_mul_i32 s0, s23, 3
	v_writelane_b32 v88, s0, 22
	s_mul_i32 s0, s23, 5
	s_addc_u32 s1, s37, s1
	v_writelane_b32 v88, s0, 23
	s_mul_i32 s0, s23, 6
	v_mov_b32_e32 v1, s1
	v_writelane_b32 v88, s0, 24
	s_mul_i32 s0, s23, 7
	v_mov_b32_e32 v77, 0
	v_addc_co_u32_e32 v1, vcc, 0, v1, vcc
	s_lshl_b32 s36, s23, 1
	s_lshl_b32 s68, s23, 2
	v_writelane_b32 v88, s0, 25
	s_lshl_b32 s72, s23, 3
	s_mul_i32 s73, s23, 9
	s_mul_i32 s74, s23, 10
	;; [unrolled: 1-line block ×7, first 2 shown]
	s_lshl_b32 s80, s23, 4
	s_mul_i32 s81, s23, 17
	v_mov_b32_e32 v78, s10
	s_mul_i32 s82, s23, 18
	v_accvgpr_write_b32 a15, 0
	v_accvgpr_write_b32 a14, 0
	;; [unrolled: 1-line block ×16, first 2 shown]
	v_mov_b32_e32 v79, s57
	s_mul_i32 s57, s23, 19
	s_mul_i32 s83, s23, 20
	;; [unrolled: 1-line block ×13, first 2 shown]
	s_lshl_b32 s95, s23, 5
	s_mul_i32 s10, s23, 33
	s_mul_i32 s11, s23, 34
	;; [unrolled: 1-line block ×31, first 2 shown]
	s_mov_b64 s[22:23], 0
	s_branch .LBB85_54
.LBB85_52:                              ;   in Loop: Header=BB85_54 Depth=1
	v_mul_lo_u32 v80, v80, s29
	s_mul_i32 vcc_lo, s24, 12
	v_add_u32_e32 v80, vcc_lo, v80
	v_add_u32_e32 v80, v80, v73
	v_ashrrev_i32_e32 v81, 31, v80
	v_lshlrev_b64 v[80:81], 2, v[80:81]
	v_mov_b32_e32 v82, s33
	v_add_co_u32_e32 v80, vcc, s31, v80
	v_addc_co_u32_e32 v81, vcc, v82, v81, vcc
	global_load_dword v80, v[80:81], off
.LBB85_53:                              ;   in Loop: Header=BB85_54 Depth=1
	v_add_u32_e32 v81, 0xc00, v75
	s_waitcnt vmcnt(0)
	ds_write2_b32 v81, v80, v77 offset0:40 offset1:106
	ds_write2_b32 v81, v77, v77 offset0:172 offset1:238
	ds_read2_b64 v[80:83], v76 offset0:8 offset1:12
	v_add_co_u32_e32 v0, vcc, 0x400, v0
	v_add_u32_e32 v73, 0x100, v73
	v_addc_co_u32_e32 v1, vcc, 0, v1, vcc
	s_waitcnt lgkmcnt(0)
	v_mfma_f32_16x16x4f32 a[12:15], v30, v80, a[12:15]
	v_cmp_le_i32_e32 vcc, s20, v73
	s_or_b64 s[22:23], vcc, s[22:23]
	v_mfma_f32_16x16x4f32 a[8:11], v46, v80, a[8:11]
	v_mfma_f32_16x16x4f32 a[4:7], v54, v80, a[4:7]
	;; [unrolled: 1-line block ×15, first 2 shown]
	ds_read2_b64 v[64:67], v76 offset0:16 offset1:20
	s_waitcnt lgkmcnt(0)
	v_mfma_f32_16x16x4f32 a[12:15], v18, v64, a[12:15]
	v_mfma_f32_16x16x4f32 a[8:11], v36, v64, a[8:11]
	;; [unrolled: 1-line block ×14, first 2 shown]
	ds_read2_b64 v[30:33], v76 offset0:24 offset1:28
	v_mfma_f32_16x16x4f32 a[4:7], v45, v67, a[4:7]
	v_mfma_f32_16x16x4f32 a[0:3], v61, v67, a[0:3]
	s_waitcnt lgkmcnt(0)
	v_mfma_f32_16x16x4f32 a[12:15], v12, v30, a[12:15]
	v_mfma_f32_16x16x4f32 a[8:11], v26, v30, a[8:11]
	;; [unrolled: 1-line block ×5, first 2 shown]
	ds_read2_b64 v[12:15], v76 offset0:32 offset1:36
	v_mfma_f32_16x16x4f32 a[8:11], v27, v31, a[8:11]
	v_mfma_f32_16x16x4f32 a[4:7], v39, v31, a[4:7]
	v_mfma_f32_16x16x4f32 a[0:3], v59, v31, a[0:3]
	v_mfma_f32_16x16x4f32 a[12:15], v8, v32, a[12:15]
	v_mfma_f32_16x16x4f32 a[8:11], v20, v32, a[8:11]
	v_mfma_f32_16x16x4f32 a[4:7], v34, v32, a[4:7]
	v_mfma_f32_16x16x4f32 a[0:3], v56, v32, a[0:3]
	v_mfma_f32_16x16x4f32 a[12:15], v9, v33, a[12:15]
	v_mfma_f32_16x16x4f32 a[8:11], v21, v33, a[8:11]
	v_mfma_f32_16x16x4f32 a[4:7], v35, v33, a[4:7]
	v_mfma_f32_16x16x4f32 a[0:3], v57, v33, a[0:3]
	s_waitcnt lgkmcnt(0)
	v_mfma_f32_16x16x4f32 a[12:15], v6, v12, a[12:15]
	v_mfma_f32_16x16x4f32 a[8:11], v16, v12, a[8:11]
	;; [unrolled: 1-line block ×16, first 2 shown]
	s_andn2_b64 exec, exec, s[22:23]
	s_cbranch_execz .LBB85_105
.LBB85_54:                              ; =>This Inner Loop Header: Depth=1
	v_add_co_u32_e32 v4, vcc, s56, v0
	v_addc_co_u32_e32 v5, vcc, v1, v79, vcc
	global_load_dword v20, v[0:1], off
	global_load_dword v21, v[4:5], off
	v_add_u32_e32 v4, s36, v73
	v_ashrrev_i32_e32 v5, 31, v4
	v_lshlrev_b64 v[4:5], 2, v[4:5]
	v_add_co_u32_e32 v4, vcc, s28, v4
	v_addc_co_u32_e32 v5, vcc, v78, v5, vcc
	v_readlane_b32 vcc_lo, v88, 22
	v_add_u32_e32 v6, vcc_lo, v73
	v_ashrrev_i32_e32 v7, 31, v6
	v_lshlrev_b64 v[6:7], 2, v[6:7]
	v_add_u32_e32 v8, s68, v73
	v_add_co_u32_e32 v6, vcc, s28, v6
	v_ashrrev_i32_e32 v9, 31, v8
	v_addc_co_u32_e32 v7, vcc, v78, v7, vcc
	v_lshlrev_b64 v[8:9], 2, v[8:9]
	v_add_co_u32_e32 v8, vcc, s28, v8
	v_addc_co_u32_e32 v9, vcc, v78, v9, vcc
	v_readlane_b32 vcc_lo, v88, 23
	v_add_u32_e32 v10, vcc_lo, v73
	v_ashrrev_i32_e32 v11, 31, v10
	v_lshlrev_b64 v[10:11], 2, v[10:11]
	v_add_co_u32_e32 v10, vcc, s28, v10
	v_addc_co_u32_e32 v11, vcc, v78, v11, vcc
	v_readlane_b32 vcc_lo, v88, 24
	v_add_u32_e32 v12, vcc_lo, v73
	v_ashrrev_i32_e32 v13, 31, v12
	;; [unrolled: 6-line block ×3, first 2 shown]
	v_lshlrev_b64 v[14:15], 2, v[14:15]
	v_add_u32_e32 v16, s72, v73
	v_add_co_u32_e32 v14, vcc, s28, v14
	v_ashrrev_i32_e32 v17, 31, v16
	v_addc_co_u32_e32 v15, vcc, v78, v15, vcc
	v_lshlrev_b64 v[16:17], 2, v[16:17]
	v_add_u32_e32 v18, s73, v73
	v_add_co_u32_e32 v16, vcc, s28, v16
	v_ashrrev_i32_e32 v19, 31, v18
	v_addc_co_u32_e32 v17, vcc, v78, v17, vcc
	v_lshlrev_b64 v[18:19], 2, v[18:19]
	v_add_co_u32_e32 v18, vcc, s28, v18
	v_addc_co_u32_e32 v19, vcc, v78, v19, vcc
	global_load_dword v22, v[4:5], off
	global_load_dword v23, v[6:7], off
	;; [unrolled: 1-line block ×6, first 2 shown]
	s_nop 0
	global_load_dword v16, v[16:17], off
	s_nop 0
	global_load_dword v17, v[18:19], off
	v_add_u32_e32 v4, s74, v73
	v_ashrrev_i32_e32 v5, 31, v4
	v_lshlrev_b64 v[4:5], 2, v[4:5]
	v_add_u32_e32 v6, s75, v73
	v_add_co_u32_e32 v4, vcc, s28, v4
	v_ashrrev_i32_e32 v7, 31, v6
	v_addc_co_u32_e32 v5, vcc, v78, v5, vcc
	v_lshlrev_b64 v[6:7], 2, v[6:7]
	v_add_u32_e32 v8, s76, v73
	v_add_co_u32_e32 v6, vcc, s28, v6
	v_ashrrev_i32_e32 v9, 31, v8
	v_addc_co_u32_e32 v7, vcc, v78, v7, vcc
	;; [unrolled: 5-line block ×5, first 2 shown]
	v_lshlrev_b64 v[14:15], 2, v[14:15]
	v_add_co_u32_e32 v14, vcc, s28, v14
	v_addc_co_u32_e32 v15, vcc, v78, v15, vcc
	global_load_dword v18, v[4:5], off
	global_load_dword v19, v[6:7], off
	s_nop 0
	global_load_dword v8, v[8:9], off
	s_nop 0
	;; [unrolled: 2-line block ×4, first 2 shown]
	global_load_dword v13, v[14:15], off
	v_add_u32_e32 v4, s80, v73
	v_ashrrev_i32_e32 v5, 31, v4
	v_lshlrev_b64 v[4:5], 2, v[4:5]
	v_add_u32_e32 v6, s81, v73
	v_add_co_u32_e32 v4, vcc, s28, v4
	v_ashrrev_i32_e32 v7, 31, v6
	v_addc_co_u32_e32 v5, vcc, v78, v5, vcc
	v_lshlrev_b64 v[6:7], 2, v[6:7]
	s_waitcnt vmcnt(15)
	ds_write_b32 v75, v20 offset:64
	s_waitcnt vmcnt(14)
	ds_write_b32 v75, v21 offset:328
	;; [unrolled: 2-line block ×10, first 2 shown]
	v_add_co_u32_e32 v6, vcc, s28, v6
	v_addc_co_u32_e32 v7, vcc, v78, v7, vcc
	global_load_dword v10, v[4:5], off
	global_load_dword v11, v[6:7], off
	v_add_u32_e32 v4, s82, v73
	v_ashrrev_i32_e32 v5, 31, v4
	v_lshlrev_b64 v[4:5], 2, v[4:5]
	v_add_u32_e32 v6, s57, v73
	v_add_co_u32_e32 v4, vcc, s28, v4
	v_ashrrev_i32_e32 v7, 31, v6
	s_waitcnt vmcnt(7)
	ds_write_b32 v75, v18 offset:2704
	s_waitcnt vmcnt(6)
	ds_write_b32 v75, v19 offset:2968
	;; [unrolled: 2-line block ×6, first 2 shown]
	v_addc_co_u32_e32 v5, vcc, v78, v5, vcc
	v_lshlrev_b64 v[6:7], 2, v[6:7]
	v_add_u32_e32 v8, s83, v73
	v_add_co_u32_e32 v6, vcc, s28, v6
	v_ashrrev_i32_e32 v9, 31, v8
	v_addc_co_u32_e32 v7, vcc, v78, v7, vcc
	v_lshlrev_b64 v[8:9], 2, v[8:9]
	v_add_u32_e32 v12, s84, v73
	v_add_co_u32_e32 v8, vcc, s28, v8
	v_ashrrev_i32_e32 v13, 31, v12
	v_addc_co_u32_e32 v9, vcc, v78, v9, vcc
	v_lshlrev_b64 v[12:13], 2, v[12:13]
	v_add_u32_e32 v14, s85, v73
	v_add_co_u32_e32 v12, vcc, s28, v12
	v_ashrrev_i32_e32 v15, 31, v14
	v_addc_co_u32_e32 v13, vcc, v78, v13, vcc
	v_lshlrev_b64 v[14:15], 2, v[14:15]
	v_add_u32_e32 v16, s86, v73
	v_add_co_u32_e32 v14, vcc, s28, v14
	v_ashrrev_i32_e32 v17, 31, v16
	v_addc_co_u32_e32 v15, vcc, v78, v15, vcc
	v_lshlrev_b64 v[16:17], 2, v[16:17]
	v_add_u32_e32 v18, s87, v73
	v_add_co_u32_e32 v16, vcc, s28, v16
	v_ashrrev_i32_e32 v19, 31, v18
	v_addc_co_u32_e32 v17, vcc, v78, v17, vcc
	v_lshlrev_b64 v[18:19], 2, v[18:19]
	v_add_u32_e32 v20, s88, v73
	v_add_co_u32_e32 v18, vcc, s28, v18
	v_ashrrev_i32_e32 v21, 31, v20
	v_addc_co_u32_e32 v19, vcc, v78, v19, vcc
	v_lshlrev_b64 v[20:21], 2, v[20:21]
	v_add_co_u32_e32 v20, vcc, s28, v20
	v_addc_co_u32_e32 v21, vcc, v78, v21, vcc
	global_load_dword v24, v[4:5], off
	global_load_dword v25, v[6:7], off
	global_load_dword v26, v[8:9], off
	global_load_dword v27, v[12:13], off
	global_load_dword v28, v[14:15], off
	global_load_dword v29, v[16:17], off
	global_load_dword v32, v[18:19], off
	global_load_dword v33, v[20:21], off
	v_add_u32_e32 v4, s89, v73
	v_ashrrev_i32_e32 v5, 31, v4
	v_lshlrev_b64 v[4:5], 2, v[4:5]
	v_add_u32_e32 v6, s90, v73
	v_add_co_u32_e32 v4, vcc, s28, v4
	v_ashrrev_i32_e32 v7, 31, v6
	v_addc_co_u32_e32 v5, vcc, v78, v5, vcc
	v_lshlrev_b64 v[6:7], 2, v[6:7]
	v_add_u32_e32 v8, s91, v73
	v_add_co_u32_e32 v6, vcc, s28, v6
	v_ashrrev_i32_e32 v9, 31, v8
	v_addc_co_u32_e32 v7, vcc, v78, v7, vcc
	v_lshlrev_b64 v[8:9], 2, v[8:9]
	v_add_u32_e32 v12, s92, v73
	v_add_co_u32_e32 v8, vcc, s28, v8
	v_ashrrev_i32_e32 v13, 31, v12
	v_addc_co_u32_e32 v9, vcc, v78, v9, vcc
	v_lshlrev_b64 v[12:13], 2, v[12:13]
	v_add_u32_e32 v14, s93, v73
	v_add_co_u32_e32 v12, vcc, s28, v12
	v_ashrrev_i32_e32 v15, 31, v14
	v_addc_co_u32_e32 v13, vcc, v78, v13, vcc
	v_lshlrev_b64 v[14:15], 2, v[14:15]
	v_add_u32_e32 v16, s94, v73
	v_add_co_u32_e32 v14, vcc, s28, v14
	v_ashrrev_i32_e32 v17, 31, v16
	v_addc_co_u32_e32 v15, vcc, v78, v15, vcc
	v_lshlrev_b64 v[16:17], 2, v[16:17]
	v_add_u32_e32 v18, s95, v73
	v_add_co_u32_e32 v16, vcc, s28, v16
	v_ashrrev_i32_e32 v19, 31, v18
	v_addc_co_u32_e32 v17, vcc, v78, v17, vcc
	v_lshlrev_b64 v[18:19], 2, v[18:19]
	v_add_u32_e32 v20, s10, v73
	v_add_co_u32_e32 v18, vcc, s28, v18
	v_ashrrev_i32_e32 v21, 31, v20
	v_addc_co_u32_e32 v19, vcc, v78, v19, vcc
	v_lshlrev_b64 v[20:21], 2, v[20:21]
	v_add_co_u32_e32 v20, vcc, s28, v20
	v_addc_co_u32_e32 v21, vcc, v78, v21, vcc
	global_load_dword v34, v[4:5], off
	global_load_dword v35, v[6:7], off
	global_load_dword v36, v[8:9], off
	global_load_dword v37, v[12:13], off
	global_load_dword v38, v[14:15], off
	global_load_dword v39, v[16:17], off
	global_load_dword v42, v[18:19], off
	global_load_dword v43, v[20:21], off
	v_add_u32_e32 v4, s11, v73
	v_ashrrev_i32_e32 v5, 31, v4
	v_lshlrev_b64 v[4:5], 2, v[4:5]
	v_add_u32_e32 v6, s19, v73
	v_add_co_u32_e32 v4, vcc, s28, v4
	v_ashrrev_i32_e32 v7, 31, v6
	v_addc_co_u32_e32 v5, vcc, v78, v5, vcc
	v_lshlrev_b64 v[6:7], 2, v[6:7]
	v_add_u32_e32 v8, s18, v73
	v_add_co_u32_e32 v6, vcc, s28, v6
	v_ashrrev_i32_e32 v9, 31, v8
	v_addc_co_u32_e32 v7, vcc, v78, v7, vcc
	v_lshlrev_b64 v[8:9], 2, v[8:9]
	v_add_u32_e32 v12, s59, v73
	v_add_co_u32_e32 v8, vcc, s28, v8
	v_ashrrev_i32_e32 v13, 31, v12
	v_addc_co_u32_e32 v9, vcc, v78, v9, vcc
	v_lshlrev_b64 v[12:13], 2, v[12:13]
	v_add_u32_e32 v14, s61, v73
	v_add_co_u32_e32 v12, vcc, s28, v12
	v_ashrrev_i32_e32 v15, 31, v14
	v_addc_co_u32_e32 v13, vcc, v78, v13, vcc
	v_lshlrev_b64 v[14:15], 2, v[14:15]
	v_add_u32_e32 v16, s62, v73
	v_add_co_u32_e32 v14, vcc, s28, v14
	v_ashrrev_i32_e32 v17, 31, v16
	v_addc_co_u32_e32 v15, vcc, v78, v15, vcc
	v_lshlrev_b64 v[16:17], 2, v[16:17]
	v_add_u32_e32 v18, s63, v73
	v_add_co_u32_e32 v16, vcc, s28, v16
	v_ashrrev_i32_e32 v19, 31, v18
	v_addc_co_u32_e32 v17, vcc, v78, v17, vcc
	v_lshlrev_b64 v[18:19], 2, v[18:19]
	v_add_u32_e32 v20, s65, v73
	v_add_co_u32_e32 v18, vcc, s28, v18
	v_ashrrev_i32_e32 v21, 31, v20
	v_addc_co_u32_e32 v19, vcc, v78, v19, vcc
	v_lshlrev_b64 v[20:21], 2, v[20:21]
	v_add_co_u32_e32 v20, vcc, s28, v20
	v_addc_co_u32_e32 v21, vcc, v78, v21, vcc
	global_load_dword v44, v[4:5], off
	global_load_dword v45, v[6:7], off
	global_load_dword v48, v[8:9], off
	global_load_dword v49, v[12:13], off
	global_load_dword v50, v[14:15], off
	global_load_dword v51, v[16:17], off
	global_load_dword v52, v[18:19], off
	global_load_dword v53, v[20:21], off
	v_add_u32_e32 v4, s4, v73
	v_ashrrev_i32_e32 v5, 31, v4
	v_lshlrev_b64 v[4:5], 2, v[4:5]
	v_add_u32_e32 v6, s5, v73
	v_add_co_u32_e32 v4, vcc, s28, v4
	v_ashrrev_i32_e32 v7, 31, v6
	v_addc_co_u32_e32 v5, vcc, v78, v5, vcc
	v_lshlrev_b64 v[6:7], 2, v[6:7]
	v_add_u32_e32 v8, s66, v73
	v_add_co_u32_e32 v6, vcc, s28, v6
	v_ashrrev_i32_e32 v9, 31, v8
	v_addc_co_u32_e32 v7, vcc, v78, v7, vcc
	v_lshlrev_b64 v[8:9], 2, v[8:9]
	v_add_u32_e32 v12, s14, v73
	v_add_co_u32_e32 v8, vcc, s28, v8
	v_ashrrev_i32_e32 v13, 31, v12
	v_addc_co_u32_e32 v9, vcc, v78, v9, vcc
	v_lshlrev_b64 v[12:13], 2, v[12:13]
	v_add_u32_e32 v14, s15, v73
	v_add_co_u32_e32 v12, vcc, s28, v12
	v_ashrrev_i32_e32 v15, 31, v14
	v_addc_co_u32_e32 v13, vcc, v78, v13, vcc
	v_lshlrev_b64 v[14:15], 2, v[14:15]
	v_add_u32_e32 v16, s67, v73
	v_add_co_u32_e32 v14, vcc, s28, v14
	v_ashrrev_i32_e32 v17, 31, v16
	v_addc_co_u32_e32 v15, vcc, v78, v15, vcc
	v_lshlrev_b64 v[16:17], 2, v[16:17]
	v_add_u32_e32 v18, s21, v73
	v_add_co_u32_e32 v16, vcc, s28, v16
	v_ashrrev_i32_e32 v19, 31, v18
	v_addc_co_u32_e32 v17, vcc, v78, v17, vcc
	v_lshlrev_b64 v[18:19], 2, v[18:19]
	v_add_u32_e32 v20, s0, v73
	v_add_co_u32_e32 v18, vcc, s28, v18
	v_ashrrev_i32_e32 v21, 31, v20
	v_addc_co_u32_e32 v19, vcc, v78, v19, vcc
	v_lshlrev_b64 v[20:21], 2, v[20:21]
	v_add_co_u32_e32 v20, vcc, s28, v20
	v_addc_co_u32_e32 v21, vcc, v78, v21, vcc
	global_load_dword v54, v[4:5], off
	global_load_dword v55, v[6:7], off
	global_load_dword v56, v[8:9], off
	global_load_dword v57, v[12:13], off
	global_load_dword v58, v[14:15], off
	global_load_dword v59, v[16:17], off
	global_load_dword v60, v[18:19], off
	global_load_dword v61, v[20:21], off
	v_add_u32_e32 v4, s1, v73
	v_ashrrev_i32_e32 v5, 31, v4
	v_lshlrev_b64 v[4:5], 2, v[4:5]
	v_add_u32_e32 v6, s2, v73
	v_add_co_u32_e32 v4, vcc, s28, v4
	v_ashrrev_i32_e32 v7, 31, v6
	v_addc_co_u32_e32 v5, vcc, v78, v5, vcc
	v_lshlrev_b64 v[6:7], 2, v[6:7]
	v_add_u32_e32 v8, s3, v73
	v_add_co_u32_e32 v6, vcc, s28, v6
	v_ashrrev_i32_e32 v9, 31, v8
	v_addc_co_u32_e32 v7, vcc, v78, v7, vcc
	v_lshlrev_b64 v[8:9], 2, v[8:9]
	v_add_u32_e32 v12, s12, v73
	v_add_co_u32_e32 v8, vcc, s28, v8
	v_ashrrev_i32_e32 v13, 31, v12
	v_addc_co_u32_e32 v9, vcc, v78, v9, vcc
	v_lshlrev_b64 v[12:13], 2, v[12:13]
	v_add_u32_e32 v14, s13, v73
	v_add_co_u32_e32 v12, vcc, s28, v12
	v_ashrrev_i32_e32 v15, 31, v14
	v_addc_co_u32_e32 v13, vcc, v78, v13, vcc
	v_lshlrev_b64 v[14:15], 2, v[14:15]
	v_add_u32_e32 v16, s58, v73
	v_add_co_u32_e32 v14, vcc, s28, v14
	v_ashrrev_i32_e32 v17, 31, v16
	v_addc_co_u32_e32 v15, vcc, v78, v15, vcc
	v_lshlrev_b64 v[16:17], 2, v[16:17]
	v_add_u32_e32 v18, s8, v73
	v_add_co_u32_e32 v16, vcc, s28, v16
	v_ashrrev_i32_e32 v19, 31, v18
	v_addc_co_u32_e32 v17, vcc, v78, v17, vcc
	v_lshlrev_b64 v[18:19], 2, v[18:19]
	v_add_u32_e32 v20, s60, v73
	v_add_co_u32_e32 v18, vcc, s28, v18
	v_ashrrev_i32_e32 v21, 31, v20
	v_addc_co_u32_e32 v19, vcc, v78, v19, vcc
	v_lshlrev_b64 v[20:21], 2, v[20:21]
	v_add_co_u32_e32 v20, vcc, s28, v20
	v_addc_co_u32_e32 v21, vcc, v78, v21, vcc
	global_load_dword v62, v[4:5], off
	global_load_dword v63, v[6:7], off
	global_load_dword v64, v[8:9], off
	global_load_dword v65, v[12:13], off
	global_load_dword v66, v[14:15], off
	global_load_dword v67, v[16:17], off
	global_load_dword v80, v[18:19], off
	global_load_dword v81, v[20:21], off
	v_add_u32_e32 v4, s64, v73
	v_ashrrev_i32_e32 v5, 31, v4
	v_lshlrev_b64 v[4:5], 2, v[4:5]
	v_add_u32_e32 v6, s9, v73
	v_add_co_u32_e32 v4, vcc, s28, v4
	v_ashrrev_i32_e32 v7, 31, v6
	v_addc_co_u32_e32 v5, vcc, v78, v5, vcc
	v_lshlrev_b64 v[6:7], 2, v[6:7]
	v_add_u32_e32 v8, s37, v73
	v_add_co_u32_e32 v6, vcc, s28, v6
	v_ashrrev_i32_e32 v9, 31, v8
	v_addc_co_u32_e32 v7, vcc, v78, v7, vcc
	v_lshlrev_b64 v[8:9], 2, v[8:9]
	v_add_u32_e32 v12, s69, v73
	v_add_co_u32_e32 v8, vcc, s28, v8
	v_ashrrev_i32_e32 v13, 31, v12
	;; [unrolled: 5-line block ×3, first 2 shown]
	v_addc_co_u32_e32 v13, vcc, v78, v13, vcc
	v_lshlrev_b64 v[14:15], 2, v[14:15]
	v_add_co_u32_e32 v16, vcc, s28, v14
	v_add_u32_e32 v14, s71, v73
	v_addc_co_u32_e32 v17, vcc, v78, v15, vcc
	v_ashrrev_i32_e32 v15, 31, v14
	v_lshlrev_b64 v[14:15], 2, v[14:15]
	v_add_co_u32_e32 v20, vcc, s28, v14
	v_addc_co_u32_e32 v21, vcc, v78, v15, vcc
	ds_read_b64 v[30:31], v76 offset:64
	ds_read_b64 v[22:23], v76 offset:96
	;; [unrolled: 1-line block ×4, first 2 shown]
	global_load_dword v82, v[4:5], off
	global_load_dword v83, v[6:7], off
	;; [unrolled: 1-line block ×6, first 2 shown]
	ds_read_b64 v[12:13], v76 offset:192
	ds_read_b64 v[8:9], v76 offset:224
	ds_read_b64 v[6:7], v76 offset:256
	ds_read_b64 v[4:5], v76 offset:288
	s_waitcnt vmcnt(47)
	ds_write_b32 v75, v10 offset:64
	s_waitcnt vmcnt(46)
	ds_write_b32 v75, v11 offset:328
	s_waitcnt vmcnt(45)
	ds_write_b32 v75, v24 offset:592
	s_waitcnt vmcnt(44)
	ds_write_b32 v75, v25 offset:856
	s_waitcnt vmcnt(43)
	ds_write_b32 v75, v26 offset:1120
	s_waitcnt vmcnt(42)
	ds_write_b32 v75, v27 offset:1384
	s_waitcnt vmcnt(41)
	ds_write_b32 v75, v28 offset:1648
	s_waitcnt vmcnt(40)
	ds_write_b32 v75, v29 offset:1912
	s_waitcnt vmcnt(39)
	ds_write_b32 v75, v32 offset:2176
	s_waitcnt vmcnt(38)
	ds_write_b32 v75, v33 offset:2440
	s_waitcnt vmcnt(37)
	ds_write_b32 v75, v34 offset:2704
	s_waitcnt vmcnt(36)
	ds_write_b32 v75, v35 offset:2968
	s_waitcnt vmcnt(35)
	ds_write_b32 v75, v36 offset:3232
	s_waitcnt vmcnt(34)
	ds_write_b32 v75, v37 offset:3496
	s_waitcnt vmcnt(33)
	ds_write_b32 v75, v38 offset:3760
	s_waitcnt vmcnt(32)
	ds_write_b32 v75, v39 offset:4024
	ds_read_b64 v[46:47], v76 offset:64
	ds_read_b64 v[40:41], v76 offset:96
	ds_read_b64 v[36:37], v76 offset:128
	ds_read_b64 v[32:33], v76 offset:160
	ds_read_b64 v[26:27], v76 offset:192
	ds_read_b64 v[20:21], v76 offset:224
	ds_read_b64 v[16:17], v76 offset:256
	ds_read_b64 v[10:11], v76 offset:288
	s_waitcnt vmcnt(31)
	ds_write_b32 v75, v42 offset:64
	s_waitcnt vmcnt(30)
	ds_write_b32 v75, v43 offset:328
	s_waitcnt vmcnt(29)
	ds_write_b32 v75, v44 offset:592
	s_waitcnt vmcnt(28)
	ds_write_b32 v75, v45 offset:856
	s_waitcnt vmcnt(27)
	ds_write_b32 v75, v48 offset:1120
	s_waitcnt vmcnt(26)
	ds_write_b32 v75, v49 offset:1384
	s_waitcnt vmcnt(25)
	ds_write_b32 v75, v50 offset:1648
	s_waitcnt vmcnt(24)
	ds_write_b32 v75, v51 offset:1912
	s_waitcnt vmcnt(23)
	ds_write_b32 v75, v52 offset:2176
	s_waitcnt vmcnt(22)
	ds_write_b32 v75, v53 offset:2440
	s_waitcnt vmcnt(21)
	ds_write_b32 v75, v54 offset:2704
	s_waitcnt vmcnt(20)
	ds_write_b32 v75, v55 offset:2968
	s_waitcnt vmcnt(19)
	ds_write_b32 v75, v56 offset:3232
	s_waitcnt vmcnt(18)
	ds_write_b32 v75, v57 offset:3496
	s_waitcnt vmcnt(17)
	ds_write_b32 v75, v58 offset:3760
	s_waitcnt vmcnt(16)
	ds_write_b32 v75, v59 offset:4024
	ds_read_b64 v[54:55], v76 offset:64
	ds_read_b64 v[50:51], v76 offset:96
	ds_read_b64 v[48:49], v76 offset:128
	ds_read_b64 v[44:45], v76 offset:160
	;; [unrolled: 40-line block ×3, first 2 shown]
	ds_read_b64 v[58:59], v76 offset:192
	ds_read_b64 v[56:57], v76 offset:224
	;; [unrolled: 1-line block ×4, first 2 shown]
	s_andn2_b64 vcc, exec, s[6:7]
	v_mov_b32_e32 v80, 0
	s_cbranch_vccnz .LBB85_58
; %bb.55:                               ;   in Loop: Header=BB85_54 Depth=1
	ds_read_b32 v80, v74
	s_waitcnt lgkmcnt(0)
	v_cmp_gt_i32_e32 vcc, 0, v80
	s_cbranch_vccnz .LBB85_57
; %bb.56:                               ;   in Loop: Header=BB85_54 Depth=1
	v_mul_lo_u32 v80, v80, s29
	v_add_u32_e32 v80, v73, v80
	v_ashrrev_i32_e32 v81, 31, v80
	v_lshlrev_b64 v[80:81], 2, v[80:81]
	v_mov_b32_e32 v82, s33
	v_add_co_u32_e32 v80, vcc, s31, v80
	v_addc_co_u32_e32 v81, vcc, v82, v81, vcc
	global_load_dword v80, v[80:81], off
	s_branch .LBB85_58
.LBB85_57:                              ;   in Loop: Header=BB85_54 Depth=1
	v_mov_b32_e32 v80, 0
.LBB85_58:                              ;   in Loop: Header=BB85_54 Depth=1
	s_waitcnt vmcnt(0)
	ds_write_b32 v75, v80 offset:64
	s_andn2_b64 vcc, exec, s[16:17]
	v_mov_b32_e32 v80, 0
	v_mov_b32_e32 v81, 0
	s_cbranch_vccnz .LBB85_61
; %bb.59:                               ;   in Loop: Header=BB85_54 Depth=1
	ds_read_b32 v81, v74 offset:4
	s_waitcnt lgkmcnt(0)
	v_cmp_gt_i32_e32 vcc, 0, v81
	s_cbranch_vccnz .LBB85_64
; %bb.60:                               ;   in Loop: Header=BB85_54 Depth=1
	v_mul_lo_u32 v81, v81, s29
	v_add_u32_e32 v81, s24, v81
	v_add_u32_e32 v82, v81, v73
	v_ashrrev_i32_e32 v83, 31, v82
	v_lshlrev_b64 v[82:83], 2, v[82:83]
	v_mov_b32_e32 v81, s33
	v_add_co_u32_e32 v82, vcc, s31, v82
	v_addc_co_u32_e32 v83, vcc, v81, v83, vcc
	global_load_dword v81, v[82:83], off
.LBB85_61:                              ;   in Loop: Header=BB85_54 Depth=1
	s_andn2_b64 vcc, exec, s[26:27]
	s_waitcnt vmcnt(0)
	ds_write_b32 v75, v81 offset:328
	s_cbranch_vccnz .LBB85_66
.LBB85_62:                              ;   in Loop: Header=BB85_54 Depth=1
	ds_read_b32 v80, v74 offset:8
	s_waitcnt lgkmcnt(0)
	v_cmp_gt_i32_e32 vcc, 0, v80
	s_cbranch_vccnz .LBB85_65
; %bb.63:                               ;   in Loop: Header=BB85_54 Depth=1
	v_mul_lo_u32 v80, v80, s29
	v_readlane_b32 vcc_lo, v88, 18
	v_add_u32_e32 v80, vcc_lo, v80
	v_add_u32_e32 v80, v80, v73
	v_ashrrev_i32_e32 v81, 31, v80
	v_lshlrev_b64 v[80:81], 2, v[80:81]
	v_mov_b32_e32 v82, s33
	v_add_co_u32_e32 v80, vcc, s31, v80
	v_addc_co_u32_e32 v81, vcc, v82, v81, vcc
	global_load_dword v80, v[80:81], off
	s_branch .LBB85_66
.LBB85_64:                              ;   in Loop: Header=BB85_54 Depth=1
	v_mov_b32_e32 v81, 0
	s_andn2_b64 vcc, exec, s[26:27]
	ds_write_b32 v75, v81 offset:328
	s_cbranch_vccz .LBB85_62
	s_branch .LBB85_66
.LBB85_65:                              ;   in Loop: Header=BB85_54 Depth=1
	v_mov_b32_e32 v80, 0
.LBB85_66:                              ;   in Loop: Header=BB85_54 Depth=1
	s_waitcnt vmcnt(0)
	ds_write_b32 v75, v80 offset:592
	s_andn2_b64 vcc, exec, s[34:35]
	v_mov_b32_e32 v80, 0
	v_mov_b32_e32 v81, 0
	s_cbranch_vccnz .LBB85_69
; %bb.67:                               ;   in Loop: Header=BB85_54 Depth=1
	ds_read_b32 v81, v74 offset:12
	s_waitcnt lgkmcnt(0)
	v_cmp_gt_i32_e32 vcc, 0, v81
	s_cbranch_vccnz .LBB85_72
; %bb.68:                               ;   in Loop: Header=BB85_54 Depth=1
	v_mul_lo_u32 v81, v81, s29
	s_mul_i32 vcc_lo, s24, 3
	v_add_u32_e32 v81, vcc_lo, v81
	v_add_u32_e32 v82, v81, v73
	v_ashrrev_i32_e32 v83, 31, v82
	v_lshlrev_b64 v[82:83], 2, v[82:83]
	v_mov_b32_e32 v81, s33
	v_add_co_u32_e32 v82, vcc, s31, v82
	v_addc_co_u32_e32 v83, vcc, v81, v83, vcc
	global_load_dword v81, v[82:83], off
.LBB85_69:                              ;   in Loop: Header=BB85_54 Depth=1
	s_andn2_b64 vcc, exec, s[38:39]
	s_waitcnt vmcnt(0)
	ds_write_b32 v75, v81 offset:856
	s_cbranch_vccnz .LBB85_74
.LBB85_70:                              ;   in Loop: Header=BB85_54 Depth=1
	ds_read_b32 v80, v74 offset:16
	s_waitcnt lgkmcnt(0)
	v_cmp_gt_i32_e32 vcc, 0, v80
	s_cbranch_vccnz .LBB85_73
; %bb.71:                               ;   in Loop: Header=BB85_54 Depth=1
	v_mul_lo_u32 v80, v80, s29
	v_readlane_b32 vcc_lo, v88, 19
	v_add_u32_e32 v80, vcc_lo, v80
	v_add_u32_e32 v80, v80, v73
	v_ashrrev_i32_e32 v81, 31, v80
	v_lshlrev_b64 v[80:81], 2, v[80:81]
	v_mov_b32_e32 v82, s33
	v_add_co_u32_e32 v80, vcc, s31, v80
	v_addc_co_u32_e32 v81, vcc, v82, v81, vcc
	global_load_dword v80, v[80:81], off
	s_branch .LBB85_74
.LBB85_72:                              ;   in Loop: Header=BB85_54 Depth=1
	v_mov_b32_e32 v81, 0
	s_andn2_b64 vcc, exec, s[38:39]
	ds_write_b32 v75, v81 offset:856
	s_cbranch_vccz .LBB85_70
	s_branch .LBB85_74
.LBB85_73:                              ;   in Loop: Header=BB85_54 Depth=1
	v_mov_b32_e32 v80, 0
.LBB85_74:                              ;   in Loop: Header=BB85_54 Depth=1
	s_waitcnt vmcnt(0)
	ds_write_b32 v75, v80 offset:1120
	s_andn2_b64 vcc, exec, s[40:41]
	v_mov_b32_e32 v80, 0
	v_mov_b32_e32 v81, 0
	s_cbranch_vccnz .LBB85_77
; %bb.75:                               ;   in Loop: Header=BB85_54 Depth=1
	ds_read_b32 v81, v74 offset:20
	s_waitcnt lgkmcnt(0)
	v_cmp_gt_i32_e32 vcc, 0, v81
	s_cbranch_vccnz .LBB85_80
; %bb.76:                               ;   in Loop: Header=BB85_54 Depth=1
	v_mul_lo_u32 v81, v81, s29
	s_mul_i32 vcc_lo, s24, 5
	v_add_u32_e32 v81, vcc_lo, v81
	v_add_u32_e32 v82, v81, v73
	v_ashrrev_i32_e32 v83, 31, v82
	v_lshlrev_b64 v[82:83], 2, v[82:83]
	v_mov_b32_e32 v81, s33
	v_add_co_u32_e32 v82, vcc, s31, v82
	v_addc_co_u32_e32 v83, vcc, v81, v83, vcc
	global_load_dword v81, v[82:83], off
.LBB85_77:                              ;   in Loop: Header=BB85_54 Depth=1
	s_andn2_b64 vcc, exec, s[42:43]
	s_waitcnt vmcnt(0)
	ds_write_b32 v75, v81 offset:1384
	s_cbranch_vccnz .LBB85_82
.LBB85_78:                              ;   in Loop: Header=BB85_54 Depth=1
	ds_read_b32 v80, v74 offset:24
	s_waitcnt lgkmcnt(0)
	v_cmp_gt_i32_e32 vcc, 0, v80
	s_cbranch_vccnz .LBB85_81
; %bb.79:                               ;   in Loop: Header=BB85_54 Depth=1
	v_mul_lo_u32 v80, v80, s29
	s_mul_i32 vcc_lo, s24, 6
	v_add_u32_e32 v80, vcc_lo, v80
	v_add_u32_e32 v80, v80, v73
	v_ashrrev_i32_e32 v81, 31, v80
	v_lshlrev_b64 v[80:81], 2, v[80:81]
	v_mov_b32_e32 v82, s33
	v_add_co_u32_e32 v80, vcc, s31, v80
	v_addc_co_u32_e32 v81, vcc, v82, v81, vcc
	global_load_dword v80, v[80:81], off
	s_branch .LBB85_82
.LBB85_80:                              ;   in Loop: Header=BB85_54 Depth=1
	v_mov_b32_e32 v81, 0
	s_andn2_b64 vcc, exec, s[42:43]
	ds_write_b32 v75, v81 offset:1384
	s_cbranch_vccz .LBB85_78
	s_branch .LBB85_82
.LBB85_81:                              ;   in Loop: Header=BB85_54 Depth=1
	v_mov_b32_e32 v80, 0
.LBB85_82:                              ;   in Loop: Header=BB85_54 Depth=1
	s_waitcnt vmcnt(0)
	ds_write_b32 v75, v80 offset:1648
	s_andn2_b64 vcc, exec, s[44:45]
	v_mov_b32_e32 v80, 0
	v_mov_b32_e32 v81, 0
	s_cbranch_vccnz .LBB85_85
; %bb.83:                               ;   in Loop: Header=BB85_54 Depth=1
	ds_read_b32 v81, v74 offset:28
	s_waitcnt lgkmcnt(0)
	v_cmp_gt_i32_e32 vcc, 0, v81
	s_cbranch_vccnz .LBB85_88
; %bb.84:                               ;   in Loop: Header=BB85_54 Depth=1
	v_mul_lo_u32 v81, v81, s29
	s_mul_i32 vcc_lo, s24, 7
	v_add_u32_e32 v81, vcc_lo, v81
	v_add_u32_e32 v82, v81, v73
	v_ashrrev_i32_e32 v83, 31, v82
	v_lshlrev_b64 v[82:83], 2, v[82:83]
	v_mov_b32_e32 v81, s33
	v_add_co_u32_e32 v82, vcc, s31, v82
	v_addc_co_u32_e32 v83, vcc, v81, v83, vcc
	global_load_dword v81, v[82:83], off
.LBB85_85:                              ;   in Loop: Header=BB85_54 Depth=1
	s_andn2_b64 vcc, exec, s[46:47]
	s_waitcnt vmcnt(0)
	ds_write_b32 v75, v81 offset:1912
	s_cbranch_vccnz .LBB85_90
.LBB85_86:                              ;   in Loop: Header=BB85_54 Depth=1
	ds_read_b32 v80, v74 offset:32
	s_waitcnt lgkmcnt(0)
	v_cmp_gt_i32_e32 vcc, 0, v80
	s_cbranch_vccnz .LBB85_89
; %bb.87:                               ;   in Loop: Header=BB85_54 Depth=1
	v_mul_lo_u32 v80, v80, s29
	v_readlane_b32 vcc_lo, v88, 20
	v_add_u32_e32 v80, vcc_lo, v80
	v_add_u32_e32 v80, v80, v73
	v_ashrrev_i32_e32 v81, 31, v80
	v_lshlrev_b64 v[80:81], 2, v[80:81]
	v_mov_b32_e32 v82, s33
	v_add_co_u32_e32 v80, vcc, s31, v80
	v_addc_co_u32_e32 v81, vcc, v82, v81, vcc
	global_load_dword v80, v[80:81], off
	s_branch .LBB85_90
.LBB85_88:                              ;   in Loop: Header=BB85_54 Depth=1
	v_mov_b32_e32 v81, 0
	s_andn2_b64 vcc, exec, s[46:47]
	ds_write_b32 v75, v81 offset:1912
	s_cbranch_vccz .LBB85_86
	s_branch .LBB85_90
.LBB85_89:                              ;   in Loop: Header=BB85_54 Depth=1
	v_mov_b32_e32 v80, 0
.LBB85_90:                              ;   in Loop: Header=BB85_54 Depth=1
	s_waitcnt vmcnt(0)
	ds_write_b32 v75, v80 offset:2176
	s_andn2_b64 vcc, exec, s[48:49]
	v_mov_b32_e32 v80, 0
	v_mov_b32_e32 v81, 0
	s_cbranch_vccnz .LBB85_93
; %bb.91:                               ;   in Loop: Header=BB85_54 Depth=1
	ds_read_b32 v81, v74 offset:36
	s_waitcnt lgkmcnt(0)
	v_cmp_gt_i32_e32 vcc, 0, v81
	s_cbranch_vccnz .LBB85_96
; %bb.92:                               ;   in Loop: Header=BB85_54 Depth=1
	v_mul_lo_u32 v81, v81, s29
	s_mul_i32 vcc_lo, s24, 9
	v_add_u32_e32 v81, vcc_lo, v81
	v_add_u32_e32 v82, v81, v73
	v_ashrrev_i32_e32 v83, 31, v82
	v_lshlrev_b64 v[82:83], 2, v[82:83]
	v_mov_b32_e32 v81, s33
	v_add_co_u32_e32 v82, vcc, s31, v82
	v_addc_co_u32_e32 v83, vcc, v81, v83, vcc
	global_load_dword v81, v[82:83], off
.LBB85_93:                              ;   in Loop: Header=BB85_54 Depth=1
	s_andn2_b64 vcc, exec, s[50:51]
	s_waitcnt vmcnt(0)
	ds_write_b32 v75, v81 offset:2440
	s_cbranch_vccnz .LBB85_98
.LBB85_94:                              ;   in Loop: Header=BB85_54 Depth=1
	ds_read_b32 v80, v74 offset:40
	s_waitcnt lgkmcnt(0)
	v_cmp_gt_i32_e32 vcc, 0, v80
	s_cbranch_vccnz .LBB85_97
; %bb.95:                               ;   in Loop: Header=BB85_54 Depth=1
	v_mul_lo_u32 v80, v80, s29
	s_mul_i32 vcc_lo, s24, 10
	v_add_u32_e32 v80, vcc_lo, v80
	v_add_u32_e32 v80, v80, v73
	v_ashrrev_i32_e32 v81, 31, v80
	v_lshlrev_b64 v[80:81], 2, v[80:81]
	v_mov_b32_e32 v82, s33
	v_add_co_u32_e32 v80, vcc, s31, v80
	v_addc_co_u32_e32 v81, vcc, v82, v81, vcc
	global_load_dword v80, v[80:81], off
	s_branch .LBB85_98
.LBB85_96:                              ;   in Loop: Header=BB85_54 Depth=1
	v_mov_b32_e32 v81, 0
	s_andn2_b64 vcc, exec, s[50:51]
	ds_write_b32 v75, v81 offset:2440
	s_cbranch_vccz .LBB85_94
	s_branch .LBB85_98
.LBB85_97:                              ;   in Loop: Header=BB85_54 Depth=1
	v_mov_b32_e32 v80, 0
.LBB85_98:                              ;   in Loop: Header=BB85_54 Depth=1
	s_waitcnt vmcnt(0)
	ds_write_b32 v75, v80 offset:2704
	s_andn2_b64 vcc, exec, s[52:53]
	v_mov_b32_e32 v80, 0
	v_mov_b32_e32 v81, 0
	s_cbranch_vccnz .LBB85_101
; %bb.99:                               ;   in Loop: Header=BB85_54 Depth=1
	ds_read_b32 v81, v74 offset:44
	s_waitcnt lgkmcnt(0)
	v_cmp_gt_i32_e32 vcc, 0, v81
	s_cbranch_vccnz .LBB85_104
; %bb.100:                              ;   in Loop: Header=BB85_54 Depth=1
	v_mul_lo_u32 v81, v81, s29
	s_mul_i32 vcc_lo, s24, 11
	v_add_u32_e32 v81, vcc_lo, v81
	v_add_u32_e32 v82, v81, v73
	v_ashrrev_i32_e32 v83, 31, v82
	v_lshlrev_b64 v[82:83], 2, v[82:83]
	v_mov_b32_e32 v81, s33
	v_add_co_u32_e32 v82, vcc, s31, v82
	v_addc_co_u32_e32 v83, vcc, v81, v83, vcc
	global_load_dword v81, v[82:83], off
.LBB85_101:                             ;   in Loop: Header=BB85_54 Depth=1
	s_andn2_b64 vcc, exec, s[54:55]
	s_waitcnt vmcnt(0)
	ds_write_b32 v75, v81 offset:2968
	s_cbranch_vccnz .LBB85_53
.LBB85_102:                             ;   in Loop: Header=BB85_54 Depth=1
	ds_read_b32 v80, v74 offset:48
	s_waitcnt lgkmcnt(0)
	v_cmp_gt_i32_e32 vcc, 0, v80
	s_cbranch_vccz .LBB85_52
; %bb.103:                              ;   in Loop: Header=BB85_54 Depth=1
	v_mov_b32_e32 v80, 0
	s_branch .LBB85_53
.LBB85_104:                             ;   in Loop: Header=BB85_54 Depth=1
	v_mov_b32_e32 v81, 0
	s_andn2_b64 vcc, exec, s[54:55]
	ds_write_b32 v75, v81 offset:2968
	s_cbranch_vccnz .LBB85_53
	s_branch .LBB85_102
.LBB85_105:
	s_or_b64 exec, exec, s[22:23]
	v_readlane_b32 s44, v88, 10
	v_readlane_b32 s16, v88, 14
	;; [unrolled: 1-line block ×9, first 2 shown]
.LBB85_106:
	v_readlane_b32 s0, v88, 8
	v_readlane_b32 s1, v88, 9
	s_or_b64 exec, exec, s[0:1]
	v_mul_u32_u24_e32 v0, 0x408, v72
	s_movk_i32 s1, 0x100
	v_lshlrev_b32_e32 v1, 2, v3
	v_add3_u32 v0, s1, v0, v1
	v_and_b32_e32 v3, 0x3f0, v2
	v_add_u32_e32 v4, v0, v3
	s_barrier
	ds_write2_b32 v4, a12, a13 offset0:16 offset1:17
	v_or_b32_e32 v4, 12, v2
	v_add_u32_e32 v1, 64, v0
	v_and_b32_e32 v4, 0x3fc, v4
	v_add_u32_e32 v3, v1, v3
	v_add_u32_e32 v0, v0, v4
	ds_write_b32 v3, a14 offset:8
	ds_write_b32 v0, a15 offset:64
	ds_write2_b32 v3, a8, a9 offset0:16 offset1:17
	ds_write_b32 v3, a10 offset:72
	v_add_u32_e32 v0, v1, v4
	v_mov_b32_e32 v6, 0x100
	s_movk_i32 s0, 0x408
	ds_write_b32 v0, a11 offset:64
	ds_write2_b32 v3, a4, a5 offset0:32 offset1:33
	ds_write_b32 v3, a6 offset:136
	ds_write_b32 v0, a7 offset:128
	ds_write2_b32 v3, a0, a1 offset0:48 offset1:49
	ds_write_b32 v3, a2 offset:200
	ds_write_b32 v0, a3 offset:192
	v_lshl_add_u32 v3, v2, 2, v6
	v_mad_u32_u24 v0, v68, s0, v3
	s_waitcnt lgkmcnt(0)
	s_barrier
	ds_read2_b32 v[4:5], v0 offset0:16 offset1:80
	ds_read2_b32 v[0:1], v0 offset0:144 offset1:208
	v_cmp_gt_u32_e32 vcc, 13, v68
	v_mov_b32_e32 v8, -1
	s_and_saveexec_b64 s[4:5], vcc
	s_cbranch_execz .LBB85_108
; %bb.107:
	v_lshl_add_u32 v6, v68, 2, v6
	ds_read_b32 v8, v6
.LBB85_108:
	s_or_b64 exec, exec, s[4:5]
	s_mul_hi_i32 s1, s18, s8
	s_mul_i32 s0, s18, s8
	s_lshl_b64 s[0:1], s[0:1], 2
	v_readlane_b32 s4, v88, 6
	s_mul_hi_i32 s3, s54, s25
	s_mul_i32 s2, s54, s25
	v_readlane_b32 s5, v88, 7
	s_add_u32 s4, s4, s0
	s_addc_u32 s5, s5, s1
	s_lshl_b64 s[0:1], s[2:3], 2
	s_add_u32 s2, s4, s0
	s_waitcnt lgkmcnt(0)
	v_cmp_lt_i32_e32 vcc, -1, v8
	v_mul_u32_u24_e32 v7, 0x408, v68
	v_add_u32_e32 v6, s6, v2
	s_addc_u32 s3, s5, s1
	s_and_b64 s[4:5], vcc, s[44:45]
	s_and_saveexec_b64 s[0:1], s[4:5]
	s_cbranch_execz .LBB85_110
; %bb.109:
	v_add_f32_e32 v2, 0, v4
	v_add_f32_e32 v2, v2, v5
	;; [unrolled: 1-line block ×4, first 2 shown]
	v_mul_lo_u32 v0, v8, s30
	v_mul_lo_u32 v1, v68, s25
	v_add3_u32 v0, v6, v1, v0
	v_mov_b32_e32 v1, 0
	v_lshlrev_b64 v[0:1], 2, v[0:1]
	v_mov_b32_e32 v4, s3
	v_add_co_u32_e32 v0, vcc, s2, v0
	v_addc_co_u32_e32 v1, vcc, v4, v1, vcc
	global_store_dword v[0:1], v2, off
.LBB85_110:
	s_or_b64 exec, exec, s[0:1]
	v_add_u32_e32 v4, v7, v3
	v_add_u32_e32 v0, 0x60, v4
	ds_read2st64_b32 v[2:3], v0 offset0:16 offset1:17
	ds_read2st64_b32 v[0:1], v0 offset0:18 offset1:19
	v_cmp_gt_u32_e32 vcc, 9, v68
	v_mov_b32_e32 v5, -1
	s_and_saveexec_b64 s[0:1], vcc
	s_cbranch_execz .LBB85_112
; %bb.111:
	v_mov_b32_e32 v5, 0x100
	v_lshl_add_u32 v5, v68, 2, v5
	ds_read_b32 v5, v5 offset:16
.LBB85_112:
	s_or_b64 exec, exec, s[0:1]
	v_readlane_b32 s0, v88, 0
	s_waitcnt lgkmcnt(0)
	v_cmp_lt_i32_e32 vcc, -1, v5
	v_readlane_b32 s1, v88, 1
	s_and_b64 s[4:5], vcc, s[0:1]
	s_and_saveexec_b64 s[0:1], s[4:5]
	s_cbranch_execz .LBB85_114
; %bb.113:
	v_add_f32_e32 v2, 0, v2
	v_add_f32_e32 v2, v2, v3
	;; [unrolled: 1-line block ×4, first 2 shown]
	v_mul_lo_u32 v0, v5, s30
	v_mul_lo_u32 v1, v69, s25
	v_add3_u32 v0, v6, v1, v0
	v_mov_b32_e32 v1, 0
	v_lshlrev_b64 v[0:1], 2, v[0:1]
	v_mov_b32_e32 v3, s3
	v_add_co_u32_e32 v0, vcc, s2, v0
	v_addc_co_u32_e32 v1, vcc, v3, v1, vcc
	global_store_dword v[0:1], v2, off
.LBB85_114:
	s_or_b64 exec, exec, s[0:1]
	v_add_u32_e32 v0, 0x80, v4
	ds_read2st64_b32 v[2:3], v0 offset0:32 offset1:33
	ds_read2st64_b32 v[0:1], v0 offset0:34 offset1:35
	v_cmp_gt_u32_e32 vcc, 5, v68
	v_mov_b32_e32 v5, -1
	s_and_saveexec_b64 s[0:1], vcc
	s_cbranch_execz .LBB85_116
; %bb.115:
	v_mov_b32_e32 v5, 0x100
	v_lshl_add_u32 v5, v68, 2, v5
	ds_read_b32 v5, v5 offset:32
.LBB85_116:
	s_or_b64 exec, exec, s[0:1]
	v_readlane_b32 s0, v88, 2
	s_waitcnt lgkmcnt(0)
	v_cmp_lt_i32_e32 vcc, -1, v5
	v_readlane_b32 s1, v88, 3
	s_and_b64 s[4:5], vcc, s[0:1]
	s_and_saveexec_b64 s[0:1], s[4:5]
	s_cbranch_execz .LBB85_118
; %bb.117:
	v_add_f32_e32 v2, 0, v2
	v_add_f32_e32 v2, v2, v3
	v_add_f32_e32 v0, v2, v0
	v_add_f32_e32 v2, v0, v1
	v_mul_lo_u32 v0, v5, s30
	v_mul_lo_u32 v1, v70, s25
	v_add3_u32 v0, v6, v1, v0
	v_mov_b32_e32 v1, 0
	v_lshlrev_b64 v[0:1], 2, v[0:1]
	v_mov_b32_e32 v3, s3
	v_add_co_u32_e32 v0, vcc, s2, v0
	v_addc_co_u32_e32 v1, vcc, v3, v1, vcc
	global_store_dword v[0:1], v2, off
.LBB85_118:
	s_or_b64 exec, exec, s[0:1]
	v_cmp_eq_u32_e32 vcc, 0, v68
	s_and_saveexec_b64 s[0:1], vcc
	s_cbranch_execz .LBB85_121
; %bb.119:
	v_mov_b32_e32 v0, 0x100
	ds_read_b32 v0, v0 offset:48
	v_readlane_b32 s4, v88, 4
	v_readlane_b32 s5, v88, 5
	s_waitcnt lgkmcnt(0)
	v_readfirstlane_b32 s0, v0
	s_cmp_gt_i32 s0, -1
	s_cselect_b64 s[0:1], -1, 0
	s_and_b64 s[0:1], s[0:1], s[4:5]
	s_and_b64 exec, exec, s[0:1]
	s_cbranch_execz .LBB85_121
; %bb.120:
	v_add_u32_e32 v1, 0xa0, v4
	ds_read2st64_b32 v[2:3], v1 offset0:48 offset1:49
	v_mul_lo_u32 v4, v0, s30
	ds_read2st64_b32 v[0:1], v1 offset0:50 offset1:51
	v_mul_lo_u32 v5, v71, s25
	v_add3_u32 v4, v6, v5, v4
	s_waitcnt lgkmcnt(1)
	v_add_f32_e32 v2, 0, v2
	v_add_f32_e32 v2, v2, v3
	s_waitcnt lgkmcnt(0)
	v_add_f32_e32 v0, v2, v0
	v_mov_b32_e32 v5, 0
	v_add_f32_e32 v2, v0, v1
	v_lshlrev_b64 v[0:1], 2, v[4:5]
	v_mov_b32_e32 v3, s3
	v_add_co_u32_e32 v0, vcc, s2, v0
	v_addc_co_u32_e32 v1, vcc, v3, v1, vcc
	global_store_dword v[0:1], v2, off
.LBB85_121:
	s_endpgm
	.section	.rodata,"a",@progbits
	.p2align	6, 0x0
	.amdhsa_kernel _ZL9mul_mat_fIfLi64ELi13ELi4ELb1EEvPKT_PKfPKiPfiiiiiiiiiiiiiiii
		.amdhsa_group_segment_fixed_size 256
		.amdhsa_private_segment_fixed_size 0
		.amdhsa_kernarg_size 352
		.amdhsa_user_sgpr_count 6
		.amdhsa_user_sgpr_private_segment_buffer 1
		.amdhsa_user_sgpr_dispatch_ptr 0
		.amdhsa_user_sgpr_queue_ptr 0
		.amdhsa_user_sgpr_kernarg_segment_ptr 1
		.amdhsa_user_sgpr_dispatch_id 0
		.amdhsa_user_sgpr_flat_scratch_init 0
		.amdhsa_user_sgpr_kernarg_preload_length 0
		.amdhsa_user_sgpr_kernarg_preload_offset 0
		.amdhsa_user_sgpr_private_segment_size 0
		.amdhsa_uses_dynamic_stack 0
		.amdhsa_system_sgpr_private_segment_wavefront_offset 0
		.amdhsa_system_sgpr_workgroup_id_x 1
		.amdhsa_system_sgpr_workgroup_id_y 1
		.amdhsa_system_sgpr_workgroup_id_z 1
		.amdhsa_system_sgpr_workgroup_info 0
		.amdhsa_system_vgpr_workitem_id 2
		.amdhsa_next_free_vgpr 108
		.amdhsa_next_free_sgpr 96
		.amdhsa_accum_offset 92
		.amdhsa_reserve_vcc 1
		.amdhsa_reserve_flat_scratch 0
		.amdhsa_float_round_mode_32 0
		.amdhsa_float_round_mode_16_64 0
		.amdhsa_float_denorm_mode_32 3
		.amdhsa_float_denorm_mode_16_64 3
		.amdhsa_dx10_clamp 1
		.amdhsa_ieee_mode 1
		.amdhsa_fp16_overflow 0
		.amdhsa_tg_split 0
		.amdhsa_exception_fp_ieee_invalid_op 0
		.amdhsa_exception_fp_denorm_src 0
		.amdhsa_exception_fp_ieee_div_zero 0
		.amdhsa_exception_fp_ieee_overflow 0
		.amdhsa_exception_fp_ieee_underflow 0
		.amdhsa_exception_fp_ieee_inexact 0
		.amdhsa_exception_int_div_zero 0
	.end_amdhsa_kernel
	.section	.text._ZL9mul_mat_fIfLi64ELi13ELi4ELb1EEvPKT_PKfPKiPfiiiiiiiiiiiiiiii,"axG",@progbits,_ZL9mul_mat_fIfLi64ELi13ELi4ELb1EEvPKT_PKfPKiPfiiiiiiiiiiiiiiii,comdat
.Lfunc_end85:
	.size	_ZL9mul_mat_fIfLi64ELi13ELi4ELb1EEvPKT_PKfPKiPfiiiiiiiiiiiiiiii, .Lfunc_end85-_ZL9mul_mat_fIfLi64ELi13ELi4ELb1EEvPKT_PKfPKiPfiiiiiiiiiiiiiiii
                                        ; -- End function
	.section	.AMDGPU.csdata,"",@progbits
; Kernel info:
; codeLenInByte = 9320
; NumSgprs: 100
; NumVgprs: 89
; NumAgprs: 16
; TotalNumVgprs: 108
; ScratchSize: 0
; MemoryBound: 0
; FloatMode: 240
; IeeeMode: 1
; LDSByteSize: 256 bytes/workgroup (compile time only)
; SGPRBlocks: 12
; VGPRBlocks: 13
; NumSGPRsForWavesPerEU: 100
; NumVGPRsForWavesPerEU: 108
; AccumOffset: 92
; Occupancy: 4
; WaveLimiterHint : 0
; COMPUTE_PGM_RSRC2:SCRATCH_EN: 0
; COMPUTE_PGM_RSRC2:USER_SGPR: 6
; COMPUTE_PGM_RSRC2:TRAP_HANDLER: 0
; COMPUTE_PGM_RSRC2:TGID_X_EN: 1
; COMPUTE_PGM_RSRC2:TGID_Y_EN: 1
; COMPUTE_PGM_RSRC2:TGID_Z_EN: 1
; COMPUTE_PGM_RSRC2:TIDIG_COMP_CNT: 2
; COMPUTE_PGM_RSRC3_GFX90A:ACCUM_OFFSET: 22
; COMPUTE_PGM_RSRC3_GFX90A:TG_SPLIT: 0
	.section	.text._ZL9mul_mat_fIfLi64ELi13ELi4ELb0EEvPKT_PKfPKiPfiiiiiiiiiiiiiiii,"axG",@progbits,_ZL9mul_mat_fIfLi64ELi13ELi4ELb0EEvPKT_PKfPKiPfiiiiiiiiiiiiiiii,comdat
	.globl	_ZL9mul_mat_fIfLi64ELi13ELi4ELb0EEvPKT_PKfPKiPfiiiiiiiiiiiiiiii ; -- Begin function _ZL9mul_mat_fIfLi64ELi13ELi4ELb0EEvPKT_PKfPKiPfiiiiiiiiiiiiiiii
	.p2align	8
	.type	_ZL9mul_mat_fIfLi64ELi13ELi4ELb0EEvPKT_PKfPKiPfiiiiiiiiiiiiiiii,@function
_ZL9mul_mat_fIfLi64ELi13ELi4ELb0EEvPKT_PKfPKiPfiiiiiiiiiiiiiiii: ; @_ZL9mul_mat_fIfLi64ELi13ELi4ELb0EEvPKT_PKfPKiPfiiiiiiiiiiiiiiii
; %bb.0:
	s_load_dwordx8 s[12:19], s[4:5], 0x40
	s_load_dword s9, s[4:5], 0x20
	s_load_dwordx4 s[0:3], s[4:5], 0x2c
	v_bfe_u32 v25, v0, 10, 10
	v_lshlrev_b32_e32 v95, 6, v25
	v_and_b32_e32 v94, 0x3ff, v0
	s_waitcnt lgkmcnt(0)
	s_abs_i32 s27, s12
	s_abs_i32 s26, s16
	v_cvt_f32_u32_e32 v1, s27
	v_cvt_f32_u32_e32 v2, s26
	v_add_u32_e32 v97, v95, v94
	s_mov_b32 s22, 0
	v_rcp_iflag_f32_e32 v1, v1
	v_rcp_iflag_f32_e32 v2, v2
	s_ashr_i32 s28, s8, 31
	v_cmp_le_i32_e32 vcc, s9, v97
	v_mul_f32_e32 v1, 0x4f7ffffe, v1
	v_mul_f32_e32 v2, 0x4f7ffffe, v2
	v_cvt_u32_f32_e32 v1, v1
	v_cvt_u32_f32_e32 v2, v2
	v_and_b32_e32 v96, 15, v94
	v_readfirstlane_b32 s21, v1
	v_readfirstlane_b32 s20, v2
	s_and_saveexec_b64 s[10:11], vcc
	s_xor_b64 s[10:11], exec, s[10:11]
; %bb.1:
	v_and_b32_e32 v96, 15, v94
                                        ; implicit-def: $vgpr97
; %bb.2:
	s_or_saveexec_b64 s[24:25], s[10:11]
	s_load_dwordx2 s[10:11], s[4:5], 0x18
	s_lshl_b32 s3, s6, 6
	v_accvgpr_write_b32 a0, s22
	v_accvgpr_write_b32 a1, s22
	;; [unrolled: 1-line block ×16, first 2 shown]
	s_xor_b64 exec, exec, s[24:25]
	s_cbranch_execz .LBB86_6
; %bb.3:
	s_sub_i32 s6, 0, s27
	s_sub_i32 s22, 0, s26
	s_mul_i32 s6, s6, s21
	s_mul_i32 s22, s22, s20
	s_mul_hi_u32 s6, s21, s6
	s_mul_hi_u32 s22, s20, s22
	s_abs_i32 s29, s7
	s_add_i32 s6, s21, s6
	s_add_i32 s31, s20, s22
	s_load_dwordx4 s[20:23], s[4:5], 0x0
	s_mul_hi_u32 s4, s29, s6
	s_ashr_i32 s6, s7, 31
	s_ashr_i32 s12, s12, 31
	s_xor_b32 s6, s6, s12
	s_mul_i32 s12, s4, s27
	s_abs_i32 s30, s8
	s_sub_i32 s12, s29, s12
	s_mul_hi_u32 s5, s30, s31
	s_ashr_i32 s16, s16, 31
	s_add_i32 s29, s4, 1
	s_sub_i32 s31, s12, s27
	s_cmp_ge_u32 s12, s27
	s_cselect_b32 s4, s29, s4
	s_cselect_b32 s12, s31, s12
	s_add_i32 s29, s4, 1
	s_cmp_ge_u32 s12, s27
	s_cselect_b32 s4, s29, s4
	s_mul_i32 s12, s5, s26
	s_xor_b32 s4, s4, s6
	s_sub_i32 s12, s30, s12
	s_sub_i32 s6, s4, s6
	s_xor_b32 s4, s28, s16
	s_add_i32 s16, s5, 1
	s_sub_i32 s27, s12, s26
	s_cmp_ge_u32 s12, s26
	s_cselect_b32 s5, s16, s5
	s_cselect_b32 s12, s27, s12
	s_add_i32 s16, s5, 1
	s_cmp_ge_u32 s12, s26
	s_cselect_b32 s5, s16, s5
	s_xor_b32 s5, s5, s4
	s_sub_i32 s4, s5, s4
	s_mul_i32 s12, s6, s13
	s_mul_i32 s16, s3, s0
	s_mul_hi_i32 s5, s4, s17
	s_mul_i32 s4, s4, s17
	s_ashr_i32 s13, s12, 31
	s_ashr_i32 s17, s16, 31
	s_lshl_b64 s[30:31], s[4:5], 2
	s_lshl_b64 s[4:5], s[16:17], 2
	;; [unrolled: 1-line block ×3, first 2 shown]
	s_waitcnt lgkmcnt(0)
	s_add_u32 s6, s20, s12
	s_addc_u32 s12, s21, s13
	s_add_u32 s6, s6, s4
	s_mul_i32 s28, s7, s14
	s_addc_u32 s14, s12, s5
	s_add_u32 s4, s6, s30
	s_mul_hi_i32 s27, s18, s8
	s_mul_i32 s26, s18, s8
	s_addc_u32 s73, s14, s31
	s_ashr_i32 s29, s28, 31
	s_lshl_b64 s[12:13], s[26:27], 2
	s_lshl_b64 s[16:17], s[28:29], 2
	s_add_u32 s18, s22, s16
	s_addc_u32 s22, s23, s17
	s_add_u32 s5, s18, s12
	s_movk_i32 s16, 0x1080
	v_lshrrev_b32_e32 v2, 1, v94
	s_addc_u32 s74, s22, s13
	v_mad_u32_u24 v0, v25, s16, 0
	v_lshlrev_b32_e32 v16, 2, v94
	v_mul_u32_u24_e32 v1, 0x108, v96
	v_and_b32_e32 v2, 0x1f8, v2
	s_ashr_i32 s17, s0, 31
	s_mov_b32 s16, s0
	v_add_u32_e32 v98, v0, v16
	v_add3_u32 v99, v0, v1, v2
	s_ashr_i32 s21, s1, 31
	v_lshlrev_b32_e32 v0, 8, v25
	s_lshl_b64 s[16:17], s[16:17], 2
	v_mov_b32_e32 v1, s31
	v_add_co_u32_e32 v2, vcc, s30, v0
	s_add_u32 s16, s6, s16
	v_addc_co_u32_e32 v1, vcc, 0, v1, vcc
	s_addc_u32 s17, s14, s17
	v_mov_b32_e32 v3, s17
	v_add_co_u32_e32 v18, vcc, s16, v2
	v_addc_co_u32_e32 v17, vcc, v3, v1, vcc
	v_mov_b32_e32 v3, s14
	v_add_co_u32_e32 v20, vcc, s6, v2
	s_mov_b32 s20, s1
	v_addc_co_u32_e32 v19, vcc, v3, v1, vcc
	v_mov_b32_e32 v1, s13
	v_add_co_u32_e32 v0, vcc, s12, v0
	s_lshl_b64 s[12:13], s[20:21], 2
	s_add_u32 s6, s18, s12
	v_addc_co_u32_e32 v1, vcc, 0, v1, vcc
	s_addc_u32 s12, s22, s13
	v_mov_b32_e32 v2, s12
	v_add_co_u32_e32 v22, vcc, s6, v0
	v_addc_co_u32_e32 v21, vcc, v2, v1, vcc
	v_mov_b32_e32 v2, s22
	v_add_co_u32_e32 v24, vcc, s18, v0
	v_addc_co_u32_e32 v23, vcc, v2, v1, vcc
	s_lshl_b32 s6, s1, 1
	s_mul_i32 s12, s1, 3
	s_lshl_b32 s13, s1, 2
	s_mul_i32 s14, s1, 5
	s_mul_i32 s16, s1, 6
	;; [unrolled: 1-line block ×3, first 2 shown]
	s_lshl_b32 s18, s1, 3
	s_mul_i32 s20, s1, 9
	s_mul_i32 s21, s1, 10
	;; [unrolled: 1-line block ×4, first 2 shown]
	s_lshl_b32 s26, s0, 1
	s_mul_i32 s27, s0, 3
	s_lshl_b32 s28, s0, 2
	s_mul_i32 s29, s0, 5
	s_mul_i32 s30, s0, 6
	;; [unrolled: 1-line block ×3, first 2 shown]
	s_lshl_b32 s33, s0, 3
	s_mul_i32 s34, s0, 9
	s_mul_i32 s35, s0, 10
	;; [unrolled: 1-line block ×7, first 2 shown]
	s_lshl_b32 s41, s0, 4
	s_mul_i32 s42, s0, 17
	s_mul_i32 s43, s0, 18
	;; [unrolled: 1-line block ×15, first 2 shown]
	s_lshl_b32 s57, s0, 5
	s_mul_i32 s58, s0, 33
	s_mul_i32 s59, s0, 34
	;; [unrolled: 1-line block ×15, first 2 shown]
	v_mov_b32_e32 v100, s73
	s_mul_i32 s73, s0, 48
	v_mov_b32_e32 v101, s74
	s_mul_i32 s74, s0, 49
	v_mov_b32_e32 v102, 0
	v_accvgpr_write_b32 a15, 0
	v_accvgpr_write_b32 a14, 0
	;; [unrolled: 1-line block ×16, first 2 shown]
	s_mul_i32 s75, s0, 50
	s_mul_i32 s76, s0, 51
	;; [unrolled: 1-line block ×14, first 2 shown]
	s_movk_i32 s89, 0x400
	s_mov_b64 s[0:1], 0
.LBB86_4:                               ; =>This Inner Loop Header: Depth=1
	v_add_co_u32_e32 v26, vcc, v20, v16
	v_addc_co_u32_e32 v27, vcc, 0, v19, vcc
	global_load_dword v26, v[26:27], off
	v_add_u32_e32 v42, s41, v97
	v_ashrrev_i32_e32 v43, 31, v42
	v_lshlrev_b64 v[42:43], 2, v[42:43]
	v_add_u32_e32 v54, s57, v97
	v_ashrrev_i32_e32 v55, 31, v54
	v_lshlrev_b64 v[54:55], 2, v[54:55]
	;; [unrolled: 3-line block ×3, first 2 shown]
	v_accvgpr_read_b32 v8, a4
	v_accvgpr_read_b32 v7, a11
	;; [unrolled: 1-line block ×8, first 2 shown]
	v_accvgpr_write_b32 a8, v8
	v_accvgpr_write_b32 a9, v9
	;; [unrolled: 1-line block ×4, first 2 shown]
	v_accvgpr_read_b32 v0, a12
	v_accvgpr_read_b32 v12, a0
	;; [unrolled: 1-line block ×8, first 2 shown]
	v_accvgpr_write_b32 a0, v0
	v_accvgpr_write_b32 a4, v4
	;; [unrolled: 1-line block ×12, first 2 shown]
	s_waitcnt vmcnt(0)
	ds_write_b32 v98, v26
	v_add_co_u32_e32 v26, vcc, v18, v16
	v_addc_co_u32_e32 v27, vcc, 0, v17, vcc
	global_load_dword v26, v[26:27], off
	s_waitcnt vmcnt(0)
	ds_write_b32 v98, v26 offset:264
	v_add_u32_e32 v26, s26, v97
	v_ashrrev_i32_e32 v27, 31, v26
	v_lshlrev_b64 v[26:27], 2, v[26:27]
	v_add_co_u32_e32 v26, vcc, s4, v26
	v_addc_co_u32_e32 v27, vcc, v100, v27, vcc
	global_load_dword v26, v[26:27], off
	s_waitcnt vmcnt(0)
	ds_write_b32 v98, v26 offset:528
	v_add_u32_e32 v26, s27, v97
	v_ashrrev_i32_e32 v27, 31, v26
	v_lshlrev_b64 v[26:27], 2, v[26:27]
	;; [unrolled: 8-line block ×14, first 2 shown]
	v_add_co_u32_e32 v26, vcc, s4, v26
	v_addc_co_u32_e32 v27, vcc, v100, v27, vcc
	global_load_dword v26, v[26:27], off
	v_add_co_u32_e32 v42, vcc, s4, v42
	v_addc_co_u32_e32 v43, vcc, v100, v43, vcc
	s_waitcnt vmcnt(0)
	ds_write_b32 v98, v26 offset:3960
	ds_read_b64 v[40:41], v99
	ds_read_b64 v[38:39], v99 offset:32
	ds_read_b64 v[36:37], v99 offset:64
	;; [unrolled: 1-line block ×7, first 2 shown]
	global_load_dword v42, v[42:43], off
	s_waitcnt vmcnt(0)
	ds_write_b32 v98, v42
	v_add_u32_e32 v42, s42, v97
	v_ashrrev_i32_e32 v43, 31, v42
	v_lshlrev_b64 v[42:43], 2, v[42:43]
	v_add_co_u32_e32 v42, vcc, s4, v42
	v_addc_co_u32_e32 v43, vcc, v100, v43, vcc
	global_load_dword v42, v[42:43], off
	s_waitcnt vmcnt(0)
	ds_write_b32 v98, v42 offset:264
	v_add_u32_e32 v42, s43, v97
	v_ashrrev_i32_e32 v43, 31, v42
	v_lshlrev_b64 v[42:43], 2, v[42:43]
	v_add_co_u32_e32 v42, vcc, s4, v42
	v_addc_co_u32_e32 v43, vcc, v100, v43, vcc
	global_load_dword v42, v[42:43], off
	s_waitcnt vmcnt(0)
	ds_write_b32 v98, v42 offset:528
	;; [unrolled: 8-line block ×14, first 2 shown]
	v_add_u32_e32 v42, s56, v97
	v_ashrrev_i32_e32 v43, 31, v42
	v_lshlrev_b64 v[42:43], 2, v[42:43]
	v_add_co_u32_e32 v42, vcc, s4, v42
	v_addc_co_u32_e32 v43, vcc, v100, v43, vcc
	global_load_dword v42, v[42:43], off
	v_add_co_u32_e32 v54, vcc, s4, v54
	v_addc_co_u32_e32 v55, vcc, v100, v55, vcc
	s_waitcnt vmcnt(0)
	ds_write_b32 v98, v42 offset:3960
	ds_read_b64 v[62:63], v99
	ds_read_b64 v[60:61], v99 offset:32
	ds_read_b64 v[52:53], v99 offset:64
	;; [unrolled: 1-line block ×7, first 2 shown]
	global_load_dword v54, v[54:55], off
	s_waitcnt vmcnt(0)
	ds_write_b32 v98, v54
	v_add_u32_e32 v54, s58, v97
	v_ashrrev_i32_e32 v55, 31, v54
	v_lshlrev_b64 v[54:55], 2, v[54:55]
	v_add_co_u32_e32 v54, vcc, s4, v54
	v_addc_co_u32_e32 v55, vcc, v100, v55, vcc
	global_load_dword v54, v[54:55], off
	s_waitcnt vmcnt(0)
	ds_write_b32 v98, v54 offset:264
	v_add_u32_e32 v54, s59, v97
	v_ashrrev_i32_e32 v55, 31, v54
	v_lshlrev_b64 v[54:55], 2, v[54:55]
	v_add_co_u32_e32 v54, vcc, s4, v54
	v_addc_co_u32_e32 v55, vcc, v100, v55, vcc
	global_load_dword v54, v[54:55], off
	s_waitcnt vmcnt(0)
	ds_write_b32 v98, v54 offset:528
	;; [unrolled: 8-line block ×14, first 2 shown]
	v_add_u32_e32 v54, s72, v97
	v_ashrrev_i32_e32 v55, 31, v54
	v_lshlrev_b64 v[54:55], 2, v[54:55]
	v_add_co_u32_e32 v54, vcc, s4, v54
	v_addc_co_u32_e32 v55, vcc, v100, v55, vcc
	global_load_dword v54, v[54:55], off
	v_add_co_u32_e32 v74, vcc, s4, v74
	v_addc_co_u32_e32 v75, vcc, v100, v75, vcc
	s_waitcnt vmcnt(0)
	ds_write_b32 v98, v54 offset:3960
	ds_read_b64 v[72:73], v99
	ds_read_b64 v[70:71], v99 offset:32
	ds_read_b64 v[68:69], v99 offset:64
	;; [unrolled: 1-line block ×7, first 2 shown]
	global_load_dword v74, v[74:75], off
	s_waitcnt vmcnt(0)
	ds_write_b32 v98, v74
	v_add_u32_e32 v74, s74, v97
	v_ashrrev_i32_e32 v75, 31, v74
	v_lshlrev_b64 v[74:75], 2, v[74:75]
	v_add_co_u32_e32 v74, vcc, s4, v74
	v_addc_co_u32_e32 v75, vcc, v100, v75, vcc
	global_load_dword v74, v[74:75], off
	s_waitcnt vmcnt(0)
	ds_write_b32 v98, v74 offset:264
	v_add_u32_e32 v74, s75, v97
	v_ashrrev_i32_e32 v75, 31, v74
	v_lshlrev_b64 v[74:75], 2, v[74:75]
	v_add_co_u32_e32 v74, vcc, s4, v74
	v_addc_co_u32_e32 v75, vcc, v100, v75, vcc
	global_load_dword v74, v[74:75], off
	s_waitcnt vmcnt(0)
	ds_write_b32 v98, v74 offset:528
	;; [unrolled: 8-line block ×14, first 2 shown]
	v_add_u32_e32 v74, s88, v97
	v_ashrrev_i32_e32 v75, 31, v74
	v_lshlrev_b64 v[74:75], 2, v[74:75]
	v_add_co_u32_e32 v74, vcc, s4, v74
	v_addc_co_u32_e32 v75, vcc, v100, v75, vcc
	global_load_dword v74, v[74:75], off
	v_add_co_u32_e32 v90, vcc, v24, v16
	v_addc_co_u32_e32 v91, vcc, 0, v23, vcc
	s_waitcnt vmcnt(0)
	ds_write_b32 v98, v74 offset:3960
	ds_read_b64 v[88:89], v99
	ds_read_b64 v[86:87], v99 offset:32
	ds_read_b64 v[84:85], v99 offset:64
	;; [unrolled: 1-line block ×7, first 2 shown]
	global_load_dword v90, v[90:91], off
	s_waitcnt vmcnt(0)
	ds_write_b32 v98, v90
	v_add_co_u32_e32 v90, vcc, v22, v16
	v_addc_co_u32_e32 v91, vcc, 0, v21, vcc
	global_load_dword v90, v[90:91], off
	s_waitcnt vmcnt(0)
	ds_write_b32 v98, v90 offset:264
	v_add_u32_e32 v90, s6, v97
	v_ashrrev_i32_e32 v91, 31, v90
	v_lshlrev_b64 v[90:91], 2, v[90:91]
	v_add_co_u32_e32 v90, vcc, s5, v90
	v_addc_co_u32_e32 v91, vcc, v101, v91, vcc
	global_load_dword v90, v[90:91], off
	s_waitcnt vmcnt(0)
	ds_write_b32 v98, v90 offset:528
	v_add_u32_e32 v90, s12, v97
	v_ashrrev_i32_e32 v91, 31, v90
	v_lshlrev_b64 v[90:91], 2, v[90:91]
	;; [unrolled: 8-line block ×11, first 2 shown]
	v_add_co_u32_e32 v90, vcc, s5, v90
	v_addc_co_u32_e32 v91, vcc, v101, v91, vcc
	global_load_dword v90, v[90:91], off
	s_waitcnt vmcnt(0)
	ds_write_b32 v98, v90 offset:3168
	ds_write_b32 v98, v102 offset:3432
	ds_write_b32 v98, v102 offset:3696
	ds_write_b32 v98, v102 offset:3960
	ds_read_b64 v[92:93], v99
	ds_read_b64 v[90:91], v99 offset:32
	s_waitcnt lgkmcnt(1)
	v_mfma_f32_16x16x4f32 a[8:11], v72, v92, a[8:11]
	ds_read_b64 v[0:1], v99 offset:64
	v_add_co_u32_e32 v18, vcc, s89, v18
	v_addc_co_u32_e32 v17, vcc, 0, v17, vcc
	v_add_co_u32_e32 v20, vcc, 0x400, v20
	v_mfma_f32_16x16x4f32 a[0:3], v40, v92, a[0:3]
	v_addc_co_u32_e32 v19, vcc, 0, v19, vcc
	v_add_co_u32_e32 v22, vcc, 0x400, v22
	v_addc_co_u32_e32 v21, vcc, 0, v21, vcc
	v_add_co_u32_e32 v24, vcc, 0x400, v24
	v_mfma_f32_16x16x4f32 a[4:7], v62, v92, a[4:7]
	v_add_u32_e32 v97, 0x100, v97
	v_addc_co_u32_e32 v23, vcc, 0, v23, vcc
	v_cmp_le_i32_e32 vcc, s9, v97
	s_or_b64 s[0:1], vcc, s[0:1]
	v_mfma_f32_16x16x4f32 a[12:15], v88, v92, a[12:15]
	v_mfma_f32_16x16x4f32 a[8:11], v73, v93, a[8:11]
	;; [unrolled: 1-line block ×5, first 2 shown]
	s_waitcnt lgkmcnt(1)
	v_mfma_f32_16x16x4f32 a[8:11], v70, v90, a[8:11]
	v_mfma_f32_16x16x4f32 a[0:3], v38, v90, a[0:3]
	;; [unrolled: 1-line block ×8, first 2 shown]
	s_waitcnt lgkmcnt(0)
	v_mfma_f32_16x16x4f32 a[8:11], v68, v0, a[8:11]
	v_mfma_f32_16x16x4f32 a[0:3], v36, v0, a[0:3]
	v_mfma_f32_16x16x4f32 a[4:7], v52, v0, a[4:7]
	v_mfma_f32_16x16x4f32 a[12:15], v84, v0, a[12:15]
	v_mfma_f32_16x16x4f32 a[8:11], v69, v1, a[8:11]
	v_mfma_f32_16x16x4f32 a[0:3], v37, v1, a[0:3]
	v_mfma_f32_16x16x4f32 a[4:7], v53, v1, a[4:7]
	v_mfma_f32_16x16x4f32 a[12:15], v85, v1, a[12:15]
	ds_read_b64 v[0:1], v99 offset:96
	s_waitcnt lgkmcnt(0)
	v_mfma_f32_16x16x4f32 a[8:11], v66, v0, a[8:11]
	v_mfma_f32_16x16x4f32 a[0:3], v34, v0, a[0:3]
	v_mfma_f32_16x16x4f32 a[4:7], v50, v0, a[4:7]
	v_mfma_f32_16x16x4f32 a[12:15], v82, v0, a[12:15]
	v_mfma_f32_16x16x4f32 a[8:11], v67, v1, a[8:11]
	v_mfma_f32_16x16x4f32 a[0:3], v35, v1, a[0:3]
	v_mfma_f32_16x16x4f32 a[4:7], v51, v1, a[4:7]
	v_mfma_f32_16x16x4f32 a[12:15], v83, v1, a[12:15]
	ds_read_b64 v[0:1], v99 offset:128
	;; [unrolled: 10-line block ×5, first 2 shown]
	s_waitcnt lgkmcnt(0)
	v_mfma_f32_16x16x4f32 a[0:3], v26, v0, a[0:3]
	v_mfma_f32_16x16x4f32 a[12:15], v27, v1, a[0:3]
	;; [unrolled: 1-line block ×8, first 2 shown]
	s_andn2_b64 exec, exec, s[0:1]
	s_cbranch_execnz .LBB86_4
; %bb.5:
	s_or_b64 exec, exec, s[0:1]
.LBB86_6:
	s_or_b64 exec, exec, s[24:25]
	s_mul_hi_i32 s1, s19, s8
	s_mul_i32 s0, s19, s8
	s_lshl_b64 s[0:1], s[0:1], 2
	v_mul_u32_u24_e32 v0, 0x408, v96
	v_lshlrev_b32_e32 v1, 2, v95
	v_or_b32_e32 v2, 12, v94
	s_mul_i32 s4, s7, s15
	s_waitcnt lgkmcnt(0)
	s_add_u32 s6, s10, s0
	v_add3_u32 v0, 0, v0, v1
	v_and_b32_e32 v1, 0x3f0, v94
	v_and_b32_e32 v2, 0x3fc, v2
	s_addc_u32 s7, s11, s1
	s_ashr_i32 s5, s4, 31
	v_add_u32_e32 v1, v0, v1
	v_add_u32_e32 v0, v0, v2
	s_lshl_b64 s[0:1], s[4:5], 2
	s_barrier
	s_movk_i32 s4, 0x408
	ds_write2_b32 v1, a12, a13 offset1:1
	ds_write_b32 v1, a14 offset:8
	ds_write_b32 v0, a15
	ds_write2_b32 v1, a8, a9 offset0:16 offset1:17
	ds_write_b32 v1, a10 offset:72
	ds_write_b32 v0, a11 offset:64
	ds_write2_b32 v1, a4, a5 offset0:32 offset1:33
	ds_write_b32 v1, a6 offset:136
	ds_write_b32 v0, a7 offset:128
	;; [unrolled: 3-line block ×3, first 2 shown]
	v_lshl_add_u32 v1, v94, 2, 0
	v_mad_u32_u24 v10, v25, s4, v1
	s_waitcnt lgkmcnt(0)
	s_barrier
	ds_read2st64_b32 v[2:3], v10 offset1:1
	ds_read2st64_b32 v[4:5], v10 offset0:2 offset1:3
	v_add_u32_e32 v0, s3, v94
	v_add_u32_e32 v8, 32, v10
	s_add_u32 s0, s6, s0
	s_waitcnt lgkmcnt(1)
	v_add_f32_e32 v2, 0, v2
	v_add_f32_e32 v2, v2, v3
	s_waitcnt lgkmcnt(0)
	v_add_f32_e32 v2, v2, v4
	v_add_f32_e32 v11, v2, v5
	v_mad_u64_u32 v[2:3], s[4:5], v25, s2, v[0:1]
	v_mov_b32_e32 v3, 0
	ds_read2st64_b32 v[6:7], v8 offset0:16 offset1:17
	ds_read2st64_b32 v[8:9], v8 offset0:18 offset1:19
	s_addc_u32 s1, s7, s1
	v_lshlrev_b64 v[4:5], 2, v[2:3]
	v_mov_b32_e32 v12, s1
	v_add_co_u32_e32 v4, vcc, s0, v4
	v_addc_co_u32_e32 v5, vcc, v12, v5, vcc
	global_store_dword v[4:5], v11, off
	s_waitcnt lgkmcnt(1)
	v_add_f32_e32 v4, 0, v6
	v_add_f32_e32 v4, v4, v7
	s_waitcnt lgkmcnt(0)
	v_add_f32_e32 v4, v4, v8
	s_lshl_b32 s3, s2, 2
	v_add_u32_e32 v8, 64, v10
	v_add_f32_e32 v11, v4, v9
	v_add_u32_e32 v2, s3, v2
	ds_read2st64_b32 v[6:7], v8 offset0:32 offset1:33
	ds_read2st64_b32 v[8:9], v8 offset0:34 offset1:35
	v_lshlrev_b64 v[4:5], 2, v[2:3]
	v_add_co_u32_e32 v4, vcc, s0, v4
	v_addc_co_u32_e32 v5, vcc, v12, v5, vcc
	global_store_dword v[4:5], v11, off
	s_waitcnt lgkmcnt(1)
	v_add_f32_e32 v4, 0, v6
	v_add_f32_e32 v4, v4, v7
	s_waitcnt lgkmcnt(0)
	v_add_f32_e32 v4, v4, v8
	v_add_u32_e32 v2, s3, v2
	v_add_f32_e32 v6, v4, v9
	v_lshlrev_b64 v[4:5], 2, v[2:3]
	v_mov_b32_e32 v2, s1
	v_add_co_u32_e32 v4, vcc, s0, v4
	v_addc_co_u32_e32 v5, vcc, v2, v5, vcc
	v_cmp_eq_u32_e32 vcc, 0, v25
	global_store_dword v[4:5], v6, off
	s_and_saveexec_b64 s[4:5], vcc
	s_cbranch_execz .LBB86_8
; %bb.7:
	v_add_u32_e32 v1, 0x60, v1
	ds_read2st64_b32 v[4:5], v1 offset0:48 offset1:49
	ds_read2st64_b32 v[6:7], v1 offset0:50 offset1:51
	v_mad_u64_u32 v[0:1], s[2:3], s2, 12, v[0:1]
	v_mov_b32_e32 v1, v3
	s_waitcnt lgkmcnt(1)
	v_add_f32_e32 v2, 0, v4
	v_add_f32_e32 v2, v2, v5
	v_lshlrev_b64 v[0:1], 2, v[0:1]
	s_waitcnt lgkmcnt(0)
	v_add_f32_e32 v2, v2, v6
	v_mov_b32_e32 v3, s1
	v_add_co_u32_e32 v0, vcc, s0, v0
	v_add_f32_e32 v2, v2, v7
	v_addc_co_u32_e32 v1, vcc, v3, v1, vcc
	global_store_dword v[0:1], v2, off
.LBB86_8:
	s_endpgm
	.section	.rodata,"a",@progbits
	.p2align	6, 0x0
	.amdhsa_kernel _ZL9mul_mat_fIfLi64ELi13ELi4ELb0EEvPKT_PKfPKiPfiiiiiiiiiiiiiiii
		.amdhsa_group_segment_fixed_size 0
		.amdhsa_private_segment_fixed_size 0
		.amdhsa_kernarg_size 96
		.amdhsa_user_sgpr_count 6
		.amdhsa_user_sgpr_private_segment_buffer 1
		.amdhsa_user_sgpr_dispatch_ptr 0
		.amdhsa_user_sgpr_queue_ptr 0
		.amdhsa_user_sgpr_kernarg_segment_ptr 1
		.amdhsa_user_sgpr_dispatch_id 0
		.amdhsa_user_sgpr_flat_scratch_init 0
		.amdhsa_user_sgpr_kernarg_preload_length 0
		.amdhsa_user_sgpr_kernarg_preload_offset 0
		.amdhsa_user_sgpr_private_segment_size 0
		.amdhsa_uses_dynamic_stack 0
		.amdhsa_system_sgpr_private_segment_wavefront_offset 0
		.amdhsa_system_sgpr_workgroup_id_x 1
		.amdhsa_system_sgpr_workgroup_id_y 1
		.amdhsa_system_sgpr_workgroup_id_z 1
		.amdhsa_system_sgpr_workgroup_info 0
		.amdhsa_system_vgpr_workitem_id 1
		.amdhsa_next_free_vgpr 128
		.amdhsa_next_free_sgpr 90
		.amdhsa_accum_offset 104
		.amdhsa_reserve_vcc 1
		.amdhsa_reserve_flat_scratch 0
		.amdhsa_float_round_mode_32 0
		.amdhsa_float_round_mode_16_64 0
		.amdhsa_float_denorm_mode_32 3
		.amdhsa_float_denorm_mode_16_64 3
		.amdhsa_dx10_clamp 1
		.amdhsa_ieee_mode 1
		.amdhsa_fp16_overflow 0
		.amdhsa_tg_split 0
		.amdhsa_exception_fp_ieee_invalid_op 0
		.amdhsa_exception_fp_denorm_src 0
		.amdhsa_exception_fp_ieee_div_zero 0
		.amdhsa_exception_fp_ieee_overflow 0
		.amdhsa_exception_fp_ieee_underflow 0
		.amdhsa_exception_fp_ieee_inexact 0
		.amdhsa_exception_int_div_zero 0
	.end_amdhsa_kernel
	.section	.text._ZL9mul_mat_fIfLi64ELi13ELi4ELb0EEvPKT_PKfPKiPfiiiiiiiiiiiiiiii,"axG",@progbits,_ZL9mul_mat_fIfLi64ELi13ELi4ELb0EEvPKT_PKfPKiPfiiiiiiiiiiiiiiii,comdat
.Lfunc_end86:
	.size	_ZL9mul_mat_fIfLi64ELi13ELi4ELb0EEvPKT_PKfPKiPfiiiiiiiiiiiiiiii, .Lfunc_end86-_ZL9mul_mat_fIfLi64ELi13ELi4ELb0EEvPKT_PKfPKiPfiiiiiiiiiiiiiiii
                                        ; -- End function
	.section	.AMDGPU.csdata,"",@progbits
; Kernel info:
; codeLenInByte = 6272
; NumSgprs: 94
; NumVgprs: 103
; NumAgprs: 24
; TotalNumVgprs: 128
; ScratchSize: 0
; MemoryBound: 0
; FloatMode: 240
; IeeeMode: 1
; LDSByteSize: 0 bytes/workgroup (compile time only)
; SGPRBlocks: 11
; VGPRBlocks: 15
; NumSGPRsForWavesPerEU: 94
; NumVGPRsForWavesPerEU: 128
; AccumOffset: 104
; Occupancy: 4
; WaveLimiterHint : 0
; COMPUTE_PGM_RSRC2:SCRATCH_EN: 0
; COMPUTE_PGM_RSRC2:USER_SGPR: 6
; COMPUTE_PGM_RSRC2:TRAP_HANDLER: 0
; COMPUTE_PGM_RSRC2:TGID_X_EN: 1
; COMPUTE_PGM_RSRC2:TGID_Y_EN: 1
; COMPUTE_PGM_RSRC2:TGID_Z_EN: 1
; COMPUTE_PGM_RSRC2:TIDIG_COMP_CNT: 1
; COMPUTE_PGM_RSRC3_GFX90A:ACCUM_OFFSET: 25
; COMPUTE_PGM_RSRC3_GFX90A:TG_SPLIT: 0
	.section	.text._ZL13mul_mat_f_idsIfLi64ELi13ELi5EEvPKT_PKfPKiS6_S6_Pfiiiiiiiiiiiiii15HIP_vector_typeIjLj3EES9_,"axG",@progbits,_ZL13mul_mat_f_idsIfLi64ELi13ELi5EEvPKT_PKfPKiS6_S6_Pfiiiiiiiiiiiiii15HIP_vector_typeIjLj3EES9_,comdat
	.globl	_ZL13mul_mat_f_idsIfLi64ELi13ELi5EEvPKT_PKfPKiS6_S6_Pfiiiiiiiiiiiiii15HIP_vector_typeIjLj3EES9_ ; -- Begin function _ZL13mul_mat_f_idsIfLi64ELi13ELi5EEvPKT_PKfPKiS6_S6_Pfiiiiiiiiiiiiii15HIP_vector_typeIjLj3EES9_
	.p2align	8
	.type	_ZL13mul_mat_f_idsIfLi64ELi13ELi5EEvPKT_PKfPKiS6_S6_Pfiiiiiiiiiiiiii15HIP_vector_typeIjLj3EES9_,@function
_ZL13mul_mat_f_idsIfLi64ELi13ELi5EEvPKT_PKfPKiS6_S6_Pfiiiiiiiiiiiiii15HIP_vector_typeIjLj3EES9_: ; @_ZL13mul_mat_f_idsIfLi64ELi13ELi5EEvPKT_PKfPKiS6_S6_Pfiiiiiiiiiiiiii15HIP_vector_typeIjLj3EES9_
; %bb.0:
	s_load_dwordx2 s[0:1], s[4:5], 0x20
	s_mov_b32 s34, s7
	s_ashr_i32 s35, s7, 31
	s_lshl_b64 s[2:3], s[34:35], 2
	s_waitcnt lgkmcnt(0)
	s_add_u32 s0, s0, s2
	s_addc_u32 s1, s1, s3
	s_load_dwordx2 s[26:27], s[0:1], 0x0
	s_waitcnt lgkmcnt(0)
	s_sub_i32 s33, s27, s26
	s_add_i32 s0, s33, 12
	s_mul_hi_i32 s0, s0, 0x4ec4ec4f
	s_lshr_b32 s1, s0, 31
	s_ashr_i32 s0, s0, 2
	s_add_i32 s0, s0, s1
	s_cmp_ge_i32 s8, s0
	s_cbranch_scc1 .LBB87_56
; %bb.1:
	v_bfe_u32 v82, v0, 10, 10
	v_lshlrev_b32_e32 v84, 6, v82
	v_and_b32_e32 v83, 0x3ff, v0
	s_load_dwordx4 s[12:15], s[4:5], 0x30
	s_load_dwordx2 s[20:21], s[4:5], 0x40
	s_load_dwordx4 s[0:3], s[4:5], 0x4c
	s_load_dwordx4 s[16:19], s[4:5], 0x68
	s_load_dwordx2 s[24:25], s[4:5], 0x78
	v_add_u32_e32 v86, v84, v83
	s_ashr_i32 s27, s26, 31
	s_waitcnt lgkmcnt(0)
	v_cmp_le_i32_e32 vcc, s12, v86
	v_and_b32_e32 v85, 15, v83
                                        ; implicit-def: $sgpr3
	s_and_saveexec_b64 s[10:11], vcc
	s_xor_b64 s[10:11], exec, s[10:11]
; %bb.2:
	v_and_b32_e32 v85, 15, v83
	s_mov_b32 s3, 0
                                        ; implicit-def: $vgpr86
; %bb.3:
	s_or_saveexec_b64 s[22:23], s[10:11]
	s_load_dwordx2 s[10:11], s[4:5], 0x18
                                        ; implicit-def: $vgpr108 : SGPR spill to VGPR lane
	s_lshl_b32 s28, s6, 6
	s_mul_i32 s6, s8, 13
	v_mov_b32_e32 v15, s3
	v_mov_b32_e32 v14, s3
	s_waitcnt lgkmcnt(0)
	v_writelane_b32 v108, s10, 0
	v_writelane_b32 v108, s11, 1
	s_load_dwordx2 s[10:11], s[4:5], 0x28
	v_mov_b32_e32 v13, s3
	v_mov_b32_e32 v12, s3
	;; [unrolled: 1-line block ×4, first 2 shown]
	s_waitcnt lgkmcnt(0)
	v_writelane_b32 v108, s10, 2
	v_writelane_b32 v108, s11, 3
	v_mov_b32_e32 v5, s3
	v_mov_b32_e32 v4, s3
	;; [unrolled: 1-line block ×10, first 2 shown]
	v_writelane_b32 v108, s22, 4
	v_writelane_b32 v108, s23, 5
	s_xor_b64 exec, exec, s[22:23]
	s_cbranch_execz .LBB87_46
; %bb.4:
	v_writelane_b32 v108, s24, 6
	v_writelane_b32 v108, s25, 7
	s_load_dwordx4 s[8:11], s[4:5], 0x0
	s_load_dwordx2 s[22:23], s[4:5], 0x10
	s_mul_i32 s4, s34, s0
	s_mul_i32 s24, s28, s15
	s_ashr_i32 s5, s4, 31
	s_ashr_i32 s25, s24, 31
	s_lshl_b64 s[24:25], s[24:25], 2
	s_lshl_b64 s[4:5], s[4:5], 2
	s_add_u32 s3, s4, s24
	s_addc_u32 s24, s5, s25
	v_writelane_b32 v108, s28, 8
	s_waitcnt lgkmcnt(0)
	s_add_u32 s0, s3, s8
	s_addc_u32 s25, s24, s9
	v_writelane_b32 v108, s26, 9
	s_lshl_b64 s[4:5], s[26:27], 2
	v_writelane_b32 v108, s27, 10
	s_add_u32 s26, s22, s4
	s_addc_u32 s27, s23, s5
	s_movk_i32 s4, 0x1080
	s_cmp_lt_i32 s6, s33
	v_mad_u32_u24 v0, v82, s4, 0
	s_cselect_b64 s[4:5], -1, 0
	s_ashr_i32 s7, s6, 31
	s_lshl_b64 s[22:23], s[6:7], 2
	s_add_u32 s34, s26, s22
	s_addc_u32 s35, s27, s23
	s_add_i32 s7, s6, 1
	s_cmp_lt_i32 s7, s33
	s_cselect_b64 s[36:37], -1, 0
	s_add_i32 s7, s6, 2
	s_cmp_lt_i32 s7, s33
	s_cselect_b64 s[38:39], -1, 0
	;; [unrolled: 3-line block ×3, first 2 shown]
	s_add_i32 s7, s6, 4
	s_cmp_lt_i32 s7, s33
	v_lshrrev_b32_e32 v3, 1, v83
	s_cselect_b64 s[42:43], -1, 0
	s_add_i32 s7, s6, 5
	v_lshlrev_b32_e32 v1, 2, v83
	v_mul_u32_u24_e32 v2, 0x108, v85
	v_and_b32_e32 v3, 0x1f8, v3
	s_cmp_lt_i32 s7, s33
	v_add_u32_e32 v87, v0, v1
	v_add3_u32 v88, v0, v2, v3
	s_cselect_b64 s[44:45], -1, 0
	s_add_i32 s7, s6, 6
	v_lshlrev_b32_e32 v0, 8, v82
	s_cmp_lt_i32 s7, s33
	v_add_co_u32_e32 v0, vcc, s3, v0
	s_mul_i32 s3, s15, 3
	s_cselect_b64 s[46:47], -1, 0
	s_add_i32 s7, s6, 7
	v_writelane_b32 v108, s3, 11
	s_mul_i32 s3, s15, 5
	s_cmp_lt_i32 s7, s33
	v_writelane_b32 v108, s3, 12
	s_mul_i32 s3, s15, 6
	s_cselect_b64 s[48:49], -1, 0
	s_add_i32 s7, s6, 8
	v_writelane_b32 v108, s3, 13
	s_mul_i32 s3, s15, 7
	s_cmp_lt_i32 s7, s33
	v_writelane_b32 v108, s3, 14
	;; [unrolled: 7-line block ×4, first 2 shown]
	s_mul_i32 s3, s15, 13
	s_cselect_b64 s[54:55], -1, 0
	s_add_i32 s7, s6, 11
	v_writelane_b32 v108, s3, 19
	s_mul_i32 s3, s15, 14
	s_cmp_lt_i32 s7, s33
	v_mov_b32_e32 v2, s24
	v_writelane_b32 v108, s3, 20
	s_mul_i32 s3, s15, 15
	s_cselect_b64 s[56:57], -1, 0
	s_add_i32 s7, s6, 12
	v_addc_co_u32_e32 v2, vcc, 0, v2, vcc
	v_writelane_b32 v108, s3, 21
	s_mul_i32 s3, s15, 17
	s_cmp_lt_i32 s7, s33
	v_add_co_u32_e32 v0, vcc, v0, v1
	v_writelane_b32 v108, s3, 22
	s_mul_i32 s3, s15, 18
	s_cselect_b64 s[58:59], -1, 0
	s_ashr_i32 s23, s15, 31
	s_mov_b32 s22, s15
	v_addc_co_u32_e32 v1, vcc, 0, v2, vcc
	v_writelane_b32 v108, s3, 23
	s_mul_i32 s3, s15, 19
	s_lshl_b64 s[60:61], s[22:23], 2
	v_mov_b32_e32 v2, s9
	v_add_co_u32_e32 v16, vcc, s8, v0
	v_writelane_b32 v108, s3, 24
	s_mul_i32 s3, s15, 20
	v_mov_b32_e32 v0, 0
	v_addc_co_u32_e32 v17, vcc, v2, v1, vcc
	s_lshl_b32 s7, s15, 1
	s_lshl_b32 s63, s15, 2
	;; [unrolled: 1-line block ×4, first 2 shown]
	v_writelane_b32 v108, s3, 25
	s_mul_i32 s80, s15, 21
	s_mul_i32 s81, s15, 22
	s_mul_i32 s82, s15, 23
	s_mul_i32 s83, s15, 24
	s_mul_i32 s84, s15, 25
	s_mul_i32 s85, s15, 26
	s_mul_i32 s86, s15, 27
	s_mul_i32 s87, s15, 28
	s_mul_i32 s88, s15, 29
	v_mov_b32_e32 v89, s25
	s_mul_i32 s89, s15, 30
	v_mov_b32_e32 v90, s61
	v_mov_b32_e32 v91, 0
	;; [unrolled: 1-line block ×17, first 2 shown]
	s_mul_i32 s61, s15, 31
	s_lshl_b32 s90, s15, 5
	s_mul_i32 s91, s15, 33
	s_mul_i32 s92, s15, 34
	;; [unrolled: 1-line block ×31, first 2 shown]
	s_mov_b64 s[8:9], 0
	s_branch .LBB87_6
.LBB87_5:                               ;   in Loop: Header=BB87_6 Depth=1
	s_waitcnt vmcnt(0)
	ds_write2_b32 v87, v92, v94 offset1:66
	ds_write2_b32 v87, v93, v96 offset0:132 offset1:198
	v_add_u32_e32 v92, 0x400, v87
	ds_write2_b32 v92, v95, v98 offset0:8 offset1:74
	ds_write2_b32 v92, v97, v100 offset0:140 offset1:206
	v_add_u32_e32 v92, 0x800, v87
	ds_write2_b32 v92, v99, v102 offset0:16 offset1:82
	;; [unrolled: 3-line block ×3, first 2 shown]
	ds_write2_b32 v92, v91, v91 offset0:156 offset1:222
	ds_read2_b64 v[92:95], v88 offset1:4
	v_add_co_u32_e32 v16, vcc, 0x500, v16
	s_waitcnt lgkmcnt(0)
	v_mfma_f32_16x16x4f32 v[0:3], v46, v92, v[0:3]
	v_add_u32_e32 v86, 0x140, v86
	v_addc_co_u32_e32 v17, vcc, 0, v17, vcc
	v_cmp_le_i32_e32 vcc, s12, v86
	s_or_b64 s[8:9], vcc, s[8:9]
	v_mfma_f32_16x16x4f32 v[8:11], v58, v92, v[8:11]
	v_mfma_f32_16x16x4f32 v[4:7], v64, v92, v[4:7]
	v_mfma_f32_16x16x4f32 v[12:15], v80, v92, v[12:15]
	v_mfma_f32_16x16x4f32 v[0:3], v47, v93, v[0:3]
	v_mfma_f32_16x16x4f32 v[8:11], v59, v93, v[8:11]
	v_mfma_f32_16x16x4f32 v[4:7], v65, v93, v[4:7]
	v_mfma_f32_16x16x4f32 v[12:15], v81, v93, v[12:15]
	v_mfma_f32_16x16x4f32 v[0:3], v40, v94, v[0:3]
	v_mfma_f32_16x16x4f32 v[8:11], v54, v94, v[8:11]
	v_mfma_f32_16x16x4f32 v[4:7], v62, v94, v[4:7]
	v_mfma_f32_16x16x4f32 v[12:15], v78, v94, v[12:15]
	v_mfma_f32_16x16x4f32 v[0:3], v41, v95, v[0:3]
	v_mfma_f32_16x16x4f32 v[8:11], v55, v95, v[8:11]
	v_mfma_f32_16x16x4f32 v[4:7], v63, v95, v[4:7]
	ds_read2_b64 v[62:65], v88 offset0:8 offset1:12
	v_mfma_f32_16x16x4f32 v[12:15], v79, v95, v[12:15]
	s_waitcnt lgkmcnt(0)
	v_mfma_f32_16x16x4f32 v[0:3], v34, v62, v[0:3]
	v_mfma_f32_16x16x4f32 v[8:11], v50, v62, v[8:11]
	;; [unrolled: 1-line block ×14, first 2 shown]
	ds_read2_b64 v[44:47], v88 offset0:16 offset1:20
	v_mfma_f32_16x16x4f32 v[4:7], v57, v65, v[4:7]
	v_mfma_f32_16x16x4f32 v[12:15], v75, v65, v[12:15]
	s_waitcnt lgkmcnt(0)
	v_mfma_f32_16x16x4f32 v[0:3], v26, v44, v[0:3]
	v_mfma_f32_16x16x4f32 v[8:11], v38, v44, v[8:11]
	;; [unrolled: 1-line block ×14, first 2 shown]
	ds_read2_b64 v[30:33], v88 offset0:24 offset1:28
	v_mfma_f32_16x16x4f32 v[4:7], v49, v47, v[4:7]
	v_mfma_f32_16x16x4f32 v[12:15], v71, v47, v[12:15]
	s_waitcnt lgkmcnt(0)
	v_mfma_f32_16x16x4f32 v[0:3], v20, v30, v[0:3]
	v_mfma_f32_16x16x4f32 v[8:11], v28, v30, v[8:11]
	;; [unrolled: 1-line block ×16, first 2 shown]
	s_andn2_b64 exec, exec, s[8:9]
	s_cbranch_execz .LBB87_45
.LBB87_6:                               ; =>This Inner Loop Header: Depth=1
	v_add_co_u32_e32 v18, vcc, s60, v16
	v_addc_co_u32_e32 v19, vcc, v17, v90, vcc
	global_load_dword v30, v[16:17], off
	global_load_dword v31, v[18:19], off
	v_add_u32_e32 v18, s7, v86
	v_ashrrev_i32_e32 v19, 31, v18
	v_readlane_b32 s79, v108, 11
	v_lshlrev_b64 v[18:19], 2, v[18:19]
	v_add_u32_e32 v20, s79, v86
	v_add_co_u32_e32 v18, vcc, s0, v18
	v_ashrrev_i32_e32 v21, 31, v20
	v_addc_co_u32_e32 v19, vcc, v89, v19, vcc
	v_lshlrev_b64 v[20:21], 2, v[20:21]
	v_add_u32_e32 v22, s63, v86
	v_add_co_u32_e32 v20, vcc, s0, v20
	v_ashrrev_i32_e32 v23, 31, v22
	v_readlane_b32 s79, v108, 12
	v_addc_co_u32_e32 v21, vcc, v89, v21, vcc
	v_lshlrev_b64 v[22:23], 2, v[22:23]
	v_add_u32_e32 v24, s79, v86
	v_add_co_u32_e32 v22, vcc, s0, v22
	v_ashrrev_i32_e32 v25, 31, v24
	v_readlane_b32 s79, v108, 13
	;; [unrolled: 6-line block ×3, first 2 shown]
	v_addc_co_u32_e32 v25, vcc, v89, v25, vcc
	v_lshlrev_b64 v[26:27], 2, v[26:27]
	v_add_u32_e32 v28, s79, v86
	v_add_co_u32_e32 v26, vcc, s0, v26
	v_ashrrev_i32_e32 v29, 31, v28
	v_addc_co_u32_e32 v27, vcc, v89, v27, vcc
	v_lshlrev_b64 v[28:29], 2, v[28:29]
	v_add_co_u32_e32 v28, vcc, s0, v28
	v_addc_co_u32_e32 v29, vcc, v89, v29, vcc
	global_load_dword v32, v[18:19], off
	global_load_dword v33, v[20:21], off
	;; [unrolled: 1-line block ×3, first 2 shown]
	s_nop 0
	global_load_dword v24, v[24:25], off
	s_nop 0
	global_load_dword v25, v[26:27], off
	;; [unrolled: 2-line block ×3, first 2 shown]
	v_add_u32_e32 v18, s67, v86
	v_readlane_b32 s79, v108, 15
	v_ashrrev_i32_e32 v19, 31, v18
	v_add_u32_e32 v20, s79, v86
	v_lshlrev_b64 v[18:19], 2, v[18:19]
	v_readlane_b32 s79, v108, 16
	v_ashrrev_i32_e32 v21, 31, v20
	v_add_co_u32_e32 v18, vcc, s0, v18
	v_add_u32_e32 v22, s79, v86
	v_lshlrev_b64 v[20:21], 2, v[20:21]
	v_addc_co_u32_e32 v19, vcc, v89, v19, vcc
	v_ashrrev_i32_e32 v23, 31, v22
	v_add_co_u32_e32 v20, vcc, s0, v20
	v_readlane_b32 s79, v108, 17
	v_lshlrev_b64 v[22:23], 2, v[22:23]
	v_addc_co_u32_e32 v21, vcc, v89, v21, vcc
	global_load_dword v18, v[18:19], off
	s_nop 0
	global_load_dword v19, v[20:21], off
	v_add_u32_e32 v20, s79, v86
	v_add_co_u32_e32 v22, vcc, s0, v22
	v_ashrrev_i32_e32 v21, 31, v20
	v_addc_co_u32_e32 v23, vcc, v89, v23, vcc
	v_lshlrev_b64 v[20:21], 2, v[20:21]
	v_readlane_b32 s79, v108, 18
	v_add_u32_e32 v38, s82, v86
	v_ashrrev_i32_e32 v39, 31, v38
	v_lshlrev_b64 v[38:39], 2, v[38:39]
	v_add_u32_e32 v40, s83, v86
	v_ashrrev_i32_e32 v41, 31, v40
	v_lshlrev_b64 v[40:41], 2, v[40:41]
	;; [unrolled: 3-line block ×4, first 2 shown]
	v_add_u32_e32 v58, s23, v86
	v_ashrrev_i32_e32 v59, 31, v58
	s_waitcnt vmcnt(9)
	ds_write_b32 v87, v30
	s_waitcnt vmcnt(8)
	ds_write_b32 v87, v31 offset:264
	s_waitcnt vmcnt(7)
	ds_write_b32 v87, v32 offset:528
	;; [unrolled: 2-line block ×7, first 2 shown]
	v_add_co_u32_e32 v24, vcc, s0, v20
	v_add_u32_e32 v20, s79, v86
	v_addc_co_u32_e32 v25, vcc, v89, v21, vcc
	v_ashrrev_i32_e32 v21, 31, v20
	v_lshlrev_b64 v[20:21], 2, v[20:21]
	v_readlane_b32 s79, v108, 19
	v_add_co_u32_e32 v26, vcc, s0, v20
	v_add_u32_e32 v20, s79, v86
	v_addc_co_u32_e32 v27, vcc, v89, v21, vcc
	v_ashrrev_i32_e32 v21, 31, v20
	v_lshlrev_b64 v[20:21], 2, v[20:21]
	v_readlane_b32 s79, v108, 20
	;; [unrolled: 6-line block ×3, first 2 shown]
	v_add_co_u32_e32 v30, vcc, s0, v20
	v_add_u32_e32 v20, s79, v86
	v_addc_co_u32_e32 v31, vcc, v89, v21, vcc
	v_ashrrev_i32_e32 v21, 31, v20
	v_lshlrev_b64 v[20:21], 2, v[20:21]
	v_add_co_u32_e32 v32, vcc, s0, v20
	v_add_u32_e32 v20, s75, v86
	v_addc_co_u32_e32 v33, vcc, v89, v21, vcc
	v_ashrrev_i32_e32 v21, 31, v20
	v_lshlrev_b64 v[20:21], 2, v[20:21]
	v_readlane_b32 s79, v108, 22
	v_add_co_u32_e32 v34, vcc, s0, v20
	v_add_u32_e32 v20, s79, v86
	v_addc_co_u32_e32 v35, vcc, v89, v21, vcc
	v_ashrrev_i32_e32 v21, 31, v20
	v_lshlrev_b64 v[20:21], 2, v[20:21]
	v_add_co_u32_e32 v36, vcc, s0, v20
	v_readlane_b32 s79, v108, 23
	v_addc_co_u32_e32 v37, vcc, v89, v21, vcc
	global_load_dword v20, v[22:23], off
	global_load_dword v21, v[24:25], off
	s_nop 0
	global_load_dword v22, v[26:27], off
	global_load_dword v23, v[28:29], off
	s_nop 0
	global_load_dword v26, v[30:31], off
	global_load_dword v27, v[32:33], off
	;; [unrolled: 1-line block ×4, first 2 shown]
	v_add_u32_e32 v28, s79, v86
	v_ashrrev_i32_e32 v29, 31, v28
	v_readlane_b32 s79, v108, 24
	v_lshlrev_b64 v[28:29], 2, v[28:29]
	v_add_u32_e32 v30, s79, v86
	v_add_co_u32_e32 v28, vcc, s0, v28
	v_ashrrev_i32_e32 v31, 31, v30
	v_readlane_b32 s79, v108, 25
	v_addc_co_u32_e32 v29, vcc, v89, v29, vcc
	v_lshlrev_b64 v[30:31], 2, v[30:31]
	v_add_u32_e32 v32, s79, v86
	v_add_co_u32_e32 v30, vcc, s0, v30
	v_ashrrev_i32_e32 v33, 31, v32
	v_addc_co_u32_e32 v31, vcc, v89, v31, vcc
	v_lshlrev_b64 v[32:33], 2, v[32:33]
	v_add_u32_e32 v34, s80, v86
	v_add_co_u32_e32 v32, vcc, s0, v32
	v_ashrrev_i32_e32 v35, 31, v34
	;; [unrolled: 5-line block ×3, first 2 shown]
	v_addc_co_u32_e32 v35, vcc, v89, v35, vcc
	v_lshlrev_b64 v[36:37], 2, v[36:37]
	v_add_co_u32_e32 v36, vcc, s0, v36
	v_addc_co_u32_e32 v37, vcc, v89, v37, vcc
	v_add_co_u32_e32 v38, vcc, s0, v38
	v_addc_co_u32_e32 v39, vcc, v89, v39, vcc
	;; [unrolled: 2-line block ×4, first 2 shown]
	global_load_dword v28, v[28:29], off
	s_nop 0
	global_load_dword v29, v[30:31], off
	s_nop 0
	;; [unrolled: 2-line block ×6, first 2 shown]
	global_load_dword v38, v[40:41], off
	global_load_dword v39, v[42:43], off
	v_add_u32_e32 v30, s85, v86
	v_ashrrev_i32_e32 v31, 31, v30
	v_lshlrev_b64 v[30:31], 2, v[30:31]
	v_add_u32_e32 v34, s86, v86
	v_add_co_u32_e32 v30, vcc, s0, v30
	v_ashrrev_i32_e32 v35, 31, v34
	v_addc_co_u32_e32 v31, vcc, v89, v31, vcc
	v_lshlrev_b64 v[34:35], 2, v[34:35]
	v_add_u32_e32 v40, s87, v86
	v_add_co_u32_e32 v34, vcc, s0, v34
	v_ashrrev_i32_e32 v41, 31, v40
	v_addc_co_u32_e32 v35, vcc, v89, v35, vcc
	;; [unrolled: 5-line block ×3, first 2 shown]
	v_lshlrev_b64 v[42:43], 2, v[42:43]
	v_add_co_u32_e32 v42, vcc, s0, v42
	v_addc_co_u32_e32 v43, vcc, v89, v43, vcc
	v_add_co_u32_e32 v46, vcc, s0, v44
	v_add_u32_e32 v44, s61, v86
	v_addc_co_u32_e32 v47, vcc, v89, v45, vcc
	v_ashrrev_i32_e32 v45, 31, v44
	v_lshlrev_b64 v[44:45], 2, v[44:45]
	v_add_co_u32_e32 v52, vcc, s0, v44
	v_add_u32_e32 v44, s90, v86
	v_addc_co_u32_e32 v53, vcc, v89, v45, vcc
	v_ashrrev_i32_e32 v45, 31, v44
	v_lshlrev_b64 v[44:45], 2, v[44:45]
	;; [unrolled: 5-line block ×3, first 2 shown]
	v_add_co_u32_e32 v56, vcc, s0, v44
	v_addc_co_u32_e32 v57, vcc, v89, v45, vcc
	global_load_dword v44, v[30:31], off
	global_load_dword v45, v[34:35], off
	global_load_dword v48, v[40:41], off
	global_load_dword v49, v[42:43], off
	global_load_dword v50, v[46:47], off
	global_load_dword v51, v[52:53], off
	s_nop 0
	global_load_dword v42, v[54:55], off
	global_load_dword v43, v[56:57], off
	v_add_u32_e32 v30, s92, v86
	v_ashrrev_i32_e32 v31, 31, v30
	v_lshlrev_b64 v[30:31], 2, v[30:31]
	v_add_u32_e32 v34, s93, v86
	v_add_co_u32_e32 v30, vcc, s0, v30
	v_ashrrev_i32_e32 v35, 31, v34
	v_addc_co_u32_e32 v31, vcc, v89, v31, vcc
	v_lshlrev_b64 v[34:35], 2, v[34:35]
	v_add_u32_e32 v40, s94, v86
	v_add_co_u32_e32 v34, vcc, s0, v34
	v_ashrrev_i32_e32 v41, 31, v40
	v_addc_co_u32_e32 v35, vcc, v89, v35, vcc
	;; [unrolled: 5-line block ×6, first 2 shown]
	v_lshlrev_b64 v[56:57], 2, v[56:57]
	v_add_co_u32_e32 v56, vcc, s0, v56
	v_addc_co_u32_e32 v57, vcc, v89, v57, vcc
	v_lshlrev_b64 v[58:59], 2, v[58:59]
	v_add_co_u32_e32 v58, vcc, s0, v58
	v_addc_co_u32_e32 v59, vcc, v89, v59, vcc
	global_load_dword v60, v[30:31], off
	global_load_dword v61, v[34:35], off
	;; [unrolled: 1-line block ×8, first 2 shown]
	v_add_u32_e32 v30, s28, v86
	v_ashrrev_i32_e32 v31, 31, v30
	v_lshlrev_b64 v[30:31], 2, v[30:31]
	v_add_u32_e32 v34, s29, v86
	v_add_co_u32_e32 v30, vcc, s0, v30
	v_ashrrev_i32_e32 v35, 31, v34
	v_addc_co_u32_e32 v31, vcc, v89, v31, vcc
	v_lshlrev_b64 v[34:35], 2, v[34:35]
	v_add_u32_e32 v40, s3, v86
	v_add_co_u32_e32 v34, vcc, s0, v34
	v_ashrrev_i32_e32 v41, 31, v40
	v_addc_co_u32_e32 v35, vcc, v89, v35, vcc
	v_lshlrev_b64 v[40:41], 2, v[40:41]
	v_add_u32_e32 v46, s30, v86
	v_add_co_u32_e32 v40, vcc, s0, v40
	v_ashrrev_i32_e32 v47, 31, v46
	v_addc_co_u32_e32 v41, vcc, v89, v41, vcc
	v_lshlrev_b64 v[46:47], 2, v[46:47]
	v_add_u32_e32 v52, s31, v86
	v_add_co_u32_e32 v46, vcc, s0, v46
	v_ashrrev_i32_e32 v53, 31, v52
	v_addc_co_u32_e32 v47, vcc, v89, v47, vcc
	v_lshlrev_b64 v[52:53], 2, v[52:53]
	v_add_u32_e32 v54, s26, v86
	v_add_co_u32_e32 v52, vcc, s0, v52
	v_ashrrev_i32_e32 v55, 31, v54
	v_addc_co_u32_e32 v53, vcc, v89, v53, vcc
	v_lshlrev_b64 v[54:55], 2, v[54:55]
	v_add_u32_e32 v56, s27, v86
	v_add_co_u32_e32 v54, vcc, s0, v54
	v_ashrrev_i32_e32 v57, 31, v56
	v_addc_co_u32_e32 v55, vcc, v89, v55, vcc
	v_lshlrev_b64 v[56:57], 2, v[56:57]
	v_add_u32_e32 v58, s62, v86
	v_add_co_u32_e32 v56, vcc, s0, v56
	v_ashrrev_i32_e32 v59, 31, v58
	v_addc_co_u32_e32 v57, vcc, v89, v57, vcc
	v_lshlrev_b64 v[58:59], 2, v[58:59]
	v_add_co_u32_e32 v58, vcc, s0, v58
	v_addc_co_u32_e32 v59, vcc, v89, v59, vcc
	global_load_dword v68, v[30:31], off
	global_load_dword v69, v[34:35], off
	;; [unrolled: 1-line block ×8, first 2 shown]
	v_add_u32_e32 v30, s64, v86
	v_ashrrev_i32_e32 v31, 31, v30
	v_lshlrev_b64 v[30:31], 2, v[30:31]
	v_add_u32_e32 v34, s65, v86
	v_add_co_u32_e32 v30, vcc, s0, v30
	v_ashrrev_i32_e32 v35, 31, v34
	v_addc_co_u32_e32 v31, vcc, v89, v31, vcc
	v_lshlrev_b64 v[34:35], 2, v[34:35]
	v_add_u32_e32 v40, s66, v86
	v_add_co_u32_e32 v34, vcc, s0, v34
	v_ashrrev_i32_e32 v41, 31, v40
	v_addc_co_u32_e32 v35, vcc, v89, v35, vcc
	;; [unrolled: 5-line block ×7, first 2 shown]
	v_lshlrev_b64 v[58:59], 2, v[58:59]
	v_add_co_u32_e32 v58, vcc, s0, v58
	v_addc_co_u32_e32 v59, vcc, v89, v59, vcc
	global_load_dword v76, v[30:31], off
	global_load_dword v77, v[34:35], off
	;; [unrolled: 1-line block ×8, first 2 shown]
	v_add_u32_e32 v30, s73, v86
	v_ashrrev_i32_e32 v31, 31, v30
	v_lshlrev_b64 v[30:31], 2, v[30:31]
	v_add_u32_e32 v34, s74, v86
	v_add_co_u32_e32 v30, vcc, s0, v30
	v_ashrrev_i32_e32 v35, 31, v34
	v_addc_co_u32_e32 v31, vcc, v89, v31, vcc
	v_lshlrev_b64 v[34:35], 2, v[34:35]
	v_add_u32_e32 v40, s76, v86
	v_add_co_u32_e32 v34, vcc, s0, v34
	v_ashrrev_i32_e32 v41, 31, v40
	v_addc_co_u32_e32 v35, vcc, v89, v35, vcc
	;; [unrolled: 5-line block ×5, first 2 shown]
	v_lshlrev_b64 v[54:55], 2, v[54:55]
	v_add_co_u32_e32 v54, vcc, s0, v54
	v_addc_co_u32_e32 v55, vcc, v89, v55, vcc
	global_load_dword v94, v[30:31], off
	global_load_dword v95, v[34:35], off
	;; [unrolled: 1-line block ×6, first 2 shown]
	s_waitcnt vmcnt(55)
	ds_write_b32 v87, v18 offset:2112
	s_waitcnt vmcnt(54)
	ds_write_b32 v87, v19 offset:2376
	s_waitcnt vmcnt(53)
	ds_write_b32 v87, v20 offset:2640
	s_waitcnt vmcnt(52)
	ds_write_b32 v87, v21 offset:2904
	s_waitcnt vmcnt(51)
	ds_write_b32 v87, v22 offset:3168
	s_waitcnt vmcnt(50)
	ds_write_b32 v87, v23 offset:3432
	s_waitcnt vmcnt(49)
	ds_write_b32 v87, v26 offset:3696
	s_waitcnt vmcnt(48)
	ds_write_b32 v87, v27 offset:3960
	ds_read_b64 v[46:47], v88
	ds_read_b64 v[40:41], v88 offset:32
	ds_read_b64 v[34:35], v88 offset:64
	ds_read_b64 v[30:31], v88 offset:96
	ds_read_b64 v[26:27], v88 offset:128
	ds_read_b64 v[22:23], v88 offset:160
	ds_read_b64 v[20:21], v88 offset:192
	ds_read_b64 v[18:19], v88 offset:224
	s_waitcnt vmcnt(47)
	ds_write_b32 v87, v24
	s_waitcnt vmcnt(46)
	ds_write_b32 v87, v25 offset:264
	s_waitcnt vmcnt(45)
	ds_write_b32 v87, v28 offset:528
	s_waitcnt vmcnt(44)
	ds_write_b32 v87, v29 offset:792
	s_waitcnt vmcnt(43)
	ds_write_b32 v87, v32 offset:1056
	s_waitcnt vmcnt(42)
	ds_write_b32 v87, v33 offset:1320
	s_waitcnt vmcnt(41)
	ds_write_b32 v87, v36 offset:1584
	s_waitcnt vmcnt(40)
	ds_write_b32 v87, v37 offset:1848
	s_waitcnt vmcnt(39)
	ds_write_b32 v87, v38 offset:2112
	s_waitcnt vmcnt(38)
	ds_write_b32 v87, v39 offset:2376
	s_waitcnt vmcnt(37)
	ds_write_b32 v87, v44 offset:2640
	s_waitcnt vmcnt(36)
	ds_write_b32 v87, v45 offset:2904
	s_waitcnt vmcnt(35)
	ds_write_b32 v87, v48 offset:3168
	s_waitcnt vmcnt(34)
	ds_write_b32 v87, v49 offset:3432
	s_waitcnt vmcnt(33)
	ds_write_b32 v87, v50 offset:3696
	s_waitcnt vmcnt(32)
	ds_write_b32 v87, v51 offset:3960
	ds_read_b64 v[58:59], v88
	ds_read_b64 v[54:55], v88 offset:32
	ds_read_b64 v[50:51], v88 offset:64
	ds_read_b64 v[44:45], v88 offset:96
	ds_read_b64 v[38:39], v88 offset:128
	ds_read_b64 v[32:33], v88 offset:160
	ds_read_b64 v[28:29], v88 offset:192
	ds_read_b64 v[24:25], v88 offset:224
	s_waitcnt vmcnt(31)
	ds_write_b32 v87, v42
	s_waitcnt vmcnt(30)
	ds_write_b32 v87, v43 offset:264
	s_waitcnt vmcnt(29)
	ds_write_b32 v87, v60 offset:528
	s_waitcnt vmcnt(28)
	ds_write_b32 v87, v61 offset:792
	s_waitcnt vmcnt(27)
	ds_write_b32 v87, v62 offset:1056
	s_waitcnt vmcnt(26)
	ds_write_b32 v87, v63 offset:1320
	s_waitcnt vmcnt(25)
	ds_write_b32 v87, v64 offset:1584
	s_waitcnt vmcnt(24)
	ds_write_b32 v87, v65 offset:1848
	;; [unrolled: 40-line block ×3, first 2 shown]
	s_waitcnt vmcnt(7)
	ds_write_b32 v87, v92 offset:2112
	s_waitcnt vmcnt(6)
	ds_write_b32 v87, v93 offset:2376
	;; [unrolled: 2-line block ×8, first 2 shown]
	ds_read_b64 v[80:81], v88
	ds_read_b64 v[78:79], v88 offset:32
	ds_read_b64 v[76:77], v88 offset:64
	;; [unrolled: 1-line block ×7, first 2 shown]
	s_andn2_b64 vcc, exec, s[4:5]
	v_mov_b32_e32 v92, 0
	s_cbranch_vccnz .LBB87_9
; %bb.7:                                ;   in Loop: Header=BB87_6 Depth=1
	s_load_dword vcc_lo, s[34:35], 0x0
	v_mov_b32_e32 v92, 0
	s_waitcnt lgkmcnt(0)
	s_mul_hi_u32 vcc_hi, vcc_lo, s16
	s_add_i32 vcc_hi, vcc_lo, vcc_hi
	s_lshr_b32 s79, vcc_hi, s17
	s_cmp_ge_i32 s79, s13
	s_cbranch_scc1 .LBB87_9
; %bb.8:                                ;   in Loop: Header=BB87_6 Depth=1
	s_mul_i32 vcc_hi, s79, s18
	s_sub_i32 vcc_lo, vcc_lo, vcc_hi
	s_mul_i32 vcc_lo, vcc_lo, s1
	s_mul_i32 s79, s79, s20
	s_add_i32 s79, s79, vcc_lo
	v_add_u32_e32 v92, s79, v86
	v_ashrrev_i32_e32 v93, 31, v92
	v_lshlrev_b64 v[92:93], 2, v[92:93]
	v_mov_b32_e32 v94, s11
	v_add_co_u32_e32 v92, vcc, s10, v92
	v_addc_co_u32_e32 v93, vcc, v94, v93, vcc
	global_load_dword v92, v[92:93], off
.LBB87_9:                               ;   in Loop: Header=BB87_6 Depth=1
	s_andn2_b64 vcc, exec, s[36:37]
	v_mov_b32_e32 v93, 0
	v_mov_b32_e32 v94, 0
	s_cbranch_vccnz .LBB87_12
; %bb.10:                               ;   in Loop: Header=BB87_6 Depth=1
	s_load_dword vcc_lo, s[34:35], 0x4
	v_mov_b32_e32 v94, 0
	s_waitcnt lgkmcnt(0)
	s_mul_hi_u32 s79, vcc_lo, s16
	s_add_i32 s79, vcc_lo, s79
	s_lshr_b32 vcc_hi, s79, s17
	s_cmp_ge_i32 vcc_hi, s13
	s_cbranch_scc1 .LBB87_12
; %bb.11:                               ;   in Loop: Header=BB87_6 Depth=1
	s_mul_i32 s79, vcc_hi, s18
	s_sub_i32 s79, vcc_lo, s79
	s_mul_i32 s79, s79, s1
	s_mul_i32 vcc_lo, vcc_hi, s20
	s_add_i32 vcc_lo, vcc_lo, s79
	v_add_u32_e32 v94, vcc_lo, v86
	v_ashrrev_i32_e32 v95, 31, v94
	v_lshlrev_b64 v[94:95], 2, v[94:95]
	v_mov_b32_e32 v96, s11
	v_add_co_u32_e32 v94, vcc, s10, v94
	v_addc_co_u32_e32 v95, vcc, v96, v95, vcc
	global_load_dword v94, v[94:95], off
.LBB87_12:                              ;   in Loop: Header=BB87_6 Depth=1
	s_andn2_b64 vcc, exec, s[38:39]
	s_cbranch_vccnz .LBB87_15
; %bb.13:                               ;   in Loop: Header=BB87_6 Depth=1
	s_load_dword vcc_lo, s[34:35], 0x8
	v_mov_b32_e32 v93, 0
	s_waitcnt lgkmcnt(0)
	s_mul_hi_u32 s79, vcc_lo, s16
	s_add_i32 s79, vcc_lo, s79
	s_lshr_b32 vcc_hi, s79, s17
	s_cmp_ge_i32 vcc_hi, s13
	s_cbranch_scc1 .LBB87_15
; %bb.14:                               ;   in Loop: Header=BB87_6 Depth=1
	s_mul_i32 s79, vcc_hi, s18
	s_sub_i32 s79, vcc_lo, s79
	s_mul_i32 s79, s79, s1
	s_mul_i32 vcc_lo, vcc_hi, s20
	s_add_i32 vcc_lo, vcc_lo, s79
	v_add_u32_e32 v96, vcc_lo, v86
	v_ashrrev_i32_e32 v97, 31, v96
	v_lshlrev_b64 v[96:97], 2, v[96:97]
	v_mov_b32_e32 v93, s11
	v_add_co_u32_e32 v96, vcc, s10, v96
	v_addc_co_u32_e32 v97, vcc, v93, v97, vcc
	global_load_dword v93, v[96:97], off
.LBB87_15:                              ;   in Loop: Header=BB87_6 Depth=1
	s_andn2_b64 vcc, exec, s[40:41]
	v_mov_b32_e32 v95, 0
	v_mov_b32_e32 v96, 0
	s_cbranch_vccnz .LBB87_18
; %bb.16:                               ;   in Loop: Header=BB87_6 Depth=1
	s_load_dword vcc_lo, s[34:35], 0xc
	v_mov_b32_e32 v96, 0
	s_waitcnt lgkmcnt(0)
	s_mul_hi_u32 s79, vcc_lo, s16
	s_add_i32 s79, vcc_lo, s79
	s_lshr_b32 vcc_hi, s79, s17
	s_cmp_ge_i32 vcc_hi, s13
	s_cbranch_scc1 .LBB87_18
; %bb.17:                               ;   in Loop: Header=BB87_6 Depth=1
	s_mul_i32 s79, vcc_hi, s18
	s_sub_i32 s79, vcc_lo, s79
	s_mul_i32 s79, s79, s1
	s_mul_i32 vcc_lo, vcc_hi, s20
	s_add_i32 vcc_lo, vcc_lo, s79
	v_add_u32_e32 v96, vcc_lo, v86
	v_ashrrev_i32_e32 v97, 31, v96
	v_lshlrev_b64 v[96:97], 2, v[96:97]
	v_mov_b32_e32 v98, s11
	v_add_co_u32_e32 v96, vcc, s10, v96
	v_addc_co_u32_e32 v97, vcc, v98, v97, vcc
	global_load_dword v96, v[96:97], off
.LBB87_18:                              ;   in Loop: Header=BB87_6 Depth=1
	s_andn2_b64 vcc, exec, s[42:43]
	s_cbranch_vccnz .LBB87_21
; %bb.19:                               ;   in Loop: Header=BB87_6 Depth=1
	s_load_dword vcc_lo, s[34:35], 0x10
	v_mov_b32_e32 v95, 0
	s_waitcnt lgkmcnt(0)
	s_mul_hi_u32 s79, vcc_lo, s16
	s_add_i32 s79, vcc_lo, s79
	s_lshr_b32 vcc_hi, s79, s17
	s_cmp_ge_i32 vcc_hi, s13
	s_cbranch_scc1 .LBB87_21
; %bb.20:                               ;   in Loop: Header=BB87_6 Depth=1
	s_mul_i32 s79, vcc_hi, s18
	s_sub_i32 s79, vcc_lo, s79
	s_mul_i32 s79, s79, s1
	s_mul_i32 vcc_lo, vcc_hi, s20
	s_add_i32 vcc_lo, vcc_lo, s79
	v_add_u32_e32 v98, vcc_lo, v86
	v_ashrrev_i32_e32 v99, 31, v98
	v_lshlrev_b64 v[98:99], 2, v[98:99]
	v_mov_b32_e32 v95, s11
	v_add_co_u32_e32 v98, vcc, s10, v98
	v_addc_co_u32_e32 v99, vcc, v95, v99, vcc
	global_load_dword v95, v[98:99], off
.LBB87_21:                              ;   in Loop: Header=BB87_6 Depth=1
	;; [unrolled: 52-line block ×5, first 2 shown]
	s_andn2_b64 vcc, exec, s[56:57]
	v_mov_b32_e32 v103, 0
	v_mov_b32_e32 v104, 0
	s_cbranch_vccnz .LBB87_42
; %bb.40:                               ;   in Loop: Header=BB87_6 Depth=1
	s_load_dword vcc_lo, s[34:35], 0x2c
	v_mov_b32_e32 v104, 0
	s_waitcnt lgkmcnt(0)
	s_mul_hi_u32 s79, vcc_lo, s16
	s_add_i32 s79, vcc_lo, s79
	s_lshr_b32 vcc_hi, s79, s17
	s_cmp_ge_i32 vcc_hi, s13
	s_cbranch_scc1 .LBB87_42
; %bb.41:                               ;   in Loop: Header=BB87_6 Depth=1
	s_mul_i32 s79, vcc_hi, s18
	s_sub_i32 s79, vcc_lo, s79
	s_mul_i32 s79, s79, s1
	s_mul_i32 vcc_lo, vcc_hi, s20
	s_add_i32 vcc_lo, vcc_lo, s79
	v_add_u32_e32 v104, vcc_lo, v86
	v_ashrrev_i32_e32 v105, 31, v104
	v_lshlrev_b64 v[104:105], 2, v[104:105]
	v_mov_b32_e32 v106, s11
	v_add_co_u32_e32 v104, vcc, s10, v104
	v_addc_co_u32_e32 v105, vcc, v106, v105, vcc
	global_load_dword v104, v[104:105], off
.LBB87_42:                              ;   in Loop: Header=BB87_6 Depth=1
	s_andn2_b64 vcc, exec, s[58:59]
	s_cbranch_vccnz .LBB87_5
; %bb.43:                               ;   in Loop: Header=BB87_6 Depth=1
	s_load_dword vcc_lo, s[34:35], 0x30
	v_mov_b32_e32 v103, 0
	s_waitcnt lgkmcnt(0)
	s_mul_hi_u32 s79, vcc_lo, s16
	s_add_i32 s79, vcc_lo, s79
	s_lshr_b32 vcc_hi, s79, s17
	s_cmp_ge_i32 vcc_hi, s13
	s_cbranch_scc1 .LBB87_5
; %bb.44:                               ;   in Loop: Header=BB87_6 Depth=1
	s_mul_i32 s79, vcc_hi, s18
	s_sub_i32 s79, vcc_lo, s79
	s_mul_i32 s79, s79, s1
	s_mul_i32 vcc_lo, vcc_hi, s20
	s_add_i32 vcc_lo, vcc_lo, s79
	v_add_u32_e32 v106, vcc_lo, v86
	v_ashrrev_i32_e32 v107, 31, v106
	v_lshlrev_b64 v[106:107], 2, v[106:107]
	v_mov_b32_e32 v103, s11
	v_add_co_u32_e32 v106, vcc, s10, v106
	v_addc_co_u32_e32 v107, vcc, v103, v107, vcc
	global_load_dword v103, v[106:107], off
	s_branch .LBB87_5
.LBB87_45:
	s_or_b64 exec, exec, s[8:9]
	v_readlane_b32 s24, v108, 6
	v_readlane_b32 s26, v108, 9
	v_readlane_b32 s25, v108, 7
	v_readlane_b32 s27, v108, 10
	v_readlane_b32 s28, v108, 8
.LBB87_46:
	v_readlane_b32 s0, v108, 4
	v_readlane_b32 s1, v108, 5
	s_or_b64 exec, exec, s[0:1]
	v_mul_u32_u24_e32 v16, 0x508, v85
	v_lshlrev_b32_e32 v17, 2, v84
	v_add3_u32 v16, 0, v16, v17
	v_and_b32_e32 v17, 0x3f0, v83
	v_add_u32_e32 v17, v16, v17
	s_lshl_b64 s[0:1], s[26:27], 2
	v_readlane_b32 s4, v108, 0
	s_barrier
	ds_write2_b32 v17, v0, v1 offset1:1
	ds_write_b32 v17, v2 offset:8
	v_or_b32_e32 v0, 12, v83
	v_readlane_b32 s5, v108, 1
	s_add_u32 s3, s4, s0
	v_and_b32_e32 v0, 0x3fc, v0
	s_addc_u32 s7, s5, s1
	v_add_u32_e32 v0, v16, v0
	ds_write_b32 v0, v3
	ds_write2_b32 v17, v8, v9 offset0:16 offset1:17
	ds_write_b32 v17, v10 offset:72
	ds_write_b32 v0, v11 offset:64
	ds_write2_b32 v17, v4, v5 offset0:32 offset1:33
	ds_write_b32 v17, v6 offset:136
	ds_write_b32 v0, v7 offset:128
	;; [unrolled: 3-line block ×3, first 2 shown]
	s_cmp_gt_i32 s14, 0
	v_add_u32_e32 v0, s6, v82
	s_cselect_b64 s[4:5], -1, 0
	v_cmp_gt_i32_e64 s[0:1], s33, v0
	v_cmp_gt_u32_e32 vcc, 13, v82
	s_and_b64 s[0:1], s[4:5], s[0:1]
	v_lshl_add_u32 v5, v83, 2, 0
	v_add_u32_e32 v4, s28, v83
	v_mul_u32_u24_e32 v6, 0x508, v82
	s_and_b64 s[8:9], vcc, s[0:1]
	s_waitcnt lgkmcnt(0)
	s_barrier
	s_and_saveexec_b64 s[0:1], s[8:9]
	s_cbranch_execz .LBB87_49
; %bb.47:
	v_ashrrev_i32_e32 v1, 31, v0
	v_lshlrev_b64 v[2:3], 2, v[0:1]
	v_mov_b32_e32 v1, s7
	v_add_co_u32_e32 v2, vcc, s3, v2
	v_addc_co_u32_e32 v3, vcc, v1, v3, vcc
	global_load_dword v2, v[2:3], off
	s_waitcnt vmcnt(0)
	v_mul_hi_u32 v1, v2, s19
	v_add_u32_e32 v1, v2, v1
	v_lshrrev_b32_e32 v1, s24, v1
	v_cmp_gt_i32_e32 vcc, s13, v1
	s_and_b64 exec, exec, vcc
	s_cbranch_execz .LBB87_49
; %bb.48:
	v_add_u32_e32 v3, v5, v6
	ds_read2st64_b32 v[8:9], v3 offset1:1
	ds_read2st64_b32 v[10:11], v3 offset0:2 offset1:3
	ds_read_b32 v3, v3 offset:1024
	v_mul_lo_u32 v7, v1, s25
	v_sub_u32_e32 v2, v2, v7
	v_mul_lo_u32 v2, v2, s2
	s_waitcnt lgkmcnt(2)
	v_add_f32_e32 v7, 0, v8
	v_add_f32_e32 v7, v7, v9
	s_waitcnt lgkmcnt(1)
	v_add_f32_e32 v7, v7, v10
	v_add_f32_e32 v7, v7, v11
	v_mul_lo_u32 v1, v1, s21
	s_waitcnt lgkmcnt(0)
	v_add_f32_e32 v7, v7, v3
	v_add3_u32 v2, v4, v1, v2
	v_mov_b32_e32 v3, 0
	v_readlane_b32 s8, v108, 2
	v_lshlrev_b64 v[2:3], 2, v[2:3]
	v_readlane_b32 s9, v108, 3
	v_mov_b32_e32 v1, s9
	v_add_co_u32_e32 v2, vcc, s8, v2
	v_addc_co_u32_e32 v3, vcc, v1, v3, vcc
	global_store_dword v[2:3], v7, off
.LBB87_49:
	s_or_b64 exec, exec, s[0:1]
	v_add_u32_e32 v1, 5, v0
	v_cmp_gt_i32_e64 s[0:1], s33, v1
	v_cmp_gt_u32_e32 vcc, 8, v82
	s_and_b64 s[0:1], s[4:5], s[0:1]
	s_and_b64 s[8:9], vcc, s[0:1]
	s_and_saveexec_b64 s[0:1], s[8:9]
	s_cbranch_execz .LBB87_52
; %bb.50:
	s_ashr_i32 s8, s6, 31
	v_mov_b32_e32 v1, s8
	v_add_co_u32_e32 v2, vcc, s6, v82
	v_addc_co_u32_e32 v3, vcc, 0, v1, vcc
	v_lshlrev_b64 v[2:3], 2, v[2:3]
	v_mov_b32_e32 v1, s7
	v_add_co_u32_e32 v2, vcc, s3, v2
	v_addc_co_u32_e32 v3, vcc, v1, v3, vcc
	global_load_dword v2, v[2:3], off offset:20
	v_mov_b32_e32 v3, 0
	s_waitcnt vmcnt(0)
	v_mul_hi_u32 v1, v2, s19
	v_add_u32_e32 v1, v2, v1
	v_lshrrev_b32_e32 v1, s24, v1
	v_cmp_gt_i32_e32 vcc, s13, v1
	s_and_b64 exec, exec, vcc
	s_cbranch_execz .LBB87_52
; %bb.51:
	v_add_u32_e32 v7, v6, v5
	v_add_u32_e32 v10, 40, v7
	ds_read2st64_b32 v[8:9], v10 offset0:25 offset1:26
	v_mul_lo_u32 v12, v1, s25
	ds_read2st64_b32 v[10:11], v10 offset0:27 offset1:28
	ds_read_b32 v7, v7 offset:7464
	v_sub_u32_e32 v2, v2, v12
	v_mul_lo_u32 v2, v2, s2
	s_waitcnt lgkmcnt(2)
	v_add_f32_e32 v8, 0, v8
	v_mul_lo_u32 v1, v1, s21
	v_add_f32_e32 v8, v8, v9
	v_add3_u32 v2, v4, v1, v2
	v_readlane_b32 s8, v108, 2
	s_waitcnt lgkmcnt(1)
	v_add_f32_e32 v8, v8, v10
	v_lshlrev_b64 v[2:3], 2, v[2:3]
	v_readlane_b32 s9, v108, 3
	v_add_f32_e32 v8, v8, v11
	v_mov_b32_e32 v1, s9
	v_add_co_u32_e32 v2, vcc, s8, v2
	s_waitcnt lgkmcnt(0)
	v_add_f32_e32 v7, v8, v7
	v_addc_co_u32_e32 v3, vcc, v1, v3, vcc
	global_store_dword v[2:3], v7, off
.LBB87_52:
	s_or_b64 exec, exec, s[0:1]
	v_cmp_gt_u32_e32 vcc, 3, v82
	s_and_saveexec_b64 s[0:1], vcc
	s_cbranch_execz .LBB87_56
; %bb.53:
	v_add_u32_e32 v0, 10, v0
	v_cmp_gt_i32_e32 vcc, s33, v0
	s_and_b64 s[0:1], s[4:5], vcc
	s_and_b64 exec, exec, s[0:1]
	s_cbranch_execz .LBB87_56
; %bb.54:
	s_ashr_i32 s0, s6, 31
	v_mov_b32_e32 v1, s0
	v_add_co_u32_e32 v0, vcc, s6, v82
	v_addc_co_u32_e32 v1, vcc, 0, v1, vcc
	v_lshlrev_b64 v[0:1], 2, v[0:1]
	v_mov_b32_e32 v2, s7
	v_add_co_u32_e32 v0, vcc, s3, v0
	v_addc_co_u32_e32 v1, vcc, v2, v1, vcc
	global_load_dword v2, v[0:1], off offset:40
	v_mov_b32_e32 v1, 0
	s_waitcnt vmcnt(0)
	v_mul_hi_u32 v0, v2, s19
	v_add_u32_e32 v0, v2, v0
	v_lshrrev_b32_e32 v0, s24, v0
	v_cmp_gt_i32_e32 vcc, s13, v0
	s_and_b64 exec, exec, vcc
	s_cbranch_execz .LBB87_56
; %bb.55:
	v_add_u32_e32 v3, v5, v6
	v_add_u32_e32 v5, 0x50, v3
	ds_read2st64_b32 v[6:7], v5 offset0:50 offset1:51
	v_mul_lo_u32 v10, v0, s25
	ds_read2st64_b32 v[8:9], v5 offset0:52 offset1:53
	ds_read_b32 v3, v3 offset:13904
	v_sub_u32_e32 v2, v2, v10
	v_mul_lo_u32 v2, v2, s2
	s_waitcnt lgkmcnt(2)
	v_add_f32_e32 v5, 0, v6
	v_mul_lo_u32 v0, v0, s21
	v_add_f32_e32 v5, v5, v7
	v_add3_u32 v0, v4, v0, v2
	v_readlane_b32 s0, v108, 2
	s_waitcnt lgkmcnt(1)
	v_add_f32_e32 v5, v5, v8
	v_lshlrev_b64 v[0:1], 2, v[0:1]
	v_readlane_b32 s1, v108, 3
	v_add_f32_e32 v5, v5, v9
	v_mov_b32_e32 v2, s1
	v_add_co_u32_e32 v0, vcc, s0, v0
	s_waitcnt lgkmcnt(0)
	v_add_f32_e32 v3, v5, v3
	v_addc_co_u32_e32 v1, vcc, v2, v1, vcc
	global_store_dword v[0:1], v3, off
.LBB87_56:
	s_endpgm
	.section	.rodata,"a",@progbits
	.p2align	6, 0x0
	.amdhsa_kernel _ZL13mul_mat_f_idsIfLi64ELi13ELi5EEvPKT_PKfPKiS6_S6_Pfiiiiiiiiiiiiii15HIP_vector_typeIjLj3EES9_
		.amdhsa_group_segment_fixed_size 0
		.amdhsa_private_segment_fixed_size 0
		.amdhsa_kernarg_size 128
		.amdhsa_user_sgpr_count 6
		.amdhsa_user_sgpr_private_segment_buffer 1
		.amdhsa_user_sgpr_dispatch_ptr 0
		.amdhsa_user_sgpr_queue_ptr 0
		.amdhsa_user_sgpr_kernarg_segment_ptr 1
		.amdhsa_user_sgpr_dispatch_id 0
		.amdhsa_user_sgpr_flat_scratch_init 0
		.amdhsa_user_sgpr_kernarg_preload_length 0
		.amdhsa_user_sgpr_kernarg_preload_offset 0
		.amdhsa_user_sgpr_private_segment_size 0
		.amdhsa_uses_dynamic_stack 0
		.amdhsa_system_sgpr_private_segment_wavefront_offset 0
		.amdhsa_system_sgpr_workgroup_id_x 1
		.amdhsa_system_sgpr_workgroup_id_y 1
		.amdhsa_system_sgpr_workgroup_id_z 1
		.amdhsa_system_sgpr_workgroup_info 0
		.amdhsa_system_vgpr_workitem_id 1
		.amdhsa_next_free_vgpr 109
		.amdhsa_next_free_sgpr 96
		.amdhsa_accum_offset 112
		.amdhsa_reserve_vcc 1
		.amdhsa_reserve_flat_scratch 0
		.amdhsa_float_round_mode_32 0
		.amdhsa_float_round_mode_16_64 0
		.amdhsa_float_denorm_mode_32 3
		.amdhsa_float_denorm_mode_16_64 3
		.amdhsa_dx10_clamp 1
		.amdhsa_ieee_mode 1
		.amdhsa_fp16_overflow 0
		.amdhsa_tg_split 0
		.amdhsa_exception_fp_ieee_invalid_op 0
		.amdhsa_exception_fp_denorm_src 0
		.amdhsa_exception_fp_ieee_div_zero 0
		.amdhsa_exception_fp_ieee_overflow 0
		.amdhsa_exception_fp_ieee_underflow 0
		.amdhsa_exception_fp_ieee_inexact 0
		.amdhsa_exception_int_div_zero 0
	.end_amdhsa_kernel
	.section	.text._ZL13mul_mat_f_idsIfLi64ELi13ELi5EEvPKT_PKfPKiS6_S6_Pfiiiiiiiiiiiiii15HIP_vector_typeIjLj3EES9_,"axG",@progbits,_ZL13mul_mat_f_idsIfLi64ELi13ELi5EEvPKT_PKfPKiS6_S6_Pfiiiiiiiiiiiiii15HIP_vector_typeIjLj3EES9_,comdat
.Lfunc_end87:
	.size	_ZL13mul_mat_f_idsIfLi64ELi13ELi5EEvPKT_PKfPKiS6_S6_Pfiiiiiiiiiiiiii15HIP_vector_typeIjLj3EES9_, .Lfunc_end87-_ZL13mul_mat_f_idsIfLi64ELi13ELi5EEvPKT_PKfPKiS6_S6_Pfiiiiiiiiiiiiii15HIP_vector_typeIjLj3EES9_
                                        ; -- End function
	.section	.AMDGPU.csdata,"",@progbits
; Kernel info:
; codeLenInByte = 7452
; NumSgprs: 100
; NumVgprs: 109
; NumAgprs: 0
; TotalNumVgprs: 109
; ScratchSize: 0
; MemoryBound: 0
; FloatMode: 240
; IeeeMode: 1
; LDSByteSize: 0 bytes/workgroup (compile time only)
; SGPRBlocks: 12
; VGPRBlocks: 13
; NumSGPRsForWavesPerEU: 100
; NumVGPRsForWavesPerEU: 109
; AccumOffset: 112
; Occupancy: 4
; WaveLimiterHint : 1
; COMPUTE_PGM_RSRC2:SCRATCH_EN: 0
; COMPUTE_PGM_RSRC2:USER_SGPR: 6
; COMPUTE_PGM_RSRC2:TRAP_HANDLER: 0
; COMPUTE_PGM_RSRC2:TGID_X_EN: 1
; COMPUTE_PGM_RSRC2:TGID_Y_EN: 1
; COMPUTE_PGM_RSRC2:TGID_Z_EN: 1
; COMPUTE_PGM_RSRC2:TIDIG_COMP_CNT: 1
; COMPUTE_PGM_RSRC3_GFX90A:ACCUM_OFFSET: 27
; COMPUTE_PGM_RSRC3_GFX90A:TG_SPLIT: 0
	.section	.text._ZL9mul_mat_fIfLi64ELi13ELi5ELb1EEvPKT_PKfPKiPfiiiiiiiiiiiiiiii,"axG",@progbits,_ZL9mul_mat_fIfLi64ELi13ELi5ELb1EEvPKT_PKfPKiPfiiiiiiiiiiiiiiii,comdat
	.globl	_ZL9mul_mat_fIfLi64ELi13ELi5ELb1EEvPKT_PKfPKiPfiiiiiiiiiiiiiiii ; -- Begin function _ZL9mul_mat_fIfLi64ELi13ELi5ELb1EEvPKT_PKfPKiPfiiiiiiiiiiiiiiii
	.p2align	8
	.type	_ZL9mul_mat_fIfLi64ELi13ELi5ELb1EEvPKT_PKfPKiPfiiiiiiiiiiiiiiii,@function
_ZL9mul_mat_fIfLi64ELi13ELi5ELb1EEvPKT_PKfPKiPfiiiiiiiiiiiiiiii: ; @_ZL9mul_mat_fIfLi64ELi13ELi5ELb1EEvPKT_PKfPKiPfiiiiiiiiiiiiiiii
; %bb.0:
	s_load_dwordx8 s[16:23], s[4:5], 0x20
	v_and_b32_e32 v16, 0x3ff, v0
	v_bfe_u32 v17, v0, 10, 10
	v_cmp_eq_u32_e32 vcc, 0, v16
	s_waitcnt lgkmcnt(0)
	s_add_i32 s0, s17, 12
	s_mul_hi_i32 s0, s0, 0x4ec4ec4f
	s_lshr_b32 s1, s0, 31
	s_ashr_i32 s0, s0, 2
	s_add_i32 s0, s0, s1
	v_cvt_f32_u32_e32 v1, s0
	s_load_dwordx4 s[24:27], s[4:5], 0x44
	s_load_dword s1, s[4:5], 0x64
	s_add_u32 s34, s4, 0x60
	s_addc_u32 s35, s5, 0
	v_rcp_iflag_f32_e32 v1, v1
	s_sub_i32 s2, 0, s0
	v_mul_f32_e32 v1, 0x4f7ffffe, v1
	v_cvt_u32_f32_e32 v1, v1
	v_readfirstlane_b32 s3, v1
	s_mul_i32 s2, s2, s3
	s_mul_hi_u32 s2, s3, s2
	s_add_i32 s3, s3, s2
	s_waitcnt lgkmcnt(0)
	s_mul_hi_u32 s2, s1, s3
	s_mul_i32 s3, s2, s0
	s_sub_i32 s1, s1, s3
	s_add_i32 s9, s2, 1
	s_sub_i32 s3, s1, s0
	s_cmp_ge_u32 s1, s0
	s_cselect_b32 s2, s9, s2
	s_cselect_b32 s1, s3, s1
	s_add_i32 s3, s2, 1
	s_cmp_ge_u32 s1, s0
	s_cselect_b32 s10, s3, s2
	v_cvt_f32_u32_e32 v1, s10
	s_abs_i32 s40, s27
	v_cvt_f32_u32_e32 v2, s40
	s_load_dwordx2 s[0:1], s[4:5], 0x10
	v_rcp_iflag_f32_e32 v1, v1
	s_sub_i32 s2, 0, s10
	v_rcp_iflag_f32_e32 v2, v2
	v_mul_f32_e32 v1, 0x4f7ffffe, v1
	v_cvt_u32_f32_e32 v1, v1
	v_mul_f32_e32 v2, 0x4f7ffffe, v2
	v_cvt_u32_f32_e32 v2, v2
	v_readfirstlane_b32 s3, v1
	s_mul_i32 s2, s2, s3
	s_mul_hi_u32 s2, s3, s2
	s_add_i32 s3, s3, s2
	v_readfirstlane_b32 s9, v2
	s_mul_hi_u32 s11, s7, s3
	s_and_saveexec_b64 s[2:3], vcc
	s_cbranch_execz .LBB88_2
; %bb.1:
	v_mov_b32_e32 v1, 0x100
	v_lshl_add_u32 v1, v17, 2, v1
	v_mov_b32_e32 v2, -1
	ds_write_b32 v1, v2
.LBB88_2:
	s_or_b64 exec, exec, s[2:3]
	s_mul_i32 s2, s11, s10
	s_sub_i32 s2, s7, s2
	s_add_i32 s3, s11, 1
	s_sub_i32 s12, s2, s10
	s_cmp_ge_u32 s2, s10
	s_cselect_b32 s3, s3, s11
	s_cselect_b32 s2, s12, s2
	s_add_i32 s11, s3, 1
	s_cmp_ge_u32 s2, s10
	s_cselect_b32 s2, s11, s3
	s_mul_i32 s3, s2, s10
	s_mul_i32 s52, s2, 13
	s_sub_i32 s7, s7, s3
	s_mul_hi_i32 s3, s52, s23
	s_mul_i32 s2, s52, s23
	s_lshl_b64 s[2:3], s[2:3], 2
	s_waitcnt lgkmcnt(0)
	s_add_u32 s33, s0, s2
	v_add_u32_e32 v1, s52, v17
	s_addc_u32 s1, s1, s3
	v_cmp_gt_i32_e64 s[10:11], s18, v16
	v_cmp_gt_i32_e64 s[42:43], s17, v1
	v_mov_b32_e32 v1, 0
	s_and_saveexec_b64 s[14:15], s[42:43]
	s_cbranch_execz .LBB88_10
; %bb.3:
	v_mov_b32_e32 v1, 0
	s_and_saveexec_b64 s[28:29], s[10:11]
	s_cbranch_execz .LBB88_9
; %bb.4:
	v_mul_lo_u32 v2, v17, s23
	v_ashrrev_i32_e32 v3, 31, v2
	v_lshlrev_b64 v[2:3], 2, v[2:3]
	v_mov_b32_e32 v1, s1
	v_add_co_u32_e64 v4, s[2:3], s33, v2
	v_addc_co_u32_e64 v5, s[2:3], v1, v3, s[2:3]
	v_mov_b32_e32 v1, 0x100
	v_lshl_add_u32 v6, v17, 2, v1
	v_mul_lo_u32 v2, v16, s22
	s_lshl_b32 s0, s22, 6
	s_mov_b64 s[30:31], 0
	v_mov_b32_e32 v1, 0
	v_mov_b32_e32 v7, v16
	s_branch .LBB88_6
.LBB88_5:                               ;   in Loop: Header=BB88_6 Depth=1
	s_or_b64 exec, exec, s[36:37]
	v_add_u32_e32 v7, 64, v7
	v_cmp_le_i32_e64 s[12:13], s18, v7
	s_xor_b64 s[2:3], s[2:3], -1
	s_or_b64 s[2:3], s[2:3], s[12:13]
	s_and_b64 s[2:3], exec, s[2:3]
	s_or_b64 s[30:31], s[2:3], s[30:31]
	v_add_u32_e32 v2, s0, v2
	s_andn2_b64 exec, exec, s[30:31]
	s_cbranch_execz .LBB88_8
.LBB88_6:                               ; =>This Inner Loop Header: Depth=1
	v_ashrrev_i32_e32 v3, 31, v2
	v_lshlrev_b64 v[8:9], 2, v[2:3]
	v_add_co_u32_e64 v8, s[2:3], v4, v8
	v_addc_co_u32_e64 v9, s[2:3], v5, v9, s[2:3]
	global_load_dword v3, v[8:9], off
	s_waitcnt vmcnt(0)
	v_cmp_ne_u32_e64 s[2:3], s7, v3
	v_cmp_eq_u32_e64 s[12:13], s7, v3
	s_and_saveexec_b64 s[36:37], s[12:13]
	s_cbranch_execz .LBB88_5
; %bb.7:                                ;   in Loop: Header=BB88_6 Depth=1
	v_mov_b32_e32 v1, 1
	ds_write_b32 v6, v7
	s_branch .LBB88_5
.LBB88_8:
	s_or_b64 exec, exec, s[30:31]
.LBB88_9:
	s_or_b64 exec, exec, s[28:29]
.LBB88_10:
	s_or_b64 exec, exec, s[14:15]
	s_sub_i32 s0, 0, s40
	s_and_saveexec_b64 s[2:3], vcc
	s_cbranch_execz .LBB88_12
; %bb.11:
	v_mov_b32_e32 v2, 0x100
	v_lshl_add_u32 v2, v17, 2, v2
	v_mov_b32_e32 v3, -1
	ds_write_b32 v2, v3 offset:20
.LBB88_12:
	s_or_b64 exec, exec, s[2:3]
	v_add_u32_e32 v84, 5, v17
	s_mul_i32 s0, s0, s9
	v_add_u32_e32 v2, s52, v84
	v_cmp_gt_i32_e64 s[2:3], s17, v2
	s_mov_b64 s[28:29], exec
                                        ; implicit-def: $vgpr103 : SGPR spill to VGPR lane
	v_writelane_b32 v103, s2, 0
	v_writelane_b32 v103, s3, 1
	s_and_b64 s[2:3], s[28:29], s[2:3]
	s_mov_b64 exec, s[2:3]
	s_cbranch_execz .LBB88_20
; %bb.13:
	s_and_saveexec_b64 s[30:31], s[10:11]
	s_cbranch_execz .LBB88_19
; %bb.14:
	v_mul_lo_u32 v2, v84, s23
	v_ashrrev_i32_e32 v3, 31, v2
	v_lshlrev_b64 v[2:3], 2, v[2:3]
	v_mov_b32_e32 v5, s1
	v_add_co_u32_e64 v4, s[12:13], s33, v2
	v_mov_b32_e32 v2, 0x100
	v_addc_co_u32_e64 v5, s[12:13], v5, v3, s[12:13]
	v_lshl_add_u32 v6, v17, 2, v2
	v_mul_lo_u32 v2, v16, s22
	s_lshl_b32 s2, s22, 6
	s_mov_b64 s[36:37], 0
	v_mov_b32_e32 v7, v16
	s_branch .LBB88_16
.LBB88_15:                              ;   in Loop: Header=BB88_16 Depth=1
	s_or_b64 exec, exec, s[38:39]
	v_add_u32_e32 v7, 64, v7
	v_cmp_le_i32_e64 s[14:15], s18, v7
	s_xor_b64 s[12:13], s[12:13], -1
	s_or_b64 s[12:13], s[12:13], s[14:15]
	s_and_b64 s[12:13], exec, s[12:13]
	s_or_b64 s[36:37], s[12:13], s[36:37]
	v_add_u32_e32 v2, s2, v2
	s_andn2_b64 exec, exec, s[36:37]
	s_cbranch_execz .LBB88_18
.LBB88_16:                              ; =>This Inner Loop Header: Depth=1
	v_ashrrev_i32_e32 v3, 31, v2
	v_lshlrev_b64 v[8:9], 2, v[2:3]
	v_add_co_u32_e64 v8, s[12:13], v4, v8
	v_addc_co_u32_e64 v9, s[12:13], v5, v9, s[12:13]
	global_load_dword v3, v[8:9], off
	s_waitcnt vmcnt(0)
	v_cmp_ne_u32_e64 s[12:13], s7, v3
	v_cmp_eq_u32_e64 s[14:15], s7, v3
	s_and_saveexec_b64 s[38:39], s[14:15]
	s_cbranch_execz .LBB88_15
; %bb.17:                               ;   in Loop: Header=BB88_16 Depth=1
	v_mov_b32_e32 v1, 1
	ds_write_b32 v6, v7 offset:20
	s_branch .LBB88_15
.LBB88_18:
	s_or_b64 exec, exec, s[36:37]
.LBB88_19:
	s_or_b64 exec, exec, s[30:31]
.LBB88_20:
	s_or_b64 exec, exec, s[28:29]
	s_mul_hi_u32 s2, s9, s0
	s_and_saveexec_b64 s[12:13], vcc
	s_cbranch_execz .LBB88_22
; %bb.21:
	v_mov_b32_e32 v2, 0x100
	v_lshl_add_u32 v2, v17, 2, v2
	v_mov_b32_e32 v3, -1
	ds_write_b32 v2, v3 offset:40
.LBB88_22:
	s_or_b64 exec, exec, s[12:13]
	s_load_dwordx4 s[28:31], s[4:5], 0x54
	v_add_u32_e32 v85, 10, v17
	s_abs_i32 s0, s8
	s_add_i32 s9, s9, s2
	v_add_u32_e32 v2, s52, v85
	v_cmp_gt_i32_e64 s[2:3], s17, v2
	s_mov_b64 s[14:15], exec
	v_writelane_b32 v103, s2, 2
	v_writelane_b32 v103, s3, 3
	s_and_b64 s[2:3], s[14:15], s[2:3]
	s_mov_b64 exec, s[2:3]
	s_cbranch_execz .LBB88_30
; %bb.23:
	s_and_saveexec_b64 s[36:37], s[10:11]
	s_cbranch_execz .LBB88_29
; %bb.24:
	v_mul_lo_u32 v2, v85, s23
	v_ashrrev_i32_e32 v3, 31, v2
	v_lshlrev_b64 v[2:3], 2, v[2:3]
	v_mov_b32_e32 v5, s1
	v_add_co_u32_e32 v4, vcc, s33, v2
	v_mov_b32_e32 v2, 0x100
	v_addc_co_u32_e32 v5, vcc, v5, v3, vcc
	v_lshl_add_u32 v6, v17, 2, v2
	v_mul_lo_u32 v2, v16, s22
	s_lshl_b32 s1, s22, 6
	s_mov_b64 s[22:23], 0
	v_mov_b32_e32 v7, v16
	s_branch .LBB88_26
.LBB88_25:                              ;   in Loop: Header=BB88_26 Depth=1
	s_or_b64 exec, exec, s[38:39]
	v_add_u32_e32 v7, 64, v7
	v_cmp_le_i32_e64 s[10:11], s18, v7
	s_xor_b64 s[2:3], vcc, -1
	s_or_b64 s[2:3], s[2:3], s[10:11]
	s_and_b64 s[2:3], exec, s[2:3]
	s_or_b64 s[22:23], s[2:3], s[22:23]
	v_add_u32_e32 v2, s1, v2
	s_andn2_b64 exec, exec, s[22:23]
	s_cbranch_execz .LBB88_28
.LBB88_26:                              ; =>This Inner Loop Header: Depth=1
	v_ashrrev_i32_e32 v3, 31, v2
	v_lshlrev_b64 v[8:9], 2, v[2:3]
	v_add_co_u32_e32 v8, vcc, v4, v8
	v_addc_co_u32_e32 v9, vcc, v5, v9, vcc
	global_load_dword v3, v[8:9], off
	s_waitcnt vmcnt(0)
	v_cmp_ne_u32_e32 vcc, s7, v3
	v_cmp_eq_u32_e64 s[10:11], s7, v3
	s_and_saveexec_b64 s[38:39], s[10:11]
	s_cbranch_execz .LBB88_25
; %bb.27:                               ;   in Loop: Header=BB88_26 Depth=1
	v_mov_b32_e32 v1, 1
	ds_write_b32 v6, v7 offset:40
	s_branch .LBB88_25
.LBB88_28:
	s_or_b64 exec, exec, s[22:23]
.LBB88_29:
	s_or_b64 exec, exec, s[36:37]
.LBB88_30:
	s_or_b64 exec, exec, s[14:15]
	s_load_dwordx2 s[2:3], s[34:35], 0xc
	s_load_dwordx4 s[36:39], s[4:5], 0x0
	s_load_dwordx2 s[10:11], s[4:5], 0x18
	v_cmp_ne_u32_e32 vcc, 0, v1
	v_cndmask_b32_e64 v1, 0, 1, vcc
                                        ; kill: killed $sgpr4 killed $sgpr5
	s_waitcnt lgkmcnt(0)
	s_and_b32 s5, s3, 0xffff
	s_lshr_b32 s4, s2, 16
	v_or_b32_dpp v1, v1, v1 row_shl:1 row_mask:0xf bank_mask:0xf bound_ctrl:1
	s_and_b32 s3, s2, 0xffff
	s_mul_i32 s2, s4, s3
	v_or_b32_dpp v1, v1, v1 row_shl:2 row_mask:0xf bank_mask:0xf bound_ctrl:1
	s_bfe_i32 s2, s2, 0x180000
	s_mul_i32 s2, s2, s5
	v_or_b32_dpp v1, v1, v1 row_shl:4 row_mask:0xf bank_mask:0xf bound_ctrl:1
	s_add_i32 s5, s2, 63
	s_bitcmp1_b32 exec_hi, 0
	v_or_b32_dpp v1, v1, v1 row_shl:8 row_mask:0xf bank_mask:0xf bound_ctrl:1
	s_mul_hi_u32 s1, s0, s9
	v_writelane_b32 v103, s10, 4
	v_mov_b32_dpp v2, v1 wave_shl:1 row_mask:0xf bank_mask:0xf bound_ctrl:1
	v_writelane_b32 v103, s11, 5
                                        ; kill: killed $sgpr34 killed $sgpr35
	s_nop 0
	v_or_b32_dpp v1, v2, v1 row_mirror row_mask:0xf bank_mask:0xf bound_ctrl:1
	v_readlane_b32 s2, v1, 32
	s_cselect_b32 s2, s2, 0
	v_readlane_b32 s9, v1, 0
	s_or_b32 s2, s2, s9
	s_andn2_b32 s5, s5, 63
	s_cmp_lg_u32 s5, 64
	v_mov_b32_e32 v1, s2
	s_cbranch_scc0 .LBB88_37
; %bb.31:
	v_bfe_u32 v0, v0, 20, 10
	v_mbcnt_lo_u32_b32 v1, -1, 0
	v_mad_u32_u24 v0, v0, s4, v17
	v_mbcnt_hi_u32_b32 v2, -1, v1
	v_mad_u64_u32 v[0:1], s[4:5], v0, s3, v[16:17]
	v_lshrrev_b32_e32 v1, 6, v0
	v_or_b32_e32 v1, v2, v1
	v_cmp_eq_u32_e32 vcc, 0, v1
	s_and_saveexec_b64 s[4:5], vcc
	s_cbranch_execz .LBB88_33
; %bb.32:
	v_mov_b32_e32 v1, 0
	v_mov_b32_e32 v3, s2
	ds_write_b32 v1, v3
.LBB88_33:
	s_or_b64 exec, exec, s[4:5]
	v_cmp_eq_u32_e32 vcc, 0, v2
	v_cmp_lt_u32_e64 s[4:5], 63, v0
	s_and_b64 s[10:11], s[4:5], vcc
	s_waitcnt lgkmcnt(0)
	s_barrier
	s_and_saveexec_b64 s[4:5], s[10:11]
	s_cbranch_execz .LBB88_36
; %bb.34:
	v_mbcnt_lo_u32_b32 v0, exec_lo, 0
	v_mbcnt_hi_u32_b32 v0, exec_hi, v0
	v_cmp_eq_u32_e32 vcc, 0, v0
	s_and_b64 exec, exec, vcc
	s_cbranch_execz .LBB88_36
; %bb.35:
	v_mov_b32_e32 v0, 0
	v_mov_b32_e32 v1, s2
	ds_or_b32 v0, v1
.LBB88_36:
	s_or_b64 exec, exec, s[4:5]
	v_mov_b32_e32 v0, 0
	s_waitcnt lgkmcnt(0)
	s_barrier
	ds_read_b32 v1, v0
	s_waitcnt lgkmcnt(0)
	s_barrier
.LBB88_37:
	v_cmp_ne_u32_e32 vcc, 0, v1
	s_ashr_i32 s2, s8, 31
	s_ashr_i32 s3, s27, 31
	s_cbranch_vccz .LBB88_107
; %bb.38:
	v_lshlrev_b32_e32 v86, 6, v17
	v_add_u32_e32 v88, v86, v16
	v_cmp_le_i32_e32 vcc, s16, v88
	v_and_b32_e32 v87, 15, v16
                                        ; implicit-def: $sgpr9
	s_and_saveexec_b64 s[4:5], vcc
	s_xor_b64 s[4:5], exec, s[4:5]
; %bb.39:
	v_and_b32_e32 v87, 15, v16
	s_mov_b32 s9, 0
                                        ; implicit-def: $vgpr88
; %bb.40:
	s_or_saveexec_b64 s[4:5], s[4:5]
	s_lshl_b32 s6, s6, 6
	v_mov_b32_e32 v11, s9
	v_mov_b32_e32 v10, s9
	;; [unrolled: 1-line block ×16, first 2 shown]
	v_writelane_b32 v103, s4, 6
	v_writelane_b32 v103, s5, 7
	s_xor_b64 exec, exec, s[4:5]
	s_cbranch_execz .LBB88_96
; %bb.41:
	s_xor_b32 s2, s2, s3
	s_mul_i32 s3, s1, s40
	s_sub_i32 s0, s0, s3
	s_add_i32 s3, s1, 1
	s_sub_i32 s4, s0, s40
	s_cmp_ge_u32 s0, s40
	s_cselect_b32 s1, s3, s1
	s_cselect_b32 s0, s4, s0
	s_add_i32 s3, s1, 1
	s_cmp_ge_u32 s0, s40
	s_cselect_b32 s0, s3, s1
	s_xor_b32 s0, s0, s2
	s_sub_i32 s0, s0, s2
	s_mul_hi_i32 s1, s0, s28
	s_mul_i32 s0, s0, s28
	s_mul_i32 s2, s7, s24
	v_writelane_b32 v103, s42, 8
	s_ashr_i32 s3, s2, 31
	s_lshl_b64 s[0:1], s[0:1], 2
	v_writelane_b32 v103, s43, 9
	s_add_u32 s5, s36, s0
	v_writelane_b32 v103, s6, 10
	s_mul_i32 s4, s6, s19
	s_addc_u32 s6, s37, s1
	s_lshl_b64 s[2:3], s[2:3], 2
	s_add_u32 s7, s5, s2
	s_addc_u32 s6, s6, s3
	s_ashr_i32 s5, s4, 31
	s_lshl_b64 s[4:5], s[4:5], 2
	s_add_u32 s24, s7, s4
	s_addc_u32 s10, s6, s5
	s_movk_i32 s6, 0x1080
	v_mov_b32_e32 v89, 0x100
	v_writelane_b32 v103, s8, 11
	v_mad_u32_u24 v0, v17, s6, v89
	s_mul_hi_i32 s7, s29, s8
	v_writelane_b32 v103, s28, 12
	s_mul_i32 s6, s29, s8
	s_lshl_b64 s[6:7], s[6:7], 2
	v_writelane_b32 v103, s29, 13
	s_mul_hi_i32 s9, s52, s20
	s_mul_i32 s8, s52, s20
	s_add_u32 s11, s38, s6
	v_writelane_b32 v103, s30, 14
	s_addc_u32 s12, s39, s7
	s_lshl_b64 s[6:7], s[8:9], 2
	v_writelane_b32 v103, s31, 15
	s_add_u32 s31, s11, s6
	s_addc_u32 s33, s12, s7
	s_cmp_lt_i32 s52, s17
	s_cselect_b64 s[6:7], -1, 0
	s_add_i32 s8, s52, 1
	s_cmp_lt_i32 s8, s17
	s_cselect_b64 s[14:15], -1, 0
	s_add_i32 s8, s52, 2
	s_cmp_lt_i32 s8, s17
	s_cselect_b64 s[22:23], -1, 0
	s_lshl_b32 s8, s20, 1
	v_writelane_b32 v103, s8, 16
	s_add_i32 s8, s52, 3
	s_cmp_lt_i32 s8, s17
	s_cselect_b64 s[28:29], -1, 0
	s_add_i32 s8, s52, 4
	s_cmp_lt_i32 s8, s17
	s_cselect_b64 s[34:35], -1, 0
	s_lshl_b32 s8, s20, 2
	v_writelane_b32 v103, s8, 17
	s_add_i32 s8, s52, 5
	s_cmp_lt_i32 s8, s17
	s_cselect_b64 s[38:39], -1, 0
	s_add_i32 s8, s52, 6
	s_cmp_lt_i32 s8, s17
	s_cselect_b64 s[40:41], -1, 0
	;; [unrolled: 3-line block ×4, first 2 shown]
	s_lshl_b32 s8, s20, 3
	v_writelane_b32 v103, s8, 18
	s_add_i32 s8, s52, 9
	s_cmp_lt_i32 s8, s17
	s_cselect_b64 s[46:47], -1, 0
	s_add_i32 s8, s52, 10
	s_cmp_lt_i32 s8, s17
	s_cselect_b64 s[48:49], -1, 0
	;; [unrolled: 3-line block ×3, first 2 shown]
	s_add_i32 s8, s52, 12
	s_cmp_lt_i32 s8, s17
	v_writelane_b32 v103, s52, 19
	s_cselect_b64 s[52:53], -1, 0
	s_ashr_i32 s9, s19, 31
	s_mov_b32 s8, s19
	s_lshl_b64 s[54:55], s[8:9], 2
	s_add_u32 s0, s0, s4
	s_addc_u32 s1, s1, s5
	v_lshrrev_b32_e32 v2, 1, v16
	s_add_u32 s0, s0, s2
	v_mul_u32_u24_e32 v1, 0x108, v87
	v_and_b32_e32 v2, 0x1f8, v2
	s_addc_u32 s1, s1, s3
	v_lshl_add_u32 v90, v16, 2, v0
	v_add3_u32 v91, v0, v1, v2
	v_lshlrev_b32_e32 v0, 2, v88
	s_add_u32 s0, s36, s0
	v_add_co_u32_e32 v18, vcc, s0, v0
	s_mul_i32 s0, s19, 3
	v_writelane_b32 v103, s0, 20
	s_mul_i32 s0, s19, 5
	s_addc_u32 s1, s37, s1
	v_writelane_b32 v103, s0, 21
	s_mul_i32 s0, s19, 6
	v_mov_b32_e32 v1, s1
	v_writelane_b32 v103, s0, 22
	s_mul_i32 s0, s19, 7
	v_mov_b32_e32 v12, 0
	v_mov_b32_e32 v92, 0
	v_addc_co_u32_e32 v19, vcc, 0, v1, vcc
	s_lshl_b32 s36, s19, 1
	s_lshl_b32 s66, s19, 2
	v_writelane_b32 v103, s0, 23
	s_lshl_b32 s70, s19, 3
	s_mul_i32 s71, s19, 9
	s_mul_i32 s72, s19, 10
	;; [unrolled: 1-line block ×7, first 2 shown]
	s_lshl_b32 s78, s19, 4
	s_mul_i32 s79, s19, 17
	v_mov_b32_e32 v93, s10
	s_mul_i32 s80, s19, 18
	v_mov_b32_e32 v94, s55
	v_mov_b32_e32 v13, v12
	;; [unrolled: 1-line block ×16, first 2 shown]
	s_mul_i32 s55, s19, 19
	s_mul_i32 s81, s19, 20
	;; [unrolled: 1-line block ×13, first 2 shown]
	s_lshl_b32 s93, s19, 5
	s_mul_i32 s94, s19, 33
	s_mul_i32 s95, s19, 34
	s_mul_i32 s10, s19, 35
	s_mul_i32 s11, s19, 36
	s_mul_i32 s27, s19, 37
	s_mul_i32 s30, s19, 38
	s_mul_i32 s57, s19, 39
	s_mul_i32 s59, s19, 40
	s_mul_i32 s60, s19, 41
	s_mul_i32 s61, s19, 42
	s_mul_i32 s63, s19, 43
	s_mul_i32 s64, s19, 44
	s_mul_i32 s65, s19, 45
	s_mul_i32 s17, s19, 46
	s_mul_i32 s4, s19, 47
	s_mul_i32 s5, s19, 48
	s_mul_i32 s12, s19, 49
	s_mul_i32 s13, s19, 50
	s_mul_i32 s0, s19, 51
	s_mul_i32 s1, s19, 52
	s_mul_i32 s2, s19, 53
	s_mul_i32 s3, s19, 54
	s_mul_i32 s56, s19, 55
	s_mul_i32 s58, s19, 56
	s_mul_i32 s62, s19, 57
	s_mul_i32 s9, s19, 58
	s_mul_i32 s8, s19, 59
	s_mul_i32 s37, s19, 60
	s_mul_i32 s67, s19, 61
	s_mul_i32 s68, s19, 62
	s_mul_i32 s69, s19, 63
	s_mov_b64 s[18:19], 0
	s_branch .LBB88_44
.LBB88_42:                              ;   in Loop: Header=BB88_44 Depth=1
	v_mul_lo_u32 v95, v95, s25
	s_mul_i32 vcc_lo, s20, 12
	v_add_u32_e32 v95, vcc_lo, v95
	v_add_u32_e32 v96, v95, v88
	v_ashrrev_i32_e32 v97, 31, v96
	v_lshlrev_b64 v[96:97], 2, v[96:97]
	v_mov_b32_e32 v95, s33
	v_add_co_u32_e32 v96, vcc, s31, v96
	v_addc_co_u32_e32 v97, vcc, v95, v97, vcc
	global_load_dword v95, v[96:97], off
.LBB88_43:                              ;   in Loop: Header=BB88_44 Depth=1
	v_add_u32_e32 v96, 0xc00, v90
	s_waitcnt vmcnt(0)
	ds_write2_b32 v96, v95, v92 offset0:40 offset1:106
	ds_write2_b32 v96, v92, v92 offset0:172 offset1:238
	ds_read2_b64 v[96:99], v91 offset0:8 offset1:12
	v_add_co_u32_e32 v18, vcc, 0x500, v18
	v_add_u32_e32 v88, 0x140, v88
	v_addc_co_u32_e32 v19, vcc, 0, v19, vcc
	s_waitcnt lgkmcnt(0)
	v_mfma_f32_16x16x4f32 v[8:11], v48, v96, v[8:11]
	v_cmp_le_i32_e32 vcc, s16, v88
	s_or_b64 s[18:19], vcc, s[18:19]
	v_mfma_f32_16x16x4f32 v[4:7], v60, v96, v[4:7]
	v_mfma_f32_16x16x4f32 v[0:3], v66, v96, v[0:3]
	;; [unrolled: 1-line block ×14, first 2 shown]
	ds_read2_b64 v[64:67], v91 offset0:16 offset1:20
	v_mfma_f32_16x16x4f32 v[12:15], v81, v99, v[12:15]
	s_waitcnt lgkmcnt(0)
	v_mfma_f32_16x16x4f32 v[8:11], v36, v64, v[8:11]
	v_mfma_f32_16x16x4f32 v[4:7], v52, v64, v[4:7]
	;; [unrolled: 1-line block ×14, first 2 shown]
	ds_read2_b64 v[46:49], v91 offset0:24 offset1:28
	v_mfma_f32_16x16x4f32 v[0:3], v59, v67, v[0:3]
	v_mfma_f32_16x16x4f32 v[12:15], v77, v67, v[12:15]
	s_waitcnt lgkmcnt(0)
	v_mfma_f32_16x16x4f32 v[8:11], v28, v46, v[8:11]
	v_mfma_f32_16x16x4f32 v[4:7], v40, v46, v[4:7]
	;; [unrolled: 1-line block ×14, first 2 shown]
	ds_read2_b64 v[32:35], v91 offset0:32 offset1:36
	v_mfma_f32_16x16x4f32 v[0:3], v51, v49, v[0:3]
	v_mfma_f32_16x16x4f32 v[12:15], v73, v49, v[12:15]
	s_waitcnt lgkmcnt(0)
	v_mfma_f32_16x16x4f32 v[8:11], v22, v32, v[8:11]
	v_mfma_f32_16x16x4f32 v[4:7], v30, v32, v[4:7]
	;; [unrolled: 1-line block ×16, first 2 shown]
	s_andn2_b64 exec, exec, s[18:19]
	s_cbranch_execz .LBB88_95
.LBB88_44:                              ; =>This Inner Loop Header: Depth=1
	v_add_co_u32_e32 v20, vcc, s54, v18
	v_addc_co_u32_e32 v21, vcc, v19, v94, vcc
	global_load_dword v32, v[18:19], off
	global_load_dword v33, v[20:21], off
	v_add_u32_e32 v20, s36, v88
	v_ashrrev_i32_e32 v21, 31, v20
	v_lshlrev_b64 v[20:21], 2, v[20:21]
	v_add_co_u32_e32 v20, vcc, s24, v20
	v_addc_co_u32_e32 v21, vcc, v93, v21, vcc
	v_readlane_b32 vcc_lo, v103, 20
	v_add_u32_e32 v22, vcc_lo, v88
	v_ashrrev_i32_e32 v23, 31, v22
	v_lshlrev_b64 v[22:23], 2, v[22:23]
	v_add_u32_e32 v24, s66, v88
	v_add_co_u32_e32 v22, vcc, s24, v22
	v_ashrrev_i32_e32 v25, 31, v24
	v_addc_co_u32_e32 v23, vcc, v93, v23, vcc
	v_lshlrev_b64 v[24:25], 2, v[24:25]
	v_add_co_u32_e32 v24, vcc, s24, v24
	v_addc_co_u32_e32 v25, vcc, v93, v25, vcc
	v_readlane_b32 vcc_lo, v103, 21
	v_add_u32_e32 v26, vcc_lo, v88
	v_ashrrev_i32_e32 v27, 31, v26
	v_lshlrev_b64 v[26:27], 2, v[26:27]
	v_add_co_u32_e32 v26, vcc, s24, v26
	v_addc_co_u32_e32 v27, vcc, v93, v27, vcc
	v_readlane_b32 vcc_lo, v103, 22
	v_add_u32_e32 v28, vcc_lo, v88
	v_ashrrev_i32_e32 v29, 31, v28
	;; [unrolled: 6-line block ×3, first 2 shown]
	v_lshlrev_b64 v[30:31], 2, v[30:31]
	v_add_co_u32_e32 v30, vcc, s24, v30
	v_addc_co_u32_e32 v31, vcc, v93, v31, vcc
	global_load_dword v34, v[20:21], off
	global_load_dword v35, v[22:23], off
	;; [unrolled: 1-line block ×3, first 2 shown]
	s_nop 0
	global_load_dword v26, v[26:27], off
	s_nop 0
	global_load_dword v27, v[28:29], off
	;; [unrolled: 2-line block ×3, first 2 shown]
	v_add_u32_e32 v20, s70, v88
	v_ashrrev_i32_e32 v21, 31, v20
	v_add_u32_e32 v22, s71, v88
	v_lshlrev_b64 v[20:21], 2, v[20:21]
	v_ashrrev_i32_e32 v23, 31, v22
	v_add_co_u32_e32 v20, vcc, s24, v20
	v_add_u32_e32 v24, s72, v88
	v_lshlrev_b64 v[22:23], 2, v[22:23]
	v_addc_co_u32_e32 v21, vcc, v93, v21, vcc
	v_ashrrev_i32_e32 v25, 31, v24
	v_add_co_u32_e32 v22, vcc, s24, v22
	v_lshlrev_b64 v[24:25], 2, v[24:25]
	v_addc_co_u32_e32 v23, vcc, v93, v23, vcc
	global_load_dword v20, v[20:21], off
	s_nop 0
	global_load_dword v21, v[22:23], off
	v_add_u32_e32 v22, s73, v88
	v_add_co_u32_e32 v24, vcc, s24, v24
	v_ashrrev_i32_e32 v23, 31, v22
	v_addc_co_u32_e32 v25, vcc, v93, v25, vcc
	v_lshlrev_b64 v[22:23], 2, v[22:23]
	v_add_u32_e32 v40, s84, v88
	v_ashrrev_i32_e32 v41, 31, v40
	v_lshlrev_b64 v[40:41], 2, v[40:41]
	v_add_u32_e32 v42, s85, v88
	v_ashrrev_i32_e32 v43, 31, v42
	;; [unrolled: 3-line block ×5, first 2 shown]
	v_lshlrev_b64 v[60:61], 2, v[60:61]
	s_waitcnt vmcnt(9)
	ds_write_b32 v90, v32 offset:64
	s_waitcnt vmcnt(8)
	ds_write_b32 v90, v33 offset:328
	;; [unrolled: 2-line block ×8, first 2 shown]
	v_add_co_u32_e32 v26, vcc, s24, v22
	v_add_u32_e32 v22, s74, v88
	v_addc_co_u32_e32 v27, vcc, v93, v23, vcc
	v_ashrrev_i32_e32 v23, 31, v22
	v_lshlrev_b64 v[22:23], 2, v[22:23]
	v_add_co_u32_e32 v28, vcc, s24, v22
	v_add_u32_e32 v22, s75, v88
	v_addc_co_u32_e32 v29, vcc, v93, v23, vcc
	v_ashrrev_i32_e32 v23, 31, v22
	v_lshlrev_b64 v[22:23], 2, v[22:23]
	v_add_co_u32_e32 v30, vcc, s24, v22
	v_add_u32_e32 v22, s76, v88
	v_addc_co_u32_e32 v31, vcc, v93, v23, vcc
	v_ashrrev_i32_e32 v23, 31, v22
	v_lshlrev_b64 v[22:23], 2, v[22:23]
	v_add_co_u32_e32 v32, vcc, s24, v22
	v_add_u32_e32 v22, s77, v88
	v_addc_co_u32_e32 v33, vcc, v93, v23, vcc
	v_ashrrev_i32_e32 v23, 31, v22
	v_lshlrev_b64 v[22:23], 2, v[22:23]
	v_add_co_u32_e32 v34, vcc, s24, v22
	v_add_u32_e32 v22, s78, v88
	v_addc_co_u32_e32 v35, vcc, v93, v23, vcc
	v_ashrrev_i32_e32 v23, 31, v22
	v_lshlrev_b64 v[22:23], 2, v[22:23]
	v_add_co_u32_e32 v36, vcc, s24, v22
	v_add_u32_e32 v22, s79, v88
	v_addc_co_u32_e32 v37, vcc, v93, v23, vcc
	v_ashrrev_i32_e32 v23, 31, v22
	v_lshlrev_b64 v[22:23], 2, v[22:23]
	v_add_co_u32_e32 v38, vcc, s24, v22
	v_addc_co_u32_e32 v39, vcc, v93, v23, vcc
	global_load_dword v22, v[24:25], off
	global_load_dword v23, v[26:27], off
	s_nop 0
	global_load_dword v24, v[28:29], off
	global_load_dword v25, v[30:31], off
	s_nop 0
	global_load_dword v28, v[32:33], off
	global_load_dword v29, v[34:35], off
	;; [unrolled: 1-line block ×4, first 2 shown]
	v_add_u32_e32 v30, s80, v88
	v_ashrrev_i32_e32 v31, 31, v30
	v_lshlrev_b64 v[30:31], 2, v[30:31]
	v_add_u32_e32 v32, s55, v88
	v_add_co_u32_e32 v30, vcc, s24, v30
	v_ashrrev_i32_e32 v33, 31, v32
	v_addc_co_u32_e32 v31, vcc, v93, v31, vcc
	v_lshlrev_b64 v[32:33], 2, v[32:33]
	v_add_u32_e32 v34, s81, v88
	v_add_co_u32_e32 v32, vcc, s24, v32
	v_ashrrev_i32_e32 v35, 31, v34
	v_addc_co_u32_e32 v33, vcc, v93, v33, vcc
	;; [unrolled: 5-line block ×4, first 2 shown]
	v_lshlrev_b64 v[38:39], 2, v[38:39]
	v_add_co_u32_e32 v38, vcc, s24, v38
	v_addc_co_u32_e32 v39, vcc, v93, v39, vcc
	v_add_co_u32_e32 v40, vcc, s24, v40
	v_addc_co_u32_e32 v41, vcc, v93, v41, vcc
	;; [unrolled: 2-line block ×4, first 2 shown]
	global_load_dword v30, v[30:31], off
	s_nop 0
	global_load_dword v31, v[32:33], off
	s_nop 0
	;; [unrolled: 2-line block ×6, first 2 shown]
	global_load_dword v40, v[42:43], off
	global_load_dword v41, v[44:45], off
	v_add_u32_e32 v32, s87, v88
	v_ashrrev_i32_e32 v33, 31, v32
	v_lshlrev_b64 v[32:33], 2, v[32:33]
	v_add_u32_e32 v36, s88, v88
	v_add_co_u32_e32 v32, vcc, s24, v32
	v_ashrrev_i32_e32 v37, 31, v36
	v_addc_co_u32_e32 v33, vcc, v93, v33, vcc
	v_lshlrev_b64 v[36:37], 2, v[36:37]
	v_add_u32_e32 v42, s89, v88
	v_add_co_u32_e32 v36, vcc, s24, v36
	v_ashrrev_i32_e32 v43, 31, v42
	v_addc_co_u32_e32 v37, vcc, v93, v37, vcc
	;; [unrolled: 5-line block ×3, first 2 shown]
	v_lshlrev_b64 v[44:45], 2, v[44:45]
	v_add_co_u32_e32 v44, vcc, s24, v44
	v_addc_co_u32_e32 v45, vcc, v93, v45, vcc
	v_add_co_u32_e32 v48, vcc, s24, v46
	v_add_u32_e32 v46, s92, v88
	v_addc_co_u32_e32 v49, vcc, v93, v47, vcc
	v_ashrrev_i32_e32 v47, 31, v46
	v_lshlrev_b64 v[46:47], 2, v[46:47]
	v_add_co_u32_e32 v54, vcc, s24, v46
	v_add_u32_e32 v46, s93, v88
	v_addc_co_u32_e32 v55, vcc, v93, v47, vcc
	v_ashrrev_i32_e32 v47, 31, v46
	v_lshlrev_b64 v[46:47], 2, v[46:47]
	;; [unrolled: 5-line block ×3, first 2 shown]
	v_add_co_u32_e32 v58, vcc, s24, v46
	v_addc_co_u32_e32 v59, vcc, v93, v47, vcc
	global_load_dword v46, v[32:33], off
	global_load_dword v47, v[36:37], off
	;; [unrolled: 1-line block ×6, first 2 shown]
	s_nop 0
	global_load_dword v44, v[56:57], off
	global_load_dword v45, v[58:59], off
	v_add_u32_e32 v32, s95, v88
	v_ashrrev_i32_e32 v33, 31, v32
	v_lshlrev_b64 v[32:33], 2, v[32:33]
	v_add_u32_e32 v36, s10, v88
	v_add_co_u32_e32 v32, vcc, s24, v32
	v_ashrrev_i32_e32 v37, 31, v36
	v_addc_co_u32_e32 v33, vcc, v93, v33, vcc
	v_lshlrev_b64 v[36:37], 2, v[36:37]
	v_add_u32_e32 v42, s11, v88
	v_add_co_u32_e32 v36, vcc, s24, v36
	v_ashrrev_i32_e32 v43, 31, v42
	v_addc_co_u32_e32 v37, vcc, v93, v37, vcc
	;; [unrolled: 5-line block ×6, first 2 shown]
	v_lshlrev_b64 v[58:59], 2, v[58:59]
	v_add_co_u32_e32 v58, vcc, s24, v58
	v_addc_co_u32_e32 v59, vcc, v93, v59, vcc
	v_add_co_u32_e32 v60, vcc, s24, v60
	v_addc_co_u32_e32 v61, vcc, v93, v61, vcc
	global_load_dword v62, v[32:33], off
	global_load_dword v63, v[36:37], off
	;; [unrolled: 1-line block ×8, first 2 shown]
	v_add_u32_e32 v32, s61, v88
	v_ashrrev_i32_e32 v33, 31, v32
	v_lshlrev_b64 v[32:33], 2, v[32:33]
	v_add_u32_e32 v36, s63, v88
	v_add_co_u32_e32 v32, vcc, s24, v32
	v_ashrrev_i32_e32 v37, 31, v36
	v_addc_co_u32_e32 v33, vcc, v93, v33, vcc
	v_lshlrev_b64 v[36:37], 2, v[36:37]
	v_add_u32_e32 v42, s64, v88
	v_add_co_u32_e32 v36, vcc, s24, v36
	v_ashrrev_i32_e32 v43, 31, v42
	v_addc_co_u32_e32 v37, vcc, v93, v37, vcc
	;; [unrolled: 5-line block ×7, first 2 shown]
	v_lshlrev_b64 v[60:61], 2, v[60:61]
	v_add_co_u32_e32 v60, vcc, s24, v60
	v_addc_co_u32_e32 v61, vcc, v93, v61, vcc
	global_load_dword v70, v[32:33], off
	global_load_dword v71, v[36:37], off
	;; [unrolled: 1-line block ×8, first 2 shown]
	v_add_u32_e32 v32, s13, v88
	v_ashrrev_i32_e32 v33, 31, v32
	v_lshlrev_b64 v[32:33], 2, v[32:33]
	v_add_u32_e32 v36, s0, v88
	v_add_co_u32_e32 v32, vcc, s24, v32
	v_ashrrev_i32_e32 v37, 31, v36
	v_addc_co_u32_e32 v33, vcc, v93, v33, vcc
	v_lshlrev_b64 v[36:37], 2, v[36:37]
	v_add_u32_e32 v42, s1, v88
	v_add_co_u32_e32 v36, vcc, s24, v36
	v_ashrrev_i32_e32 v43, 31, v42
	v_addc_co_u32_e32 v37, vcc, v93, v37, vcc
	;; [unrolled: 5-line block ×7, first 2 shown]
	v_lshlrev_b64 v[60:61], 2, v[60:61]
	v_add_co_u32_e32 v60, vcc, s24, v60
	v_addc_co_u32_e32 v61, vcc, v93, v61, vcc
	global_load_dword v78, v[32:33], off
	global_load_dword v79, v[36:37], off
	;; [unrolled: 1-line block ×8, first 2 shown]
	v_add_u32_e32 v32, s9, v88
	v_ashrrev_i32_e32 v33, 31, v32
	v_lshlrev_b64 v[32:33], 2, v[32:33]
	v_add_u32_e32 v36, s8, v88
	v_add_co_u32_e32 v32, vcc, s24, v32
	v_ashrrev_i32_e32 v37, 31, v36
	v_addc_co_u32_e32 v33, vcc, v93, v33, vcc
	v_lshlrev_b64 v[36:37], 2, v[36:37]
	v_add_u32_e32 v42, s37, v88
	v_add_co_u32_e32 v36, vcc, s24, v36
	v_ashrrev_i32_e32 v43, 31, v42
	v_addc_co_u32_e32 v37, vcc, v93, v37, vcc
	;; [unrolled: 5-line block ×5, first 2 shown]
	v_lshlrev_b64 v[56:57], 2, v[56:57]
	v_add_co_u32_e32 v56, vcc, s24, v56
	v_addc_co_u32_e32 v57, vcc, v93, v57, vcc
	global_load_dword v97, v[32:33], off
	global_load_dword v98, v[36:37], off
	;; [unrolled: 1-line block ×6, first 2 shown]
	s_waitcnt vmcnt(55)
	ds_write_b32 v90, v20 offset:2176
	s_waitcnt vmcnt(54)
	ds_write_b32 v90, v21 offset:2440
	s_waitcnt vmcnt(53)
	ds_write_b32 v90, v22 offset:2704
	s_waitcnt vmcnt(52)
	ds_write_b32 v90, v23 offset:2968
	s_waitcnt vmcnt(51)
	ds_write_b32 v90, v24 offset:3232
	s_waitcnt vmcnt(50)
	ds_write_b32 v90, v25 offset:3496
	s_waitcnt vmcnt(49)
	ds_write_b32 v90, v28 offset:3760
	s_waitcnt vmcnt(48)
	ds_write_b32 v90, v29 offset:4024
	ds_read_b64 v[48:49], v91 offset:64
	ds_read_b64 v[42:43], v91 offset:96
	ds_read_b64 v[36:37], v91 offset:128
	ds_read_b64 v[32:33], v91 offset:160
	ds_read_b64 v[28:29], v91 offset:192
	ds_read_b64 v[24:25], v91 offset:224
	ds_read_b64 v[22:23], v91 offset:256
	ds_read_b64 v[20:21], v91 offset:288
	s_waitcnt vmcnt(47)
	ds_write_b32 v90, v26 offset:64
	s_waitcnt vmcnt(46)
	ds_write_b32 v90, v27 offset:328
	s_waitcnt vmcnt(45)
	ds_write_b32 v90, v30 offset:592
	s_waitcnt vmcnt(44)
	ds_write_b32 v90, v31 offset:856
	s_waitcnt vmcnt(43)
	ds_write_b32 v90, v34 offset:1120
	s_waitcnt vmcnt(42)
	ds_write_b32 v90, v35 offset:1384
	s_waitcnt vmcnt(41)
	ds_write_b32 v90, v38 offset:1648
	s_waitcnt vmcnt(40)
	ds_write_b32 v90, v39 offset:1912
	s_waitcnt vmcnt(39)
	ds_write_b32 v90, v40 offset:2176
	s_waitcnt vmcnt(38)
	ds_write_b32 v90, v41 offset:2440
	s_waitcnt vmcnt(37)
	ds_write_b32 v90, v46 offset:2704
	s_waitcnt vmcnt(36)
	ds_write_b32 v90, v47 offset:2968
	s_waitcnt vmcnt(35)
	ds_write_b32 v90, v50 offset:3232
	s_waitcnt vmcnt(34)
	ds_write_b32 v90, v51 offset:3496
	s_waitcnt vmcnt(33)
	ds_write_b32 v90, v52 offset:3760
	s_waitcnt vmcnt(32)
	ds_write_b32 v90, v53 offset:4024
	ds_read_b64 v[60:61], v91 offset:64
	ds_read_b64 v[56:57], v91 offset:96
	ds_read_b64 v[52:53], v91 offset:128
	ds_read_b64 v[46:47], v91 offset:160
	ds_read_b64 v[40:41], v91 offset:192
	ds_read_b64 v[34:35], v91 offset:224
	ds_read_b64 v[30:31], v91 offset:256
	ds_read_b64 v[26:27], v91 offset:288
	s_waitcnt vmcnt(31)
	ds_write_b32 v90, v44 offset:64
	s_waitcnt vmcnt(30)
	ds_write_b32 v90, v45 offset:328
	s_waitcnt vmcnt(29)
	ds_write_b32 v90, v62 offset:592
	s_waitcnt vmcnt(28)
	ds_write_b32 v90, v63 offset:856
	s_waitcnt vmcnt(27)
	ds_write_b32 v90, v64 offset:1120
	s_waitcnt vmcnt(26)
	ds_write_b32 v90, v65 offset:1384
	s_waitcnt vmcnt(25)
	ds_write_b32 v90, v66 offset:1648
	s_waitcnt vmcnt(24)
	ds_write_b32 v90, v67 offset:1912
	;; [unrolled: 40-line block ×3, first 2 shown]
	s_waitcnt vmcnt(7)
	ds_write_b32 v90, v95 offset:2176
	s_waitcnt vmcnt(6)
	ds_write_b32 v90, v96 offset:2440
	;; [unrolled: 2-line block ×8, first 2 shown]
	ds_read_b64 v[82:83], v91 offset:64
	ds_read_b64 v[80:81], v91 offset:96
	;; [unrolled: 1-line block ×8, first 2 shown]
	s_andn2_b64 vcc, exec, s[6:7]
	v_mov_b32_e32 v95, 0
	s_cbranch_vccnz .LBB88_48
; %bb.45:                               ;   in Loop: Header=BB88_44 Depth=1
	ds_read_b32 v95, v89
	s_waitcnt lgkmcnt(0)
	v_cmp_gt_i32_e32 vcc, 0, v95
	s_cbranch_vccnz .LBB88_47
; %bb.46:                               ;   in Loop: Header=BB88_44 Depth=1
	v_mul_lo_u32 v95, v95, s25
	v_add_u32_e32 v96, v88, v95
	v_ashrrev_i32_e32 v97, 31, v96
	v_lshlrev_b64 v[96:97], 2, v[96:97]
	v_mov_b32_e32 v95, s33
	v_add_co_u32_e32 v96, vcc, s31, v96
	v_addc_co_u32_e32 v97, vcc, v95, v97, vcc
	global_load_dword v95, v[96:97], off
	s_branch .LBB88_48
.LBB88_47:                              ;   in Loop: Header=BB88_44 Depth=1
	v_mov_b32_e32 v95, 0
.LBB88_48:                              ;   in Loop: Header=BB88_44 Depth=1
	s_waitcnt vmcnt(0)
	ds_write_b32 v90, v95 offset:64
	s_andn2_b64 vcc, exec, s[14:15]
	v_mov_b32_e32 v95, 0
	v_mov_b32_e32 v96, 0
	s_cbranch_vccnz .LBB88_51
; %bb.49:                               ;   in Loop: Header=BB88_44 Depth=1
	ds_read_b32 v96, v89 offset:4
	s_waitcnt lgkmcnt(0)
	v_cmp_gt_i32_e32 vcc, 0, v96
	s_cbranch_vccnz .LBB88_54
; %bb.50:                               ;   in Loop: Header=BB88_44 Depth=1
	v_mul_lo_u32 v96, v96, s25
	v_add_u32_e32 v96, s20, v96
	v_add_u32_e32 v96, v96, v88
	v_ashrrev_i32_e32 v97, 31, v96
	v_lshlrev_b64 v[96:97], 2, v[96:97]
	v_mov_b32_e32 v98, s33
	v_add_co_u32_e32 v96, vcc, s31, v96
	v_addc_co_u32_e32 v97, vcc, v98, v97, vcc
	global_load_dword v96, v[96:97], off
.LBB88_51:                              ;   in Loop: Header=BB88_44 Depth=1
	s_andn2_b64 vcc, exec, s[22:23]
	s_waitcnt vmcnt(0)
	ds_write_b32 v90, v96 offset:328
	s_cbranch_vccnz .LBB88_56
.LBB88_52:                              ;   in Loop: Header=BB88_44 Depth=1
	ds_read_b32 v95, v89 offset:8
	s_waitcnt lgkmcnt(0)
	v_cmp_gt_i32_e32 vcc, 0, v95
	s_cbranch_vccnz .LBB88_55
; %bb.53:                               ;   in Loop: Header=BB88_44 Depth=1
	v_mul_lo_u32 v95, v95, s25
	v_readlane_b32 vcc_lo, v103, 16
	v_add_u32_e32 v95, vcc_lo, v95
	v_add_u32_e32 v96, v95, v88
	v_ashrrev_i32_e32 v97, 31, v96
	v_lshlrev_b64 v[96:97], 2, v[96:97]
	v_mov_b32_e32 v95, s33
	v_add_co_u32_e32 v96, vcc, s31, v96
	v_addc_co_u32_e32 v97, vcc, v95, v97, vcc
	global_load_dword v95, v[96:97], off
	s_branch .LBB88_56
.LBB88_54:                              ;   in Loop: Header=BB88_44 Depth=1
	v_mov_b32_e32 v96, 0
	s_andn2_b64 vcc, exec, s[22:23]
	ds_write_b32 v90, v96 offset:328
	s_cbranch_vccz .LBB88_52
	s_branch .LBB88_56
.LBB88_55:                              ;   in Loop: Header=BB88_44 Depth=1
	v_mov_b32_e32 v95, 0
.LBB88_56:                              ;   in Loop: Header=BB88_44 Depth=1
	s_waitcnt vmcnt(0)
	ds_write_b32 v90, v95 offset:592
	s_andn2_b64 vcc, exec, s[28:29]
	v_mov_b32_e32 v95, 0
	v_mov_b32_e32 v96, 0
	s_cbranch_vccnz .LBB88_59
; %bb.57:                               ;   in Loop: Header=BB88_44 Depth=1
	ds_read_b32 v96, v89 offset:12
	s_waitcnt lgkmcnt(0)
	v_cmp_gt_i32_e32 vcc, 0, v96
	s_cbranch_vccnz .LBB88_62
; %bb.58:                               ;   in Loop: Header=BB88_44 Depth=1
	v_mul_lo_u32 v96, v96, s25
	s_mul_i32 vcc_lo, s20, 3
	v_add_u32_e32 v96, vcc_lo, v96
	v_add_u32_e32 v96, v96, v88
	v_ashrrev_i32_e32 v97, 31, v96
	v_lshlrev_b64 v[96:97], 2, v[96:97]
	v_mov_b32_e32 v98, s33
	v_add_co_u32_e32 v96, vcc, s31, v96
	v_addc_co_u32_e32 v97, vcc, v98, v97, vcc
	global_load_dword v96, v[96:97], off
.LBB88_59:                              ;   in Loop: Header=BB88_44 Depth=1
	s_andn2_b64 vcc, exec, s[34:35]
	s_waitcnt vmcnt(0)
	ds_write_b32 v90, v96 offset:856
	s_cbranch_vccnz .LBB88_64
.LBB88_60:                              ;   in Loop: Header=BB88_44 Depth=1
	ds_read_b32 v95, v89 offset:16
	s_waitcnt lgkmcnt(0)
	v_cmp_gt_i32_e32 vcc, 0, v95
	s_cbranch_vccnz .LBB88_63
; %bb.61:                               ;   in Loop: Header=BB88_44 Depth=1
	v_mul_lo_u32 v95, v95, s25
	v_readlane_b32 vcc_lo, v103, 17
	v_add_u32_e32 v95, vcc_lo, v95
	v_add_u32_e32 v96, v95, v88
	v_ashrrev_i32_e32 v97, 31, v96
	v_lshlrev_b64 v[96:97], 2, v[96:97]
	v_mov_b32_e32 v95, s33
	v_add_co_u32_e32 v96, vcc, s31, v96
	v_addc_co_u32_e32 v97, vcc, v95, v97, vcc
	global_load_dword v95, v[96:97], off
	s_branch .LBB88_64
.LBB88_62:                              ;   in Loop: Header=BB88_44 Depth=1
	v_mov_b32_e32 v96, 0
	s_andn2_b64 vcc, exec, s[34:35]
	ds_write_b32 v90, v96 offset:856
	s_cbranch_vccz .LBB88_60
	s_branch .LBB88_64
.LBB88_63:                              ;   in Loop: Header=BB88_44 Depth=1
	v_mov_b32_e32 v95, 0
.LBB88_64:                              ;   in Loop: Header=BB88_44 Depth=1
	s_waitcnt vmcnt(0)
	ds_write_b32 v90, v95 offset:1120
	s_andn2_b64 vcc, exec, s[38:39]
	v_mov_b32_e32 v95, 0
	v_mov_b32_e32 v96, 0
	s_cbranch_vccnz .LBB88_67
; %bb.65:                               ;   in Loop: Header=BB88_44 Depth=1
	ds_read_b32 v96, v89 offset:20
	s_waitcnt lgkmcnt(0)
	v_cmp_gt_i32_e32 vcc, 0, v96
	s_cbranch_vccnz .LBB88_70
; %bb.66:                               ;   in Loop: Header=BB88_44 Depth=1
	v_mul_lo_u32 v96, v96, s25
	s_mul_i32 vcc_lo, s20, 5
	v_add_u32_e32 v96, vcc_lo, v96
	v_add_u32_e32 v96, v96, v88
	v_ashrrev_i32_e32 v97, 31, v96
	v_lshlrev_b64 v[96:97], 2, v[96:97]
	v_mov_b32_e32 v98, s33
	v_add_co_u32_e32 v96, vcc, s31, v96
	v_addc_co_u32_e32 v97, vcc, v98, v97, vcc
	global_load_dword v96, v[96:97], off
.LBB88_67:                              ;   in Loop: Header=BB88_44 Depth=1
	s_andn2_b64 vcc, exec, s[40:41]
	s_waitcnt vmcnt(0)
	ds_write_b32 v90, v96 offset:1384
	s_cbranch_vccnz .LBB88_72
.LBB88_68:                              ;   in Loop: Header=BB88_44 Depth=1
	ds_read_b32 v95, v89 offset:24
	s_waitcnt lgkmcnt(0)
	v_cmp_gt_i32_e32 vcc, 0, v95
	s_cbranch_vccnz .LBB88_71
; %bb.69:                               ;   in Loop: Header=BB88_44 Depth=1
	v_mul_lo_u32 v95, v95, s25
	s_mul_i32 vcc_lo, s20, 6
	v_add_u32_e32 v95, vcc_lo, v95
	v_add_u32_e32 v96, v95, v88
	v_ashrrev_i32_e32 v97, 31, v96
	v_lshlrev_b64 v[96:97], 2, v[96:97]
	v_mov_b32_e32 v95, s33
	v_add_co_u32_e32 v96, vcc, s31, v96
	v_addc_co_u32_e32 v97, vcc, v95, v97, vcc
	global_load_dword v95, v[96:97], off
	s_branch .LBB88_72
.LBB88_70:                              ;   in Loop: Header=BB88_44 Depth=1
	v_mov_b32_e32 v96, 0
	s_andn2_b64 vcc, exec, s[40:41]
	ds_write_b32 v90, v96 offset:1384
	s_cbranch_vccz .LBB88_68
	s_branch .LBB88_72
.LBB88_71:                              ;   in Loop: Header=BB88_44 Depth=1
	v_mov_b32_e32 v95, 0
.LBB88_72:                              ;   in Loop: Header=BB88_44 Depth=1
	s_waitcnt vmcnt(0)
	ds_write_b32 v90, v95 offset:1648
	s_andn2_b64 vcc, exec, s[42:43]
	v_mov_b32_e32 v95, 0
	v_mov_b32_e32 v96, 0
	s_cbranch_vccnz .LBB88_75
; %bb.73:                               ;   in Loop: Header=BB88_44 Depth=1
	ds_read_b32 v96, v89 offset:28
	s_waitcnt lgkmcnt(0)
	v_cmp_gt_i32_e32 vcc, 0, v96
	s_cbranch_vccnz .LBB88_78
; %bb.74:                               ;   in Loop: Header=BB88_44 Depth=1
	v_mul_lo_u32 v96, v96, s25
	s_mul_i32 vcc_lo, s20, 7
	v_add_u32_e32 v96, vcc_lo, v96
	v_add_u32_e32 v96, v96, v88
	v_ashrrev_i32_e32 v97, 31, v96
	v_lshlrev_b64 v[96:97], 2, v[96:97]
	v_mov_b32_e32 v98, s33
	v_add_co_u32_e32 v96, vcc, s31, v96
	v_addc_co_u32_e32 v97, vcc, v98, v97, vcc
	global_load_dword v96, v[96:97], off
.LBB88_75:                              ;   in Loop: Header=BB88_44 Depth=1
	s_andn2_b64 vcc, exec, s[44:45]
	s_waitcnt vmcnt(0)
	ds_write_b32 v90, v96 offset:1912
	s_cbranch_vccnz .LBB88_80
.LBB88_76:                              ;   in Loop: Header=BB88_44 Depth=1
	ds_read_b32 v95, v89 offset:32
	s_waitcnt lgkmcnt(0)
	v_cmp_gt_i32_e32 vcc, 0, v95
	s_cbranch_vccnz .LBB88_79
; %bb.77:                               ;   in Loop: Header=BB88_44 Depth=1
	v_mul_lo_u32 v95, v95, s25
	v_readlane_b32 vcc_lo, v103, 18
	v_add_u32_e32 v95, vcc_lo, v95
	v_add_u32_e32 v96, v95, v88
	v_ashrrev_i32_e32 v97, 31, v96
	v_lshlrev_b64 v[96:97], 2, v[96:97]
	v_mov_b32_e32 v95, s33
	v_add_co_u32_e32 v96, vcc, s31, v96
	v_addc_co_u32_e32 v97, vcc, v95, v97, vcc
	global_load_dword v95, v[96:97], off
	s_branch .LBB88_80
.LBB88_78:                              ;   in Loop: Header=BB88_44 Depth=1
	v_mov_b32_e32 v96, 0
	s_andn2_b64 vcc, exec, s[44:45]
	ds_write_b32 v90, v96 offset:1912
	s_cbranch_vccz .LBB88_76
	s_branch .LBB88_80
.LBB88_79:                              ;   in Loop: Header=BB88_44 Depth=1
	v_mov_b32_e32 v95, 0
.LBB88_80:                              ;   in Loop: Header=BB88_44 Depth=1
	s_waitcnt vmcnt(0)
	ds_write_b32 v90, v95 offset:2176
	s_andn2_b64 vcc, exec, s[46:47]
	v_mov_b32_e32 v95, 0
	v_mov_b32_e32 v96, 0
	s_cbranch_vccnz .LBB88_83
; %bb.81:                               ;   in Loop: Header=BB88_44 Depth=1
	ds_read_b32 v96, v89 offset:36
	s_waitcnt lgkmcnt(0)
	v_cmp_gt_i32_e32 vcc, 0, v96
	s_cbranch_vccnz .LBB88_86
; %bb.82:                               ;   in Loop: Header=BB88_44 Depth=1
	v_mul_lo_u32 v96, v96, s25
	s_mul_i32 vcc_lo, s20, 9
	v_add_u32_e32 v96, vcc_lo, v96
	v_add_u32_e32 v96, v96, v88
	v_ashrrev_i32_e32 v97, 31, v96
	v_lshlrev_b64 v[96:97], 2, v[96:97]
	v_mov_b32_e32 v98, s33
	v_add_co_u32_e32 v96, vcc, s31, v96
	v_addc_co_u32_e32 v97, vcc, v98, v97, vcc
	global_load_dword v96, v[96:97], off
.LBB88_83:                              ;   in Loop: Header=BB88_44 Depth=1
	s_andn2_b64 vcc, exec, s[48:49]
	s_waitcnt vmcnt(0)
	ds_write_b32 v90, v96 offset:2440
	s_cbranch_vccnz .LBB88_88
.LBB88_84:                              ;   in Loop: Header=BB88_44 Depth=1
	ds_read_b32 v95, v89 offset:40
	s_waitcnt lgkmcnt(0)
	v_cmp_gt_i32_e32 vcc, 0, v95
	s_cbranch_vccnz .LBB88_87
; %bb.85:                               ;   in Loop: Header=BB88_44 Depth=1
	v_mul_lo_u32 v95, v95, s25
	s_mul_i32 vcc_lo, s20, 10
	v_add_u32_e32 v95, vcc_lo, v95
	v_add_u32_e32 v96, v95, v88
	v_ashrrev_i32_e32 v97, 31, v96
	v_lshlrev_b64 v[96:97], 2, v[96:97]
	v_mov_b32_e32 v95, s33
	v_add_co_u32_e32 v96, vcc, s31, v96
	v_addc_co_u32_e32 v97, vcc, v95, v97, vcc
	global_load_dword v95, v[96:97], off
	s_branch .LBB88_88
.LBB88_86:                              ;   in Loop: Header=BB88_44 Depth=1
	v_mov_b32_e32 v96, 0
	s_andn2_b64 vcc, exec, s[48:49]
	ds_write_b32 v90, v96 offset:2440
	s_cbranch_vccz .LBB88_84
	s_branch .LBB88_88
.LBB88_87:                              ;   in Loop: Header=BB88_44 Depth=1
	v_mov_b32_e32 v95, 0
.LBB88_88:                              ;   in Loop: Header=BB88_44 Depth=1
	s_waitcnt vmcnt(0)
	ds_write_b32 v90, v95 offset:2704
	s_andn2_b64 vcc, exec, s[50:51]
	v_mov_b32_e32 v95, 0
	v_mov_b32_e32 v96, 0
	s_cbranch_vccnz .LBB88_91
; %bb.89:                               ;   in Loop: Header=BB88_44 Depth=1
	ds_read_b32 v96, v89 offset:44
	s_waitcnt lgkmcnt(0)
	v_cmp_gt_i32_e32 vcc, 0, v96
	s_cbranch_vccnz .LBB88_94
; %bb.90:                               ;   in Loop: Header=BB88_44 Depth=1
	v_mul_lo_u32 v96, v96, s25
	s_mul_i32 vcc_lo, s20, 11
	v_add_u32_e32 v96, vcc_lo, v96
	v_add_u32_e32 v96, v96, v88
	v_ashrrev_i32_e32 v97, 31, v96
	v_lshlrev_b64 v[96:97], 2, v[96:97]
	v_mov_b32_e32 v98, s33
	v_add_co_u32_e32 v96, vcc, s31, v96
	v_addc_co_u32_e32 v97, vcc, v98, v97, vcc
	global_load_dword v96, v[96:97], off
.LBB88_91:                              ;   in Loop: Header=BB88_44 Depth=1
	s_andn2_b64 vcc, exec, s[52:53]
	s_waitcnt vmcnt(0)
	ds_write_b32 v90, v96 offset:2968
	s_cbranch_vccnz .LBB88_43
.LBB88_92:                              ;   in Loop: Header=BB88_44 Depth=1
	ds_read_b32 v95, v89 offset:48
	s_waitcnt lgkmcnt(0)
	v_cmp_gt_i32_e32 vcc, 0, v95
	s_cbranch_vccz .LBB88_42
; %bb.93:                               ;   in Loop: Header=BB88_44 Depth=1
	v_mov_b32_e32 v95, 0
	s_branch .LBB88_43
.LBB88_94:                              ;   in Loop: Header=BB88_44 Depth=1
	v_mov_b32_e32 v96, 0
	s_andn2_b64 vcc, exec, s[52:53]
	ds_write_b32 v90, v96 offset:2968
	s_cbranch_vccnz .LBB88_43
	s_branch .LBB88_92
.LBB88_95:
	s_or_b64 exec, exec, s[18:19]
	v_readlane_b32 s42, v103, 8
	v_readlane_b32 s28, v103, 12
	;; [unrolled: 1-line block ×9, first 2 shown]
.LBB88_96:
	v_readlane_b32 s0, v103, 6
	v_readlane_b32 s1, v103, 7
	s_or_b64 exec, exec, s[0:1]
	v_mul_u32_u24_e32 v18, 0x508, v87
	s_movk_i32 s1, 0x100
	v_lshlrev_b32_e32 v19, 2, v86
	v_add3_u32 v18, s1, v18, v19
	v_and_b32_e32 v20, 0x3f0, v16
	v_add_u32_e32 v21, v18, v20
	s_barrier
	v_add_u32_e32 v19, 64, v18
	ds_write2_b32 v21, v8, v9 offset0:16 offset1:17
	v_or_b32_e32 v9, 12, v16
	v_add_u32_e32 v8, v19, v20
	v_and_b32_e32 v9, 0x3fc, v9
	ds_write_b32 v8, v10 offset:8
	v_add_u32_e32 v10, v18, v9
	ds_write_b32 v10, v11 offset:64
	ds_write2_b32 v8, v4, v5 offset0:16 offset1:17
	ds_write_b32 v8, v6 offset:72
	v_add_u32_e32 v4, v19, v9
	ds_write_b32 v4, v7 offset:64
	ds_write2_b32 v8, v0, v1 offset0:32 offset1:33
	ds_write_b32 v8, v2 offset:136
	ds_write_b32 v4, v3 offset:128
	ds_write2_b32 v8, v12, v13 offset0:48 offset1:49
	ds_write_b32 v8, v14 offset:200
	ds_write_b32 v4, v15 offset:192
	v_mov_b32_e32 v4, 0x100
	s_movk_i32 s0, 0x508
	v_lshl_add_u32 v5, v16, 2, v4
	v_mad_u32_u24 v6, v17, s0, v5
	s_waitcnt lgkmcnt(0)
	s_barrier
	ds_read2_b32 v[2:3], v6 offset0:16 offset1:80
	ds_read2_b32 v[0:1], v6 offset0:144 offset1:208
	ds_read_b32 v7, v6 offset:1088
	v_cmp_gt_u32_e32 vcc, 13, v17
	v_mov_b32_e32 v8, -1
	s_and_saveexec_b64 s[4:5], vcc
	s_cbranch_execz .LBB88_98
; %bb.97:
	v_lshl_add_u32 v4, v17, 2, v4
	ds_read_b32 v8, v4
.LBB88_98:
	s_or_b64 exec, exec, s[4:5]
	s_mul_hi_i32 s1, s30, s8
	s_mul_i32 s0, s30, s8
	s_lshl_b64 s[0:1], s[0:1], 2
	v_readlane_b32 s4, v103, 4
	s_mul_hi_i32 s3, s52, s21
	s_mul_i32 s2, s52, s21
	v_readlane_b32 s5, v103, 5
	s_add_u32 s4, s4, s0
	s_addc_u32 s5, s5, s1
	s_lshl_b64 s[0:1], s[2:3], 2
	s_add_u32 s2, s4, s0
	s_waitcnt lgkmcnt(0)
	v_cmp_lt_i32_e32 vcc, -1, v8
	v_mul_u32_u24_e32 v6, 0x508, v17
	v_add_u32_e32 v4, s6, v16
	s_addc_u32 s3, s5, s1
	s_and_b64 s[4:5], vcc, s[42:43]
	s_and_saveexec_b64 s[0:1], s[4:5]
	s_cbranch_execz .LBB88_100
; %bb.99:
	v_add_f32_e32 v2, 0, v2
	v_add_f32_e32 v2, v2, v3
	v_add_f32_e32 v0, v2, v0
	v_add_f32_e32 v0, v0, v1
	v_add_f32_e32 v2, v0, v7
	v_mul_lo_u32 v0, v8, s26
	v_mul_lo_u32 v1, v17, s21
	v_add3_u32 v0, v4, v1, v0
	v_mov_b32_e32 v1, 0
	v_lshlrev_b64 v[0:1], 2, v[0:1]
	v_mov_b32_e32 v3, s3
	v_add_co_u32_e32 v0, vcc, s2, v0
	v_addc_co_u32_e32 v1, vcc, v3, v1, vcc
	global_store_dword v[0:1], v2, off
.LBB88_100:
	s_or_b64 exec, exec, s[0:1]
	v_add_u32_e32 v5, v6, v5
	v_add_u32_e32 v0, 0x68, v5
	ds_read2st64_b32 v[2:3], v0 offset0:25 offset1:26
	ds_read2st64_b32 v[0:1], v0 offset0:27 offset1:28
	ds_read_b32 v6, v5 offset:7528
	v_cmp_gt_u32_e32 vcc, 8, v17
	v_mov_b32_e32 v7, -1
	s_and_saveexec_b64 s[0:1], vcc
	s_cbranch_execz .LBB88_102
; %bb.101:
	v_mov_b32_e32 v7, 0x100
	v_lshl_add_u32 v7, v17, 2, v7
	ds_read_b32 v7, v7 offset:20
.LBB88_102:
	s_or_b64 exec, exec, s[0:1]
	v_readlane_b32 s0, v103, 0
	s_waitcnt lgkmcnt(0)
	v_cmp_lt_i32_e32 vcc, -1, v7
	v_readlane_b32 s1, v103, 1
	s_and_b64 s[4:5], vcc, s[0:1]
	s_and_saveexec_b64 s[0:1], s[4:5]
	s_cbranch_execz .LBB88_104
; %bb.103:
	v_add_f32_e32 v2, 0, v2
	v_add_f32_e32 v2, v2, v3
	;; [unrolled: 1-line block ×5, first 2 shown]
	v_mul_lo_u32 v0, v7, s26
	v_mul_lo_u32 v1, v84, s21
	v_add3_u32 v0, v4, v1, v0
	v_mov_b32_e32 v1, 0
	v_lshlrev_b64 v[0:1], 2, v[0:1]
	v_mov_b32_e32 v3, s3
	v_add_co_u32_e32 v0, vcc, s2, v0
	v_addc_co_u32_e32 v1, vcc, v3, v1, vcc
	global_store_dword v[0:1], v2, off
.LBB88_104:
	s_or_b64 exec, exec, s[0:1]
	v_cmp_gt_u32_e32 vcc, 3, v17
	s_and_saveexec_b64 s[0:1], vcc
	s_cbranch_execz .LBB88_107
; %bb.105:
	v_mov_b32_e32 v0, 0x100
	v_lshl_add_u32 v0, v17, 2, v0
	ds_read_b32 v0, v0 offset:40
	v_readlane_b32 s0, v103, 2
	v_readlane_b32 s1, v103, 3
	s_waitcnt lgkmcnt(0)
	v_cmp_lt_i32_e32 vcc, -1, v0
	s_and_b64 s[0:1], vcc, s[0:1]
	s_and_b64 exec, exec, s[0:1]
	s_cbranch_execz .LBB88_107
; %bb.106:
	v_add_u32_e32 v1, 0x90, v5
	ds_read2st64_b32 v[2:3], v1 offset0:50 offset1:51
	ds_read_b32 v5, v5 offset:13968
	ds_read2st64_b32 v[6:7], v1 offset0:52 offset1:53
	v_mul_lo_u32 v0, v0, s26
	v_mul_lo_u32 v1, v85, s21
	s_waitcnt lgkmcnt(2)
	v_add_f32_e32 v2, 0, v2
	v_add_f32_e32 v2, v2, v3
	v_add3_u32 v0, v4, v1, v0
	v_mov_b32_e32 v1, 0
	s_waitcnt lgkmcnt(0)
	v_add_f32_e32 v2, v2, v6
	v_lshlrev_b64 v[0:1], 2, v[0:1]
	v_add_f32_e32 v2, v2, v7
	v_mov_b32_e32 v3, s3
	v_add_co_u32_e32 v0, vcc, s2, v0
	v_add_f32_e32 v2, v2, v5
	v_addc_co_u32_e32 v1, vcc, v3, v1, vcc
	global_store_dword v[0:1], v2, off
.LBB88_107:
	s_endpgm
	.section	.rodata,"a",@progbits
	.p2align	6, 0x0
	.amdhsa_kernel _ZL9mul_mat_fIfLi64ELi13ELi5ELb1EEvPKT_PKfPKiPfiiiiiiiiiiiiiiii
		.amdhsa_group_segment_fixed_size 256
		.amdhsa_private_segment_fixed_size 0
		.amdhsa_kernarg_size 352
		.amdhsa_user_sgpr_count 6
		.amdhsa_user_sgpr_private_segment_buffer 1
		.amdhsa_user_sgpr_dispatch_ptr 0
		.amdhsa_user_sgpr_queue_ptr 0
		.amdhsa_user_sgpr_kernarg_segment_ptr 1
		.amdhsa_user_sgpr_dispatch_id 0
		.amdhsa_user_sgpr_flat_scratch_init 0
		.amdhsa_user_sgpr_kernarg_preload_length 0
		.amdhsa_user_sgpr_kernarg_preload_offset 0
		.amdhsa_user_sgpr_private_segment_size 0
		.amdhsa_uses_dynamic_stack 0
		.amdhsa_system_sgpr_private_segment_wavefront_offset 0
		.amdhsa_system_sgpr_workgroup_id_x 1
		.amdhsa_system_sgpr_workgroup_id_y 1
		.amdhsa_system_sgpr_workgroup_id_z 1
		.amdhsa_system_sgpr_workgroup_info 0
		.amdhsa_system_vgpr_workitem_id 2
		.amdhsa_next_free_vgpr 104
		.amdhsa_next_free_sgpr 96
		.amdhsa_accum_offset 104
		.amdhsa_reserve_vcc 1
		.amdhsa_reserve_flat_scratch 0
		.amdhsa_float_round_mode_32 0
		.amdhsa_float_round_mode_16_64 0
		.amdhsa_float_denorm_mode_32 3
		.amdhsa_float_denorm_mode_16_64 3
		.amdhsa_dx10_clamp 1
		.amdhsa_ieee_mode 1
		.amdhsa_fp16_overflow 0
		.amdhsa_tg_split 0
		.amdhsa_exception_fp_ieee_invalid_op 0
		.amdhsa_exception_fp_denorm_src 0
		.amdhsa_exception_fp_ieee_div_zero 0
		.amdhsa_exception_fp_ieee_overflow 0
		.amdhsa_exception_fp_ieee_underflow 0
		.amdhsa_exception_fp_ieee_inexact 0
		.amdhsa_exception_int_div_zero 0
	.end_amdhsa_kernel
	.section	.text._ZL9mul_mat_fIfLi64ELi13ELi5ELb1EEvPKT_PKfPKiPfiiiiiiiiiiiiiiii,"axG",@progbits,_ZL9mul_mat_fIfLi64ELi13ELi5ELb1EEvPKT_PKfPKiPfiiiiiiiiiiiiiiii,comdat
.Lfunc_end88:
	.size	_ZL9mul_mat_fIfLi64ELi13ELi5ELb1EEvPKT_PKfPKiPfiiiiiiiiiiiiiiii, .Lfunc_end88-_ZL9mul_mat_fIfLi64ELi13ELi5ELb1EEvPKT_PKfPKiPfiiiiiiiiiiiiiiii
                                        ; -- End function
	.section	.AMDGPU.csdata,"",@progbits
; Kernel info:
; codeLenInByte = 8764
; NumSgprs: 100
; NumVgprs: 104
; NumAgprs: 0
; TotalNumVgprs: 104
; ScratchSize: 0
; MemoryBound: 0
; FloatMode: 240
; IeeeMode: 1
; LDSByteSize: 256 bytes/workgroup (compile time only)
; SGPRBlocks: 12
; VGPRBlocks: 12
; NumSGPRsForWavesPerEU: 100
; NumVGPRsForWavesPerEU: 104
; AccumOffset: 104
; Occupancy: 4
; WaveLimiterHint : 0
; COMPUTE_PGM_RSRC2:SCRATCH_EN: 0
; COMPUTE_PGM_RSRC2:USER_SGPR: 6
; COMPUTE_PGM_RSRC2:TRAP_HANDLER: 0
; COMPUTE_PGM_RSRC2:TGID_X_EN: 1
; COMPUTE_PGM_RSRC2:TGID_Y_EN: 1
; COMPUTE_PGM_RSRC2:TGID_Z_EN: 1
; COMPUTE_PGM_RSRC2:TIDIG_COMP_CNT: 2
; COMPUTE_PGM_RSRC3_GFX90A:ACCUM_OFFSET: 25
; COMPUTE_PGM_RSRC3_GFX90A:TG_SPLIT: 0
	.section	.text._ZL9mul_mat_fIfLi64ELi13ELi5ELb0EEvPKT_PKfPKiPfiiiiiiiiiiiiiiii,"axG",@progbits,_ZL9mul_mat_fIfLi64ELi13ELi5ELb0EEvPKT_PKfPKiPfiiiiiiiiiiiiiiii,comdat
	.globl	_ZL9mul_mat_fIfLi64ELi13ELi5ELb0EEvPKT_PKfPKiPfiiiiiiiiiiiiiiii ; -- Begin function _ZL9mul_mat_fIfLi64ELi13ELi5ELb0EEvPKT_PKfPKiPfiiiiiiiiiiiiiiii
	.p2align	8
	.type	_ZL9mul_mat_fIfLi64ELi13ELi5ELb0EEvPKT_PKfPKiPfiiiiiiiiiiiiiiii,@function
_ZL9mul_mat_fIfLi64ELi13ELi5ELb0EEvPKT_PKfPKiPfiiiiiiiiiiiiiiii: ; @_ZL9mul_mat_fIfLi64ELi13ELi5ELb0EEvPKT_PKfPKiPfiiiiiiiiiiiiiiii
; %bb.0:
	s_load_dwordx8 s[12:19], s[4:5], 0x40
	s_load_dword s9, s[4:5], 0x20
	s_load_dwordx4 s[0:3], s[4:5], 0x2c
	v_bfe_u32 v25, v0, 10, 10
	v_lshlrev_b32_e32 v91, 6, v25
	v_and_b32_e32 v90, 0x3ff, v0
	s_waitcnt lgkmcnt(0)
	s_abs_i32 s27, s12
	s_abs_i32 s26, s16
	v_cvt_f32_u32_e32 v1, s27
	v_cvt_f32_u32_e32 v2, s26
	v_add_u32_e32 v93, v91, v90
	s_mov_b32 s22, 0
	v_rcp_iflag_f32_e32 v1, v1
	v_rcp_iflag_f32_e32 v2, v2
	s_ashr_i32 s28, s8, 31
	v_cmp_le_i32_e32 vcc, s9, v93
	v_mul_f32_e32 v1, 0x4f7ffffe, v1
	v_mul_f32_e32 v2, 0x4f7ffffe, v2
	v_cvt_u32_f32_e32 v1, v1
	v_cvt_u32_f32_e32 v2, v2
	v_and_b32_e32 v92, 15, v90
	v_readfirstlane_b32 s21, v1
	v_readfirstlane_b32 s20, v2
	s_and_saveexec_b64 s[10:11], vcc
	s_xor_b64 s[10:11], exec, s[10:11]
; %bb.1:
	v_and_b32_e32 v92, 15, v90
                                        ; implicit-def: $vgpr93
; %bb.2:
	s_or_saveexec_b64 s[24:25], s[10:11]
	s_load_dwordx2 s[10:11], s[4:5], 0x18
	s_lshl_b32 s3, s6, 6
	v_mov_b32_e32 v3, s22
	v_mov_b32_e32 v2, s22
	;; [unrolled: 1-line block ×16, first 2 shown]
	s_xor_b64 exec, exec, s[24:25]
	s_cbranch_execz .LBB89_6
; %bb.3:
	s_sub_i32 s6, 0, s27
	s_sub_i32 s22, 0, s26
	s_mul_i32 s6, s6, s21
	s_mul_i32 s22, s22, s20
	s_mul_hi_u32 s6, s21, s6
	s_mul_hi_u32 s22, s20, s22
	s_abs_i32 s29, s7
	s_add_i32 s6, s21, s6
	s_add_i32 s31, s20, s22
	s_load_dwordx4 s[20:23], s[4:5], 0x0
	s_mul_hi_u32 s4, s29, s6
	s_ashr_i32 s6, s7, 31
	s_ashr_i32 s12, s12, 31
	s_xor_b32 s6, s6, s12
	s_mul_i32 s12, s4, s27
	s_abs_i32 s30, s8
	s_sub_i32 s12, s29, s12
	s_mul_hi_u32 s5, s30, s31
	s_ashr_i32 s16, s16, 31
	s_add_i32 s29, s4, 1
	s_sub_i32 s31, s12, s27
	s_cmp_ge_u32 s12, s27
	s_cselect_b32 s4, s29, s4
	s_cselect_b32 s12, s31, s12
	s_add_i32 s29, s4, 1
	s_cmp_ge_u32 s12, s27
	s_cselect_b32 s4, s29, s4
	s_mul_i32 s12, s5, s26
	s_xor_b32 s4, s4, s6
	s_sub_i32 s12, s30, s12
	s_sub_i32 s6, s4, s6
	s_xor_b32 s4, s28, s16
	s_add_i32 s16, s5, 1
	s_sub_i32 s27, s12, s26
	s_cmp_ge_u32 s12, s26
	s_cselect_b32 s5, s16, s5
	s_cselect_b32 s12, s27, s12
	s_add_i32 s16, s5, 1
	s_cmp_ge_u32 s12, s26
	s_cselect_b32 s5, s16, s5
	s_xor_b32 s5, s5, s4
	s_sub_i32 s4, s5, s4
	s_mul_i32 s12, s6, s13
	s_mul_i32 s16, s3, s0
	s_mul_hi_i32 s5, s4, s17
	s_mul_i32 s4, s4, s17
	s_ashr_i32 s13, s12, 31
	s_ashr_i32 s17, s16, 31
	s_lshl_b64 s[30:31], s[4:5], 2
	s_lshl_b64 s[4:5], s[16:17], 2
	;; [unrolled: 1-line block ×3, first 2 shown]
	s_waitcnt lgkmcnt(0)
	s_add_u32 s6, s20, s12
	s_addc_u32 s12, s21, s13
	s_add_u32 s6, s6, s4
	s_mul_i32 s28, s7, s14
	s_addc_u32 s14, s12, s5
	s_add_u32 s4, s6, s30
	s_mul_hi_i32 s27, s18, s8
	s_mul_i32 s26, s18, s8
	s_addc_u32 s73, s14, s31
	s_ashr_i32 s29, s28, 31
	s_lshl_b64 s[12:13], s[26:27], 2
	s_lshl_b64 s[16:17], s[28:29], 2
	s_add_u32 s18, s22, s16
	s_addc_u32 s22, s23, s17
	s_add_u32 s5, s18, s12
	s_movk_i32 s16, 0x1080
	v_lshrrev_b32_e32 v2, 1, v90
	s_addc_u32 s74, s22, s13
	v_mad_u32_u24 v0, v25, s16, 0
	v_lshlrev_b32_e32 v16, 2, v90
	v_mul_u32_u24_e32 v1, 0x108, v92
	v_and_b32_e32 v2, 0x1f8, v2
	s_ashr_i32 s17, s0, 31
	s_mov_b32 s16, s0
	v_add_u32_e32 v94, v0, v16
	v_add3_u32 v95, v0, v1, v2
	s_ashr_i32 s21, s1, 31
	v_lshlrev_b32_e32 v0, 8, v25
	s_lshl_b64 s[16:17], s[16:17], 2
	v_mov_b32_e32 v1, s31
	v_add_co_u32_e32 v2, vcc, s30, v0
	s_add_u32 s16, s6, s16
	v_addc_co_u32_e32 v1, vcc, 0, v1, vcc
	s_addc_u32 s17, s14, s17
	v_mov_b32_e32 v3, s17
	v_add_co_u32_e32 v18, vcc, s16, v2
	v_addc_co_u32_e32 v17, vcc, v3, v1, vcc
	v_mov_b32_e32 v3, s14
	v_add_co_u32_e32 v20, vcc, s6, v2
	s_mov_b32 s20, s1
	v_addc_co_u32_e32 v19, vcc, v3, v1, vcc
	v_mov_b32_e32 v1, s13
	v_add_co_u32_e32 v0, vcc, s12, v0
	s_lshl_b64 s[12:13], s[20:21], 2
	s_add_u32 s6, s18, s12
	v_addc_co_u32_e32 v1, vcc, 0, v1, vcc
	s_addc_u32 s12, s22, s13
	v_mov_b32_e32 v2, s12
	v_add_co_u32_e32 v22, vcc, s6, v0
	v_addc_co_u32_e32 v21, vcc, v2, v1, vcc
	v_mov_b32_e32 v96, 0
	v_mov_b32_e32 v2, s22
	v_add_co_u32_e32 v24, vcc, s18, v0
	v_addc_co_u32_e32 v23, vcc, v2, v1, vcc
	s_lshl_b32 s6, s1, 1
	s_mul_i32 s12, s1, 3
	s_lshl_b32 s13, s1, 2
	s_mul_i32 s14, s1, 5
	s_mul_i32 s16, s1, 6
	;; [unrolled: 1-line block ×3, first 2 shown]
	s_lshl_b32 s18, s1, 3
	s_mul_i32 s20, s1, 9
	s_mul_i32 s21, s1, 10
	;; [unrolled: 1-line block ×4, first 2 shown]
	s_lshl_b32 s26, s0, 1
	s_mul_i32 s27, s0, 3
	s_lshl_b32 s28, s0, 2
	s_mul_i32 s29, s0, 5
	s_mul_i32 s30, s0, 6
	;; [unrolled: 1-line block ×3, first 2 shown]
	s_lshl_b32 s33, s0, 3
	s_mul_i32 s34, s0, 9
	s_mul_i32 s35, s0, 10
	;; [unrolled: 1-line block ×7, first 2 shown]
	s_lshl_b32 s41, s0, 4
	s_mul_i32 s42, s0, 17
	s_mul_i32 s43, s0, 18
	;; [unrolled: 1-line block ×15, first 2 shown]
	s_lshl_b32 s57, s0, 5
	s_mul_i32 s58, s0, 33
	s_mul_i32 s59, s0, 34
	;; [unrolled: 1-line block ×15, first 2 shown]
	v_mov_b32_e32 v97, s73
	s_mul_i32 s73, s0, 48
	v_mov_b32_e32 v98, s74
	s_mul_i32 s74, s0, 49
	v_mov_b32_e32 v4, 0
	v_mov_b32_e32 v5, v96
	;; [unrolled: 1-line block ×16, first 2 shown]
	s_mul_i32 s75, s0, 50
	s_mul_i32 s76, s0, 51
	;; [unrolled: 1-line block ×14, first 2 shown]
	s_movk_i32 s89, 0x500
	s_mov_b64 s[0:1], 0
.LBB89_4:                               ; =>This Inner Loop Header: Depth=1
	v_add_co_u32_e32 v26, vcc, v20, v16
	v_addc_co_u32_e32 v27, vcc, 0, v19, vcc
	global_load_dword v26, v[26:27], off
	v_add_u32_e32 v42, s41, v93
	v_ashrrev_i32_e32 v43, 31, v42
	v_lshlrev_b64 v[42:43], 2, v[42:43]
	v_add_u32_e32 v58, s57, v93
	v_ashrrev_i32_e32 v59, 31, v58
	v_lshlrev_b64 v[58:59], 2, v[58:59]
	;; [unrolled: 3-line block ×3, first 2 shown]
	s_waitcnt vmcnt(0)
	ds_write_b32 v94, v26
	v_add_co_u32_e32 v26, vcc, v18, v16
	v_addc_co_u32_e32 v27, vcc, 0, v17, vcc
	global_load_dword v26, v[26:27], off
	s_waitcnt vmcnt(0)
	ds_write_b32 v94, v26 offset:264
	v_add_u32_e32 v26, s26, v93
	v_ashrrev_i32_e32 v27, 31, v26
	v_lshlrev_b64 v[26:27], 2, v[26:27]
	v_add_co_u32_e32 v26, vcc, s4, v26
	v_addc_co_u32_e32 v27, vcc, v97, v27, vcc
	global_load_dword v26, v[26:27], off
	s_waitcnt vmcnt(0)
	ds_write_b32 v94, v26 offset:528
	v_add_u32_e32 v26, s27, v93
	v_ashrrev_i32_e32 v27, 31, v26
	v_lshlrev_b64 v[26:27], 2, v[26:27]
	;; [unrolled: 8-line block ×14, first 2 shown]
	v_add_co_u32_e32 v26, vcc, s4, v26
	v_addc_co_u32_e32 v27, vcc, v97, v27, vcc
	global_load_dword v26, v[26:27], off
	v_add_co_u32_e32 v42, vcc, s4, v42
	v_addc_co_u32_e32 v43, vcc, v97, v43, vcc
	s_waitcnt vmcnt(0)
	ds_write_b32 v94, v26 offset:3960
	ds_read_b64 v[40:41], v95
	ds_read_b64 v[38:39], v95 offset:32
	ds_read_b64 v[36:37], v95 offset:64
	;; [unrolled: 1-line block ×7, first 2 shown]
	global_load_dword v42, v[42:43], off
	s_waitcnt vmcnt(0)
	ds_write_b32 v94, v42
	v_add_u32_e32 v42, s42, v93
	v_ashrrev_i32_e32 v43, 31, v42
	v_lshlrev_b64 v[42:43], 2, v[42:43]
	v_add_co_u32_e32 v42, vcc, s4, v42
	v_addc_co_u32_e32 v43, vcc, v97, v43, vcc
	global_load_dword v42, v[42:43], off
	s_waitcnt vmcnt(0)
	ds_write_b32 v94, v42 offset:264
	v_add_u32_e32 v42, s43, v93
	v_ashrrev_i32_e32 v43, 31, v42
	v_lshlrev_b64 v[42:43], 2, v[42:43]
	v_add_co_u32_e32 v42, vcc, s4, v42
	v_addc_co_u32_e32 v43, vcc, v97, v43, vcc
	global_load_dword v42, v[42:43], off
	s_waitcnt vmcnt(0)
	ds_write_b32 v94, v42 offset:528
	v_add_u32_e32 v42, s44, v93
	v_ashrrev_i32_e32 v43, 31, v42
	v_lshlrev_b64 v[42:43], 2, v[42:43]
	v_add_co_u32_e32 v42, vcc, s4, v42
	v_addc_co_u32_e32 v43, vcc, v97, v43, vcc
	global_load_dword v42, v[42:43], off
	s_waitcnt vmcnt(0)
	ds_write_b32 v94, v42 offset:792
	v_add_u32_e32 v42, s45, v93
	v_ashrrev_i32_e32 v43, 31, v42
	v_lshlrev_b64 v[42:43], 2, v[42:43]
	v_add_co_u32_e32 v42, vcc, s4, v42
	v_addc_co_u32_e32 v43, vcc, v97, v43, vcc
	global_load_dword v42, v[42:43], off
	s_waitcnt vmcnt(0)
	ds_write_b32 v94, v42 offset:1056
	v_add_u32_e32 v42, s46, v93
	v_ashrrev_i32_e32 v43, 31, v42
	v_lshlrev_b64 v[42:43], 2, v[42:43]
	v_add_co_u32_e32 v42, vcc, s4, v42
	v_addc_co_u32_e32 v43, vcc, v97, v43, vcc
	global_load_dword v42, v[42:43], off
	s_waitcnt vmcnt(0)
	ds_write_b32 v94, v42 offset:1320
	v_add_u32_e32 v42, s47, v93
	v_ashrrev_i32_e32 v43, 31, v42
	v_lshlrev_b64 v[42:43], 2, v[42:43]
	v_add_co_u32_e32 v42, vcc, s4, v42
	v_addc_co_u32_e32 v43, vcc, v97, v43, vcc
	global_load_dword v42, v[42:43], off
	s_waitcnt vmcnt(0)
	ds_write_b32 v94, v42 offset:1584
	v_add_u32_e32 v42, s48, v93
	v_ashrrev_i32_e32 v43, 31, v42
	v_lshlrev_b64 v[42:43], 2, v[42:43]
	v_add_co_u32_e32 v42, vcc, s4, v42
	v_addc_co_u32_e32 v43, vcc, v97, v43, vcc
	global_load_dword v42, v[42:43], off
	s_waitcnt vmcnt(0)
	ds_write_b32 v94, v42 offset:1848
	v_add_u32_e32 v42, s49, v93
	v_ashrrev_i32_e32 v43, 31, v42
	v_lshlrev_b64 v[42:43], 2, v[42:43]
	v_add_co_u32_e32 v42, vcc, s4, v42
	v_addc_co_u32_e32 v43, vcc, v97, v43, vcc
	global_load_dword v42, v[42:43], off
	s_waitcnt vmcnt(0)
	ds_write_b32 v94, v42 offset:2112
	v_add_u32_e32 v42, s50, v93
	v_ashrrev_i32_e32 v43, 31, v42
	v_lshlrev_b64 v[42:43], 2, v[42:43]
	v_add_co_u32_e32 v42, vcc, s4, v42
	v_addc_co_u32_e32 v43, vcc, v97, v43, vcc
	global_load_dword v42, v[42:43], off
	s_waitcnt vmcnt(0)
	ds_write_b32 v94, v42 offset:2376
	v_add_u32_e32 v42, s51, v93
	v_ashrrev_i32_e32 v43, 31, v42
	v_lshlrev_b64 v[42:43], 2, v[42:43]
	v_add_co_u32_e32 v42, vcc, s4, v42
	v_addc_co_u32_e32 v43, vcc, v97, v43, vcc
	global_load_dword v42, v[42:43], off
	s_waitcnt vmcnt(0)
	ds_write_b32 v94, v42 offset:2640
	v_add_u32_e32 v42, s52, v93
	v_ashrrev_i32_e32 v43, 31, v42
	v_lshlrev_b64 v[42:43], 2, v[42:43]
	v_add_co_u32_e32 v42, vcc, s4, v42
	v_addc_co_u32_e32 v43, vcc, v97, v43, vcc
	global_load_dword v42, v[42:43], off
	s_waitcnt vmcnt(0)
	ds_write_b32 v94, v42 offset:2904
	v_add_u32_e32 v42, s53, v93
	v_ashrrev_i32_e32 v43, 31, v42
	v_lshlrev_b64 v[42:43], 2, v[42:43]
	v_add_co_u32_e32 v42, vcc, s4, v42
	v_addc_co_u32_e32 v43, vcc, v97, v43, vcc
	global_load_dword v42, v[42:43], off
	s_waitcnt vmcnt(0)
	ds_write_b32 v94, v42 offset:3168
	v_add_u32_e32 v42, s54, v93
	v_ashrrev_i32_e32 v43, 31, v42
	v_lshlrev_b64 v[42:43], 2, v[42:43]
	v_add_co_u32_e32 v42, vcc, s4, v42
	v_addc_co_u32_e32 v43, vcc, v97, v43, vcc
	global_load_dword v42, v[42:43], off
	s_waitcnt vmcnt(0)
	ds_write_b32 v94, v42 offset:3432
	v_add_u32_e32 v42, s55, v93
	v_ashrrev_i32_e32 v43, 31, v42
	v_lshlrev_b64 v[42:43], 2, v[42:43]
	v_add_co_u32_e32 v42, vcc, s4, v42
	v_addc_co_u32_e32 v43, vcc, v97, v43, vcc
	global_load_dword v42, v[42:43], off
	s_waitcnt vmcnt(0)
	ds_write_b32 v94, v42 offset:3696
	v_add_u32_e32 v42, s56, v93
	v_ashrrev_i32_e32 v43, 31, v42
	v_lshlrev_b64 v[42:43], 2, v[42:43]
	v_add_co_u32_e32 v42, vcc, s4, v42
	v_addc_co_u32_e32 v43, vcc, v97, v43, vcc
	global_load_dword v42, v[42:43], off
	v_add_co_u32_e32 v58, vcc, s4, v58
	v_addc_co_u32_e32 v59, vcc, v97, v59, vcc
	s_waitcnt vmcnt(0)
	ds_write_b32 v94, v42 offset:3960
	ds_read_b64 v[56:57], v95
	ds_read_b64 v[54:55], v95 offset:32
	ds_read_b64 v[52:53], v95 offset:64
	;; [unrolled: 1-line block ×7, first 2 shown]
	global_load_dword v58, v[58:59], off
	s_waitcnt vmcnt(0)
	ds_write_b32 v94, v58
	v_add_u32_e32 v58, s58, v93
	v_ashrrev_i32_e32 v59, 31, v58
	v_lshlrev_b64 v[58:59], 2, v[58:59]
	v_add_co_u32_e32 v58, vcc, s4, v58
	v_addc_co_u32_e32 v59, vcc, v97, v59, vcc
	global_load_dword v58, v[58:59], off
	s_waitcnt vmcnt(0)
	ds_write_b32 v94, v58 offset:264
	v_add_u32_e32 v58, s59, v93
	v_ashrrev_i32_e32 v59, 31, v58
	v_lshlrev_b64 v[58:59], 2, v[58:59]
	v_add_co_u32_e32 v58, vcc, s4, v58
	v_addc_co_u32_e32 v59, vcc, v97, v59, vcc
	global_load_dword v58, v[58:59], off
	s_waitcnt vmcnt(0)
	ds_write_b32 v94, v58 offset:528
	;; [unrolled: 8-line block ×14, first 2 shown]
	v_add_u32_e32 v58, s72, v93
	v_ashrrev_i32_e32 v59, 31, v58
	v_lshlrev_b64 v[58:59], 2, v[58:59]
	v_add_co_u32_e32 v58, vcc, s4, v58
	v_addc_co_u32_e32 v59, vcc, v97, v59, vcc
	global_load_dword v58, v[58:59], off
	v_add_co_u32_e32 v74, vcc, s4, v74
	v_addc_co_u32_e32 v75, vcc, v97, v75, vcc
	s_waitcnt vmcnt(0)
	ds_write_b32 v94, v58 offset:3960
	ds_read_b64 v[72:73], v95
	ds_read_b64 v[70:71], v95 offset:32
	ds_read_b64 v[68:69], v95 offset:64
	;; [unrolled: 1-line block ×7, first 2 shown]
	global_load_dword v74, v[74:75], off
	s_waitcnt vmcnt(0)
	ds_write_b32 v94, v74
	v_add_u32_e32 v74, s74, v93
	v_ashrrev_i32_e32 v75, 31, v74
	v_lshlrev_b64 v[74:75], 2, v[74:75]
	v_add_co_u32_e32 v74, vcc, s4, v74
	v_addc_co_u32_e32 v75, vcc, v97, v75, vcc
	global_load_dword v74, v[74:75], off
	s_waitcnt vmcnt(0)
	ds_write_b32 v94, v74 offset:264
	v_add_u32_e32 v74, s75, v93
	v_ashrrev_i32_e32 v75, 31, v74
	v_lshlrev_b64 v[74:75], 2, v[74:75]
	v_add_co_u32_e32 v74, vcc, s4, v74
	v_addc_co_u32_e32 v75, vcc, v97, v75, vcc
	global_load_dword v74, v[74:75], off
	s_waitcnt vmcnt(0)
	ds_write_b32 v94, v74 offset:528
	;; [unrolled: 8-line block ×14, first 2 shown]
	v_add_u32_e32 v74, s88, v93
	v_ashrrev_i32_e32 v75, 31, v74
	v_lshlrev_b64 v[74:75], 2, v[74:75]
	v_add_co_u32_e32 v74, vcc, s4, v74
	v_addc_co_u32_e32 v75, vcc, v97, v75, vcc
	global_load_dword v74, v[74:75], off
	v_add_co_u32_e32 v100, vcc, v24, v16
	v_addc_co_u32_e32 v101, vcc, 0, v23, vcc
	s_waitcnt vmcnt(0)
	ds_write_b32 v94, v74 offset:3960
	ds_read_b64 v[88:89], v95
	ds_read_b64 v[86:87], v95 offset:32
	ds_read_b64 v[84:85], v95 offset:64
	;; [unrolled: 1-line block ×7, first 2 shown]
	global_load_dword v99, v[100:101], off
	v_add_co_u32_e32 v100, vcc, v22, v16
	v_addc_co_u32_e32 v101, vcc, 0, v21, vcc
	s_waitcnt vmcnt(0)
	ds_write_b32 v94, v99
	global_load_dword v99, v[100:101], off
	v_add_u32_e32 v100, s6, v93
	v_ashrrev_i32_e32 v101, 31, v100
	v_lshlrev_b64 v[100:101], 2, v[100:101]
	v_add_co_u32_e32 v100, vcc, s5, v100
	v_addc_co_u32_e32 v101, vcc, v98, v101, vcc
	s_waitcnt vmcnt(0)
	ds_write_b32 v94, v99 offset:264
	global_load_dword v99, v[100:101], off
	v_add_u32_e32 v100, s12, v93
	v_ashrrev_i32_e32 v101, 31, v100
	v_lshlrev_b64 v[100:101], 2, v[100:101]
	v_add_co_u32_e32 v100, vcc, s5, v100
	v_addc_co_u32_e32 v101, vcc, v98, v101, vcc
	s_waitcnt vmcnt(0)
	ds_write_b32 v94, v99 offset:528
	;; [unrolled: 8-line block ×10, first 2 shown]
	global_load_dword v99, v[100:101], off
	v_add_u32_e32 v100, s23, v93
	v_ashrrev_i32_e32 v101, 31, v100
	v_lshlrev_b64 v[100:101], 2, v[100:101]
	v_add_co_u32_e32 v100, vcc, s5, v100
	v_addc_co_u32_e32 v101, vcc, v98, v101, vcc
	v_add_co_u32_e32 v18, vcc, s89, v18
	v_addc_co_u32_e32 v17, vcc, 0, v17, vcc
	;; [unrolled: 2-line block ×4, first 2 shown]
	v_add_co_u32_e32 v24, vcc, 0x500, v24
	v_add_u32_e32 v93, 0x140, v93
	v_addc_co_u32_e32 v23, vcc, 0, v23, vcc
	v_cmp_le_i32_e32 vcc, s9, v93
	s_or_b64 s[0:1], vcc, s[0:1]
	s_waitcnt vmcnt(0)
	ds_write_b32 v94, v99 offset:2904
	global_load_dword v99, v[100:101], off
	s_waitcnt vmcnt(0)
	ds_write_b32 v94, v99 offset:3168
	ds_write_b32 v94, v96 offset:3432
	;; [unrolled: 1-line block ×4, first 2 shown]
	ds_read_b64 v[100:101], v95
	ds_read_b64 v[102:103], v95 offset:32
	s_waitcnt lgkmcnt(1)
	v_mfma_f32_16x16x4f32 v[0:3], v40, v100, v[0:3]
	v_mfma_f32_16x16x4f32 v[12:15], v56, v100, v[12:15]
	;; [unrolled: 1-line block ×8, first 2 shown]
	s_waitcnt lgkmcnt(0)
	v_mfma_f32_16x16x4f32 v[0:3], v38, v102, v[0:3]
	v_mfma_f32_16x16x4f32 v[12:15], v54, v102, v[12:15]
	v_mfma_f32_16x16x4f32 v[8:11], v70, v102, v[8:11]
	v_mfma_f32_16x16x4f32 v[4:7], v86, v102, v[4:7]
	v_mfma_f32_16x16x4f32 v[0:3], v39, v103, v[0:3]
	ds_read_b64 v[38:39], v95 offset:64
	v_mfma_f32_16x16x4f32 v[12:15], v55, v103, v[12:15]
	v_mfma_f32_16x16x4f32 v[8:11], v71, v103, v[8:11]
	v_mfma_f32_16x16x4f32 v[4:7], v87, v103, v[4:7]
	s_waitcnt lgkmcnt(0)
	v_mfma_f32_16x16x4f32 v[0:3], v36, v38, v[0:3]
	v_mfma_f32_16x16x4f32 v[12:15], v52, v38, v[12:15]
	v_mfma_f32_16x16x4f32 v[8:11], v68, v38, v[8:11]
	v_mfma_f32_16x16x4f32 v[4:7], v84, v38, v[4:7]
	v_mfma_f32_16x16x4f32 v[0:3], v37, v39, v[0:3]
	ds_read_b64 v[36:37], v95 offset:96
	v_mfma_f32_16x16x4f32 v[12:15], v53, v39, v[12:15]
	v_mfma_f32_16x16x4f32 v[8:11], v69, v39, v[8:11]
	v_mfma_f32_16x16x4f32 v[4:7], v85, v39, v[4:7]
	;; [unrolled: 10-line block ×6, first 2 shown]
	s_waitcnt lgkmcnt(0)
	v_mfma_f32_16x16x4f32 v[0:3], v26, v28, v[0:3]
	v_mfma_f32_16x16x4f32 v[12:15], v42, v28, v[12:15]
	;; [unrolled: 1-line block ×8, first 2 shown]
	s_andn2_b64 exec, exec, s[0:1]
	s_cbranch_execnz .LBB89_4
; %bb.5:
	s_or_b64 exec, exec, s[0:1]
.LBB89_6:
	s_or_b64 exec, exec, s[24:25]
	v_mul_u32_u24_e32 v16, 0x508, v92
	v_lshlrev_b32_e32 v17, 2, v91
	s_mul_hi_i32 s1, s19, s8
	s_mul_i32 s0, s19, s8
	v_add3_u32 v16, 0, v16, v17
	v_and_b32_e32 v17, 0x3f0, v90
	s_lshl_b64 s[0:1], s[0:1], 2
	v_add_u32_e32 v17, v16, v17
	s_mul_i32 s4, s7, s15
	s_waitcnt lgkmcnt(0)
	s_add_u32 s6, s10, s0
	s_barrier
	ds_write2_b32 v17, v0, v1 offset1:1
	ds_write_b32 v17, v2 offset:8
	v_or_b32_e32 v0, 12, v90
	s_addc_u32 s7, s11, s1
	s_ashr_i32 s5, s4, 31
	v_and_b32_e32 v0, 0x3fc, v0
	s_lshl_b64 s[0:1], s[4:5], 2
	s_movk_i32 s4, 0x508
	v_add_u32_e32 v0, v16, v0
	v_lshl_add_u32 v2, v90, 2, 0
	ds_write_b32 v0, v3
	ds_write2_b32 v17, v12, v13 offset0:16 offset1:17
	ds_write_b32 v17, v14 offset:72
	ds_write_b32 v0, v15 offset:64
	ds_write2_b32 v17, v8, v9 offset0:32 offset1:33
	ds_write_b32 v17, v10 offset:136
	ds_write_b32 v0, v11 offset:128
	;; [unrolled: 3-line block ×3, first 2 shown]
	v_mad_u32_u24 v3, v25, s4, v2
	s_waitcnt lgkmcnt(0)
	s_barrier
	ds_read2st64_b32 v[0:1], v3 offset1:1
	ds_read2st64_b32 v[4:5], v3 offset0:2 offset1:3
	ds_read_b32 v6, v3 offset:1024
	ds_read_b32 v10, v3 offset:7464
	v_add_u32_e32 v3, 40, v3
	s_add_u32 s0, s6, s0
	s_addc_u32 s1, s7, s1
	s_waitcnt lgkmcnt(3)
	v_add_f32_e32 v0, 0, v0
	v_add_f32_e32 v0, v0, v1
	s_waitcnt lgkmcnt(2)
	v_add_f32_e32 v0, v0, v4
	v_add_f32_e32 v0, v0, v5
	s_waitcnt lgkmcnt(1)
	v_add_f32_e32 v11, v0, v6
	v_mul_lo_u32 v0, v25, s2
	ds_read2st64_b32 v[6:7], v3 offset0:25 offset1:26
	ds_read2st64_b32 v[8:9], v3 offset0:27 offset1:28
	v_add3_u32 v0, s3, v90, v0
	v_mov_b32_e32 v1, 0
	v_lshlrev_b64 v[4:5], 2, v[0:1]
	v_mov_b32_e32 v12, s1
	v_add_co_u32_e32 v4, vcc, s0, v4
	s_mul_i32 s2, s2, 5
	v_addc_co_u32_e32 v5, vcc, v12, v5, vcc
	s_waitcnt lgkmcnt(1)
	v_add_f32_e32 v3, 0, v6
	v_add_u32_e32 v0, s2, v0
	global_store_dword v[4:5], v11, off
	v_add_f32_e32 v3, v3, v7
	v_lshlrev_b64 v[4:5], 2, v[0:1]
	s_waitcnt lgkmcnt(0)
	v_add_f32_e32 v3, v3, v8
	v_mov_b32_e32 v6, s1
	v_add_co_u32_e32 v4, vcc, s0, v4
	v_add_f32_e32 v3, v3, v9
	v_addc_co_u32_e32 v5, vcc, v6, v5, vcc
	v_add_f32_e32 v3, v3, v10
	v_cmp_gt_u32_e32 vcc, 3, v25
	global_store_dword v[4:5], v3, off
	s_and_saveexec_b64 s[4:5], vcc
	s_cbranch_execz .LBB89_8
; %bb.7:
	v_mul_u32_u24_e32 v3, 0x508, v25
	v_add_u32_e32 v6, v2, v3
	v_add_u32_e32 v4, 0x50, v6
	ds_read2st64_b32 v[2:3], v4 offset0:50 offset1:51
	ds_read2st64_b32 v[4:5], v4 offset0:52 offset1:53
	ds_read_b32 v6, v6 offset:13904
	v_add_u32_e32 v0, s2, v0
	v_lshlrev_b64 v[0:1], 2, v[0:1]
	s_waitcnt lgkmcnt(2)
	v_add_f32_e32 v2, 0, v2
	v_add_f32_e32 v2, v2, v3
	s_waitcnt lgkmcnt(1)
	v_add_f32_e32 v2, v2, v4
	v_add_f32_e32 v2, v2, v5
	v_mov_b32_e32 v3, s1
	v_add_co_u32_e32 v0, vcc, s0, v0
	s_waitcnt lgkmcnt(0)
	v_add_f32_e32 v2, v2, v6
	v_addc_co_u32_e32 v1, vcc, v3, v1, vcc
	global_store_dword v[0:1], v2, off
.LBB89_8:
	s_endpgm
	.section	.rodata,"a",@progbits
	.p2align	6, 0x0
	.amdhsa_kernel _ZL9mul_mat_fIfLi64ELi13ELi5ELb0EEvPKT_PKfPKiPfiiiiiiiiiiiiiiii
		.amdhsa_group_segment_fixed_size 0
		.amdhsa_private_segment_fixed_size 0
		.amdhsa_kernarg_size 96
		.amdhsa_user_sgpr_count 6
		.amdhsa_user_sgpr_private_segment_buffer 1
		.amdhsa_user_sgpr_dispatch_ptr 0
		.amdhsa_user_sgpr_queue_ptr 0
		.amdhsa_user_sgpr_kernarg_segment_ptr 1
		.amdhsa_user_sgpr_dispatch_id 0
		.amdhsa_user_sgpr_flat_scratch_init 0
		.amdhsa_user_sgpr_kernarg_preload_length 0
		.amdhsa_user_sgpr_kernarg_preload_offset 0
		.amdhsa_user_sgpr_private_segment_size 0
		.amdhsa_uses_dynamic_stack 0
		.amdhsa_system_sgpr_private_segment_wavefront_offset 0
		.amdhsa_system_sgpr_workgroup_id_x 1
		.amdhsa_system_sgpr_workgroup_id_y 1
		.amdhsa_system_sgpr_workgroup_id_z 1
		.amdhsa_system_sgpr_workgroup_info 0
		.amdhsa_system_vgpr_workitem_id 1
		.amdhsa_next_free_vgpr 104
		.amdhsa_next_free_sgpr 90
		.amdhsa_accum_offset 104
		.amdhsa_reserve_vcc 1
		.amdhsa_reserve_flat_scratch 0
		.amdhsa_float_round_mode_32 0
		.amdhsa_float_round_mode_16_64 0
		.amdhsa_float_denorm_mode_32 3
		.amdhsa_float_denorm_mode_16_64 3
		.amdhsa_dx10_clamp 1
		.amdhsa_ieee_mode 1
		.amdhsa_fp16_overflow 0
		.amdhsa_tg_split 0
		.amdhsa_exception_fp_ieee_invalid_op 0
		.amdhsa_exception_fp_denorm_src 0
		.amdhsa_exception_fp_ieee_div_zero 0
		.amdhsa_exception_fp_ieee_overflow 0
		.amdhsa_exception_fp_ieee_underflow 0
		.amdhsa_exception_fp_ieee_inexact 0
		.amdhsa_exception_int_div_zero 0
	.end_amdhsa_kernel
	.section	.text._ZL9mul_mat_fIfLi64ELi13ELi5ELb0EEvPKT_PKfPKiPfiiiiiiiiiiiiiiii,"axG",@progbits,_ZL9mul_mat_fIfLi64ELi13ELi5ELb0EEvPKT_PKfPKiPfiiiiiiiiiiiiiiii,comdat
.Lfunc_end89:
	.size	_ZL9mul_mat_fIfLi64ELi13ELi5ELb0EEvPKT_PKfPKiPfiiiiiiiiiiiiiiii, .Lfunc_end89-_ZL9mul_mat_fIfLi64ELi13ELi5ELb0EEvPKT_PKfPKiPfiiiiiiiiiiiiiiii
                                        ; -- End function
	.section	.AMDGPU.csdata,"",@progbits
; Kernel info:
; codeLenInByte = 5868
; NumSgprs: 94
; NumVgprs: 104
; NumAgprs: 0
; TotalNumVgprs: 104
; ScratchSize: 0
; MemoryBound: 0
; FloatMode: 240
; IeeeMode: 1
; LDSByteSize: 0 bytes/workgroup (compile time only)
; SGPRBlocks: 11
; VGPRBlocks: 12
; NumSGPRsForWavesPerEU: 94
; NumVGPRsForWavesPerEU: 104
; AccumOffset: 104
; Occupancy: 4
; WaveLimiterHint : 0
; COMPUTE_PGM_RSRC2:SCRATCH_EN: 0
; COMPUTE_PGM_RSRC2:USER_SGPR: 6
; COMPUTE_PGM_RSRC2:TRAP_HANDLER: 0
; COMPUTE_PGM_RSRC2:TGID_X_EN: 1
; COMPUTE_PGM_RSRC2:TGID_Y_EN: 1
; COMPUTE_PGM_RSRC2:TGID_Z_EN: 1
; COMPUTE_PGM_RSRC2:TIDIG_COMP_CNT: 1
; COMPUTE_PGM_RSRC3_GFX90A:ACCUM_OFFSET: 25
; COMPUTE_PGM_RSRC3_GFX90A:TG_SPLIT: 0
	.section	.text._ZL13mul_mat_f_idsIfLi64ELi13ELi6EEvPKT_PKfPKiS6_S6_Pfiiiiiiiiiiiiii15HIP_vector_typeIjLj3EES9_,"axG",@progbits,_ZL13mul_mat_f_idsIfLi64ELi13ELi6EEvPKT_PKfPKiS6_S6_Pfiiiiiiiiiiiiii15HIP_vector_typeIjLj3EES9_,comdat
	.globl	_ZL13mul_mat_f_idsIfLi64ELi13ELi6EEvPKT_PKfPKiS6_S6_Pfiiiiiiiiiiiiii15HIP_vector_typeIjLj3EES9_ ; -- Begin function _ZL13mul_mat_f_idsIfLi64ELi13ELi6EEvPKT_PKfPKiS6_S6_Pfiiiiiiiiiiiiii15HIP_vector_typeIjLj3EES9_
	.p2align	8
	.type	_ZL13mul_mat_f_idsIfLi64ELi13ELi6EEvPKT_PKfPKiS6_S6_Pfiiiiiiiiiiiiii15HIP_vector_typeIjLj3EES9_,@function
_ZL13mul_mat_f_idsIfLi64ELi13ELi6EEvPKT_PKfPKiS6_S6_Pfiiiiiiiiiiiiii15HIP_vector_typeIjLj3EES9_: ; @_ZL13mul_mat_f_idsIfLi64ELi13ELi6EEvPKT_PKfPKiS6_S6_Pfiiiiiiiiiiiiii15HIP_vector_typeIjLj3EES9_
; %bb.0:
	s_load_dwordx2 s[0:1], s[4:5], 0x20
	s_mov_b32 s34, s7
	s_ashr_i32 s35, s7, 31
	s_lshl_b64 s[2:3], s[34:35], 2
	s_waitcnt lgkmcnt(0)
	s_add_u32 s0, s0, s2
	s_addc_u32 s1, s1, s3
	s_load_dwordx2 s[26:27], s[0:1], 0x0
	s_waitcnt lgkmcnt(0)
	s_sub_i32 s33, s27, s26
	s_add_i32 s0, s33, 12
	s_mul_hi_i32 s0, s0, 0x4ec4ec4f
	s_lshr_b32 s1, s0, 31
	s_ashr_i32 s0, s0, 2
	s_add_i32 s0, s0, s1
	s_cmp_ge_i32 s8, s0
	s_cbranch_scc1 .LBB90_56
; %bb.1:
	v_bfe_u32 v82, v0, 10, 10
	v_lshlrev_b32_e32 v84, 6, v82
	v_and_b32_e32 v83, 0x3ff, v0
	s_load_dwordx4 s[12:15], s[4:5], 0x30
	s_load_dwordx2 s[20:21], s[4:5], 0x40
	s_load_dwordx4 s[0:3], s[4:5], 0x4c
	s_load_dwordx4 s[16:19], s[4:5], 0x68
	s_load_dwordx2 s[24:25], s[4:5], 0x78
	v_add_u32_e32 v86, v84, v83
	s_ashr_i32 s27, s26, 31
	s_waitcnt lgkmcnt(0)
	v_cmp_le_i32_e32 vcc, s12, v86
	v_and_b32_e32 v85, 15, v83
                                        ; implicit-def: $sgpr3
	s_and_saveexec_b64 s[10:11], vcc
	s_xor_b64 s[10:11], exec, s[10:11]
; %bb.2:
	v_and_b32_e32 v85, 15, v83
	s_mov_b32 s3, 0
                                        ; implicit-def: $vgpr86
; %bb.3:
	s_or_saveexec_b64 s[22:23], s[10:11]
	s_load_dwordx2 s[10:11], s[4:5], 0x18
                                        ; implicit-def: $vgpr108 : SGPR spill to VGPR lane
	s_lshl_b32 s7, s6, 6
	s_mul_i32 s6, s8, 13
	v_mov_b32_e32 v15, s3
	v_mov_b32_e32 v14, s3
	s_waitcnt lgkmcnt(0)
	v_writelane_b32 v108, s10, 0
	v_writelane_b32 v108, s11, 1
	s_load_dwordx2 s[10:11], s[4:5], 0x28
	v_mov_b32_e32 v13, s3
	v_mov_b32_e32 v12, s3
	;; [unrolled: 1-line block ×4, first 2 shown]
	s_waitcnt lgkmcnt(0)
	v_writelane_b32 v108, s10, 2
	v_writelane_b32 v108, s11, 3
	v_mov_b32_e32 v5, s3
	v_mov_b32_e32 v4, s3
	;; [unrolled: 1-line block ×10, first 2 shown]
	v_writelane_b32 v108, s22, 4
	v_writelane_b32 v108, s23, 5
	s_xor_b64 exec, exec, s[22:23]
	s_cbranch_execz .LBB90_46
; %bb.4:
	v_writelane_b32 v108, s24, 6
	v_writelane_b32 v108, s25, 7
	s_load_dwordx4 s[8:11], s[4:5], 0x0
	s_load_dwordx2 s[22:23], s[4:5], 0x10
	s_mul_i32 s4, s34, s0
	s_mul_i32 s24, s7, s15
	s_ashr_i32 s5, s4, 31
	s_ashr_i32 s25, s24, 31
	s_lshl_b64 s[24:25], s[24:25], 2
	s_lshl_b64 s[4:5], s[4:5], 2
	s_add_u32 s3, s4, s24
	s_addc_u32 s24, s5, s25
	v_writelane_b32 v108, s7, 8
	s_waitcnt lgkmcnt(0)
	s_add_u32 s0, s3, s8
	s_addc_u32 s25, s24, s9
	v_writelane_b32 v108, s26, 9
	s_lshl_b64 s[4:5], s[26:27], 2
	v_writelane_b32 v108, s27, 10
	s_add_u32 s26, s22, s4
	s_addc_u32 s27, s23, s5
	s_movk_i32 s4, 0x1080
	s_cmp_lt_i32 s6, s33
	v_mad_u32_u24 v0, v82, s4, 0
	s_cselect_b64 s[4:5], -1, 0
	s_ashr_i32 s7, s6, 31
	s_lshl_b64 s[22:23], s[6:7], 2
	s_add_u32 s34, s26, s22
	s_addc_u32 s35, s27, s23
	s_add_i32 s7, s6, 1
	s_cmp_lt_i32 s7, s33
	s_cselect_b64 s[36:37], -1, 0
	s_add_i32 s7, s6, 2
	s_cmp_lt_i32 s7, s33
	s_cselect_b64 s[38:39], -1, 0
	;; [unrolled: 3-line block ×3, first 2 shown]
	s_add_i32 s7, s6, 4
	s_cmp_lt_i32 s7, s33
	v_lshrrev_b32_e32 v3, 1, v83
	s_cselect_b64 s[42:43], -1, 0
	s_add_i32 s7, s6, 5
	v_lshlrev_b32_e32 v1, 2, v83
	v_mul_u32_u24_e32 v2, 0x108, v85
	v_and_b32_e32 v3, 0x1f8, v3
	s_cmp_lt_i32 s7, s33
	v_add_u32_e32 v87, v0, v1
	v_add3_u32 v88, v0, v2, v3
	s_cselect_b64 s[44:45], -1, 0
	s_add_i32 s7, s6, 6
	v_lshlrev_b32_e32 v0, 8, v82
	s_cmp_lt_i32 s7, s33
	v_add_co_u32_e32 v0, vcc, s3, v0
	s_mul_i32 s3, s15, 3
	s_cselect_b64 s[46:47], -1, 0
	s_add_i32 s7, s6, 7
	v_writelane_b32 v108, s3, 11
	s_mul_i32 s3, s15, 5
	s_cmp_lt_i32 s7, s33
	v_writelane_b32 v108, s3, 12
	s_mul_i32 s3, s15, 6
	s_cselect_b64 s[48:49], -1, 0
	s_add_i32 s7, s6, 8
	v_writelane_b32 v108, s3, 13
	s_mul_i32 s3, s15, 7
	s_cmp_lt_i32 s7, s33
	v_writelane_b32 v108, s3, 14
	s_mul_i32 s3, s15, 9
	s_cselect_b64 s[50:51], -1, 0
	s_add_i32 s7, s6, 9
	v_writelane_b32 v108, s3, 15
	s_mul_i32 s3, s15, 10
	s_cmp_lt_i32 s7, s33
	v_writelane_b32 v108, s3, 16
	s_mul_i32 s3, s15, 11
	s_cselect_b64 s[52:53], -1, 0
	s_add_i32 s7, s6, 10
	v_writelane_b32 v108, s3, 17
	s_mul_i32 s3, s15, 12
	s_cmp_lt_i32 s7, s33
	v_writelane_b32 v108, s3, 18
	s_mul_i32 s3, s15, 13
	s_cselect_b64 s[54:55], -1, 0
	s_add_i32 s7, s6, 11
	v_writelane_b32 v108, s3, 19
	s_mul_i32 s3, s15, 14
	s_cmp_lt_i32 s7, s33
	v_mov_b32_e32 v2, s24
	v_writelane_b32 v108, s3, 20
	s_mul_i32 s3, s15, 15
	s_cselect_b64 s[56:57], -1, 0
	s_add_i32 s7, s6, 12
	v_addc_co_u32_e32 v2, vcc, 0, v2, vcc
	v_writelane_b32 v108, s3, 21
	s_mul_i32 s3, s15, 17
	s_cmp_lt_i32 s7, s33
	v_add_co_u32_e32 v0, vcc, v0, v1
	v_writelane_b32 v108, s3, 22
	s_mul_i32 s3, s15, 18
	s_cselect_b64 s[58:59], -1, 0
	s_ashr_i32 s23, s15, 31
	s_mov_b32 s22, s15
	v_addc_co_u32_e32 v1, vcc, 0, v2, vcc
	v_writelane_b32 v108, s3, 23
	s_mul_i32 s3, s15, 19
	s_lshl_b64 s[60:61], s[22:23], 2
	v_mov_b32_e32 v2, s9
	v_add_co_u32_e32 v16, vcc, s8, v0
	v_writelane_b32 v108, s3, 24
	s_mul_i32 s3, s15, 20
	v_mov_b32_e32 v0, 0
	v_addc_co_u32_e32 v17, vcc, v2, v1, vcc
	s_lshl_b32 s7, s15, 1
	s_lshl_b32 s63, s15, 2
	;; [unrolled: 1-line block ×4, first 2 shown]
	v_writelane_b32 v108, s3, 25
	s_mul_i32 s80, s15, 21
	s_mul_i32 s81, s15, 22
	;; [unrolled: 1-line block ×9, first 2 shown]
	v_mov_b32_e32 v89, s25
	s_mul_i32 s89, s15, 30
	v_mov_b32_e32 v90, s61
	v_mov_b32_e32 v91, 0
	;; [unrolled: 1-line block ×17, first 2 shown]
	s_mul_i32 s61, s15, 31
	s_lshl_b32 s90, s15, 5
	s_mul_i32 s91, s15, 33
	s_mul_i32 s92, s15, 34
	;; [unrolled: 1-line block ×31, first 2 shown]
	s_mov_b64 s[8:9], 0
	s_branch .LBB90_6
.LBB90_5:                               ;   in Loop: Header=BB90_6 Depth=1
	s_waitcnt vmcnt(0)
	ds_write2_b32 v87, v92, v94 offset1:66
	ds_write2_b32 v87, v93, v96 offset0:132 offset1:198
	v_add_u32_e32 v92, 0x400, v87
	ds_write2_b32 v92, v95, v98 offset0:8 offset1:74
	ds_write2_b32 v92, v97, v100 offset0:140 offset1:206
	v_add_u32_e32 v92, 0x800, v87
	ds_write2_b32 v92, v99, v102 offset0:16 offset1:82
	;; [unrolled: 3-line block ×3, first 2 shown]
	ds_write2_b32 v92, v91, v91 offset0:156 offset1:222
	ds_read2_b64 v[92:95], v88 offset1:4
	v_add_co_u32_e32 v16, vcc, 0x600, v16
	s_waitcnt lgkmcnt(0)
	v_mfma_f32_16x16x4f32 v[0:3], v46, v92, v[0:3]
	v_add_u32_e32 v86, 0x180, v86
	v_addc_co_u32_e32 v17, vcc, 0, v17, vcc
	v_cmp_le_i32_e32 vcc, s12, v86
	s_or_b64 s[8:9], vcc, s[8:9]
	v_mfma_f32_16x16x4f32 v[8:11], v58, v92, v[8:11]
	v_mfma_f32_16x16x4f32 v[4:7], v64, v92, v[4:7]
	;; [unrolled: 1-line block ×14, first 2 shown]
	ds_read2_b64 v[62:65], v88 offset0:8 offset1:12
	v_mfma_f32_16x16x4f32 v[12:15], v79, v95, v[12:15]
	s_waitcnt lgkmcnt(0)
	v_mfma_f32_16x16x4f32 v[0:3], v34, v62, v[0:3]
	v_mfma_f32_16x16x4f32 v[8:11], v50, v62, v[8:11]
	;; [unrolled: 1-line block ×14, first 2 shown]
	ds_read2_b64 v[44:47], v88 offset0:16 offset1:20
	v_mfma_f32_16x16x4f32 v[4:7], v57, v65, v[4:7]
	v_mfma_f32_16x16x4f32 v[12:15], v75, v65, v[12:15]
	s_waitcnt lgkmcnt(0)
	v_mfma_f32_16x16x4f32 v[0:3], v26, v44, v[0:3]
	v_mfma_f32_16x16x4f32 v[8:11], v38, v44, v[8:11]
	;; [unrolled: 1-line block ×14, first 2 shown]
	ds_read2_b64 v[30:33], v88 offset0:24 offset1:28
	v_mfma_f32_16x16x4f32 v[4:7], v49, v47, v[4:7]
	v_mfma_f32_16x16x4f32 v[12:15], v71, v47, v[12:15]
	s_waitcnt lgkmcnt(0)
	v_mfma_f32_16x16x4f32 v[0:3], v20, v30, v[0:3]
	v_mfma_f32_16x16x4f32 v[8:11], v28, v30, v[8:11]
	;; [unrolled: 1-line block ×16, first 2 shown]
	s_andn2_b64 exec, exec, s[8:9]
	s_cbranch_execz .LBB90_45
.LBB90_6:                               ; =>This Inner Loop Header: Depth=1
	v_add_co_u32_e32 v18, vcc, s60, v16
	v_addc_co_u32_e32 v19, vcc, v17, v90, vcc
	global_load_dword v30, v[16:17], off
	global_load_dword v31, v[18:19], off
	v_add_u32_e32 v18, s7, v86
	v_ashrrev_i32_e32 v19, 31, v18
	v_readlane_b32 s79, v108, 11
	v_lshlrev_b64 v[18:19], 2, v[18:19]
	v_add_u32_e32 v20, s79, v86
	v_add_co_u32_e32 v18, vcc, s0, v18
	v_ashrrev_i32_e32 v21, 31, v20
	v_addc_co_u32_e32 v19, vcc, v89, v19, vcc
	v_lshlrev_b64 v[20:21], 2, v[20:21]
	v_add_u32_e32 v22, s63, v86
	v_add_co_u32_e32 v20, vcc, s0, v20
	v_ashrrev_i32_e32 v23, 31, v22
	v_readlane_b32 s79, v108, 12
	v_addc_co_u32_e32 v21, vcc, v89, v21, vcc
	v_lshlrev_b64 v[22:23], 2, v[22:23]
	v_add_u32_e32 v24, s79, v86
	v_add_co_u32_e32 v22, vcc, s0, v22
	v_ashrrev_i32_e32 v25, 31, v24
	v_readlane_b32 s79, v108, 13
	;; [unrolled: 6-line block ×3, first 2 shown]
	v_addc_co_u32_e32 v25, vcc, v89, v25, vcc
	v_lshlrev_b64 v[26:27], 2, v[26:27]
	v_add_u32_e32 v28, s79, v86
	v_add_co_u32_e32 v26, vcc, s0, v26
	v_ashrrev_i32_e32 v29, 31, v28
	v_addc_co_u32_e32 v27, vcc, v89, v27, vcc
	v_lshlrev_b64 v[28:29], 2, v[28:29]
	v_add_co_u32_e32 v28, vcc, s0, v28
	v_addc_co_u32_e32 v29, vcc, v89, v29, vcc
	global_load_dword v32, v[18:19], off
	global_load_dword v33, v[20:21], off
	global_load_dword v34, v[22:23], off
	s_nop 0
	global_load_dword v24, v[24:25], off
	s_nop 0
	global_load_dword v25, v[26:27], off
	;; [unrolled: 2-line block ×3, first 2 shown]
	v_add_u32_e32 v18, s67, v86
	v_readlane_b32 s79, v108, 15
	v_ashrrev_i32_e32 v19, 31, v18
	v_add_u32_e32 v20, s79, v86
	v_lshlrev_b64 v[18:19], 2, v[18:19]
	v_readlane_b32 s79, v108, 16
	v_ashrrev_i32_e32 v21, 31, v20
	v_add_co_u32_e32 v18, vcc, s0, v18
	v_add_u32_e32 v22, s79, v86
	v_lshlrev_b64 v[20:21], 2, v[20:21]
	v_addc_co_u32_e32 v19, vcc, v89, v19, vcc
	v_ashrrev_i32_e32 v23, 31, v22
	v_add_co_u32_e32 v20, vcc, s0, v20
	v_readlane_b32 s79, v108, 17
	v_lshlrev_b64 v[22:23], 2, v[22:23]
	v_addc_co_u32_e32 v21, vcc, v89, v21, vcc
	global_load_dword v18, v[18:19], off
	s_nop 0
	global_load_dword v19, v[20:21], off
	v_add_u32_e32 v20, s79, v86
	v_add_co_u32_e32 v22, vcc, s0, v22
	v_ashrrev_i32_e32 v21, 31, v20
	v_addc_co_u32_e32 v23, vcc, v89, v23, vcc
	v_lshlrev_b64 v[20:21], 2, v[20:21]
	v_readlane_b32 s79, v108, 18
	v_add_u32_e32 v38, s82, v86
	v_ashrrev_i32_e32 v39, 31, v38
	v_lshlrev_b64 v[38:39], 2, v[38:39]
	v_add_u32_e32 v40, s83, v86
	v_ashrrev_i32_e32 v41, 31, v40
	v_lshlrev_b64 v[40:41], 2, v[40:41]
	;; [unrolled: 3-line block ×4, first 2 shown]
	v_add_u32_e32 v58, s23, v86
	v_ashrrev_i32_e32 v59, 31, v58
	s_waitcnt vmcnt(9)
	ds_write_b32 v87, v30
	s_waitcnt vmcnt(8)
	ds_write_b32 v87, v31 offset:264
	s_waitcnt vmcnt(7)
	ds_write_b32 v87, v32 offset:528
	;; [unrolled: 2-line block ×7, first 2 shown]
	v_add_co_u32_e32 v24, vcc, s0, v20
	v_add_u32_e32 v20, s79, v86
	v_addc_co_u32_e32 v25, vcc, v89, v21, vcc
	v_ashrrev_i32_e32 v21, 31, v20
	v_lshlrev_b64 v[20:21], 2, v[20:21]
	v_readlane_b32 s79, v108, 19
	v_add_co_u32_e32 v26, vcc, s0, v20
	v_add_u32_e32 v20, s79, v86
	v_addc_co_u32_e32 v27, vcc, v89, v21, vcc
	v_ashrrev_i32_e32 v21, 31, v20
	v_lshlrev_b64 v[20:21], 2, v[20:21]
	v_readlane_b32 s79, v108, 20
	;; [unrolled: 6-line block ×3, first 2 shown]
	v_add_co_u32_e32 v30, vcc, s0, v20
	v_add_u32_e32 v20, s79, v86
	v_addc_co_u32_e32 v31, vcc, v89, v21, vcc
	v_ashrrev_i32_e32 v21, 31, v20
	v_lshlrev_b64 v[20:21], 2, v[20:21]
	v_add_co_u32_e32 v32, vcc, s0, v20
	v_add_u32_e32 v20, s75, v86
	v_addc_co_u32_e32 v33, vcc, v89, v21, vcc
	v_ashrrev_i32_e32 v21, 31, v20
	v_lshlrev_b64 v[20:21], 2, v[20:21]
	v_readlane_b32 s79, v108, 22
	v_add_co_u32_e32 v34, vcc, s0, v20
	v_add_u32_e32 v20, s79, v86
	v_addc_co_u32_e32 v35, vcc, v89, v21, vcc
	v_ashrrev_i32_e32 v21, 31, v20
	v_lshlrev_b64 v[20:21], 2, v[20:21]
	v_add_co_u32_e32 v36, vcc, s0, v20
	v_readlane_b32 s79, v108, 23
	v_addc_co_u32_e32 v37, vcc, v89, v21, vcc
	global_load_dword v20, v[22:23], off
	global_load_dword v21, v[24:25], off
	s_nop 0
	global_load_dword v22, v[26:27], off
	global_load_dword v23, v[28:29], off
	s_nop 0
	global_load_dword v26, v[30:31], off
	global_load_dword v27, v[32:33], off
	;; [unrolled: 1-line block ×4, first 2 shown]
	v_add_u32_e32 v28, s79, v86
	v_ashrrev_i32_e32 v29, 31, v28
	v_readlane_b32 s79, v108, 24
	v_lshlrev_b64 v[28:29], 2, v[28:29]
	v_add_u32_e32 v30, s79, v86
	v_add_co_u32_e32 v28, vcc, s0, v28
	v_ashrrev_i32_e32 v31, 31, v30
	v_readlane_b32 s79, v108, 25
	v_addc_co_u32_e32 v29, vcc, v89, v29, vcc
	v_lshlrev_b64 v[30:31], 2, v[30:31]
	v_add_u32_e32 v32, s79, v86
	v_add_co_u32_e32 v30, vcc, s0, v30
	v_ashrrev_i32_e32 v33, 31, v32
	v_addc_co_u32_e32 v31, vcc, v89, v31, vcc
	v_lshlrev_b64 v[32:33], 2, v[32:33]
	v_add_u32_e32 v34, s80, v86
	v_add_co_u32_e32 v32, vcc, s0, v32
	v_ashrrev_i32_e32 v35, 31, v34
	;; [unrolled: 5-line block ×3, first 2 shown]
	v_addc_co_u32_e32 v35, vcc, v89, v35, vcc
	v_lshlrev_b64 v[36:37], 2, v[36:37]
	v_add_co_u32_e32 v36, vcc, s0, v36
	v_addc_co_u32_e32 v37, vcc, v89, v37, vcc
	v_add_co_u32_e32 v38, vcc, s0, v38
	v_addc_co_u32_e32 v39, vcc, v89, v39, vcc
	;; [unrolled: 2-line block ×4, first 2 shown]
	global_load_dword v28, v[28:29], off
	s_nop 0
	global_load_dword v29, v[30:31], off
	s_nop 0
	;; [unrolled: 2-line block ×6, first 2 shown]
	global_load_dword v38, v[40:41], off
	global_load_dword v39, v[42:43], off
	v_add_u32_e32 v30, s85, v86
	v_ashrrev_i32_e32 v31, 31, v30
	v_lshlrev_b64 v[30:31], 2, v[30:31]
	v_add_u32_e32 v34, s86, v86
	v_add_co_u32_e32 v30, vcc, s0, v30
	v_ashrrev_i32_e32 v35, 31, v34
	v_addc_co_u32_e32 v31, vcc, v89, v31, vcc
	v_lshlrev_b64 v[34:35], 2, v[34:35]
	v_add_u32_e32 v40, s87, v86
	v_add_co_u32_e32 v34, vcc, s0, v34
	v_ashrrev_i32_e32 v41, 31, v40
	v_addc_co_u32_e32 v35, vcc, v89, v35, vcc
	;; [unrolled: 5-line block ×3, first 2 shown]
	v_lshlrev_b64 v[42:43], 2, v[42:43]
	v_add_co_u32_e32 v42, vcc, s0, v42
	v_addc_co_u32_e32 v43, vcc, v89, v43, vcc
	v_add_co_u32_e32 v46, vcc, s0, v44
	v_add_u32_e32 v44, s61, v86
	v_addc_co_u32_e32 v47, vcc, v89, v45, vcc
	v_ashrrev_i32_e32 v45, 31, v44
	v_lshlrev_b64 v[44:45], 2, v[44:45]
	v_add_co_u32_e32 v52, vcc, s0, v44
	v_add_u32_e32 v44, s90, v86
	v_addc_co_u32_e32 v53, vcc, v89, v45, vcc
	v_ashrrev_i32_e32 v45, 31, v44
	v_lshlrev_b64 v[44:45], 2, v[44:45]
	;; [unrolled: 5-line block ×3, first 2 shown]
	v_add_co_u32_e32 v56, vcc, s0, v44
	v_addc_co_u32_e32 v57, vcc, v89, v45, vcc
	global_load_dword v44, v[30:31], off
	global_load_dword v45, v[34:35], off
	;; [unrolled: 1-line block ×6, first 2 shown]
	s_nop 0
	global_load_dword v42, v[54:55], off
	global_load_dword v43, v[56:57], off
	v_add_u32_e32 v30, s92, v86
	v_ashrrev_i32_e32 v31, 31, v30
	v_lshlrev_b64 v[30:31], 2, v[30:31]
	v_add_u32_e32 v34, s93, v86
	v_add_co_u32_e32 v30, vcc, s0, v30
	v_ashrrev_i32_e32 v35, 31, v34
	v_addc_co_u32_e32 v31, vcc, v89, v31, vcc
	v_lshlrev_b64 v[34:35], 2, v[34:35]
	v_add_u32_e32 v40, s94, v86
	v_add_co_u32_e32 v34, vcc, s0, v34
	v_ashrrev_i32_e32 v41, 31, v40
	v_addc_co_u32_e32 v35, vcc, v89, v35, vcc
	;; [unrolled: 5-line block ×6, first 2 shown]
	v_lshlrev_b64 v[56:57], 2, v[56:57]
	v_add_co_u32_e32 v56, vcc, s0, v56
	v_addc_co_u32_e32 v57, vcc, v89, v57, vcc
	v_lshlrev_b64 v[58:59], 2, v[58:59]
	v_add_co_u32_e32 v58, vcc, s0, v58
	v_addc_co_u32_e32 v59, vcc, v89, v59, vcc
	global_load_dword v60, v[30:31], off
	global_load_dword v61, v[34:35], off
	;; [unrolled: 1-line block ×8, first 2 shown]
	v_add_u32_e32 v30, s28, v86
	v_ashrrev_i32_e32 v31, 31, v30
	v_lshlrev_b64 v[30:31], 2, v[30:31]
	v_add_u32_e32 v34, s29, v86
	v_add_co_u32_e32 v30, vcc, s0, v30
	v_ashrrev_i32_e32 v35, 31, v34
	v_addc_co_u32_e32 v31, vcc, v89, v31, vcc
	v_lshlrev_b64 v[34:35], 2, v[34:35]
	v_add_u32_e32 v40, s3, v86
	v_add_co_u32_e32 v34, vcc, s0, v34
	v_ashrrev_i32_e32 v41, 31, v40
	v_addc_co_u32_e32 v35, vcc, v89, v35, vcc
	;; [unrolled: 5-line block ×7, first 2 shown]
	v_lshlrev_b64 v[58:59], 2, v[58:59]
	v_add_co_u32_e32 v58, vcc, s0, v58
	v_addc_co_u32_e32 v59, vcc, v89, v59, vcc
	global_load_dword v68, v[30:31], off
	global_load_dword v69, v[34:35], off
	;; [unrolled: 1-line block ×8, first 2 shown]
	v_add_u32_e32 v30, s64, v86
	v_ashrrev_i32_e32 v31, 31, v30
	v_lshlrev_b64 v[30:31], 2, v[30:31]
	v_add_u32_e32 v34, s65, v86
	v_add_co_u32_e32 v30, vcc, s0, v30
	v_ashrrev_i32_e32 v35, 31, v34
	v_addc_co_u32_e32 v31, vcc, v89, v31, vcc
	v_lshlrev_b64 v[34:35], 2, v[34:35]
	v_add_u32_e32 v40, s66, v86
	v_add_co_u32_e32 v34, vcc, s0, v34
	v_ashrrev_i32_e32 v41, 31, v40
	v_addc_co_u32_e32 v35, vcc, v89, v35, vcc
	;; [unrolled: 5-line block ×7, first 2 shown]
	v_lshlrev_b64 v[58:59], 2, v[58:59]
	v_add_co_u32_e32 v58, vcc, s0, v58
	v_addc_co_u32_e32 v59, vcc, v89, v59, vcc
	global_load_dword v76, v[30:31], off
	global_load_dword v77, v[34:35], off
	;; [unrolled: 1-line block ×8, first 2 shown]
	v_add_u32_e32 v30, s73, v86
	v_ashrrev_i32_e32 v31, 31, v30
	v_lshlrev_b64 v[30:31], 2, v[30:31]
	v_add_u32_e32 v34, s74, v86
	v_add_co_u32_e32 v30, vcc, s0, v30
	v_ashrrev_i32_e32 v35, 31, v34
	v_addc_co_u32_e32 v31, vcc, v89, v31, vcc
	v_lshlrev_b64 v[34:35], 2, v[34:35]
	v_add_u32_e32 v40, s76, v86
	v_add_co_u32_e32 v34, vcc, s0, v34
	v_ashrrev_i32_e32 v41, 31, v40
	v_addc_co_u32_e32 v35, vcc, v89, v35, vcc
	;; [unrolled: 5-line block ×5, first 2 shown]
	v_lshlrev_b64 v[54:55], 2, v[54:55]
	v_add_co_u32_e32 v54, vcc, s0, v54
	v_addc_co_u32_e32 v55, vcc, v89, v55, vcc
	global_load_dword v94, v[30:31], off
	global_load_dword v95, v[34:35], off
	;; [unrolled: 1-line block ×6, first 2 shown]
	s_waitcnt vmcnt(55)
	ds_write_b32 v87, v18 offset:2112
	s_waitcnt vmcnt(54)
	ds_write_b32 v87, v19 offset:2376
	s_waitcnt vmcnt(53)
	ds_write_b32 v87, v20 offset:2640
	s_waitcnt vmcnt(52)
	ds_write_b32 v87, v21 offset:2904
	s_waitcnt vmcnt(51)
	ds_write_b32 v87, v22 offset:3168
	s_waitcnt vmcnt(50)
	ds_write_b32 v87, v23 offset:3432
	s_waitcnt vmcnt(49)
	ds_write_b32 v87, v26 offset:3696
	s_waitcnt vmcnt(48)
	ds_write_b32 v87, v27 offset:3960
	ds_read_b64 v[46:47], v88
	ds_read_b64 v[40:41], v88 offset:32
	ds_read_b64 v[34:35], v88 offset:64
	ds_read_b64 v[30:31], v88 offset:96
	ds_read_b64 v[26:27], v88 offset:128
	ds_read_b64 v[22:23], v88 offset:160
	ds_read_b64 v[20:21], v88 offset:192
	ds_read_b64 v[18:19], v88 offset:224
	s_waitcnt vmcnt(47)
	ds_write_b32 v87, v24
	s_waitcnt vmcnt(46)
	ds_write_b32 v87, v25 offset:264
	s_waitcnt vmcnt(45)
	ds_write_b32 v87, v28 offset:528
	s_waitcnt vmcnt(44)
	ds_write_b32 v87, v29 offset:792
	s_waitcnt vmcnt(43)
	ds_write_b32 v87, v32 offset:1056
	s_waitcnt vmcnt(42)
	ds_write_b32 v87, v33 offset:1320
	s_waitcnt vmcnt(41)
	ds_write_b32 v87, v36 offset:1584
	s_waitcnt vmcnt(40)
	ds_write_b32 v87, v37 offset:1848
	s_waitcnt vmcnt(39)
	ds_write_b32 v87, v38 offset:2112
	s_waitcnt vmcnt(38)
	ds_write_b32 v87, v39 offset:2376
	s_waitcnt vmcnt(37)
	ds_write_b32 v87, v44 offset:2640
	s_waitcnt vmcnt(36)
	ds_write_b32 v87, v45 offset:2904
	s_waitcnt vmcnt(35)
	ds_write_b32 v87, v48 offset:3168
	s_waitcnt vmcnt(34)
	ds_write_b32 v87, v49 offset:3432
	s_waitcnt vmcnt(33)
	ds_write_b32 v87, v50 offset:3696
	s_waitcnt vmcnt(32)
	ds_write_b32 v87, v51 offset:3960
	ds_read_b64 v[58:59], v88
	ds_read_b64 v[54:55], v88 offset:32
	ds_read_b64 v[50:51], v88 offset:64
	ds_read_b64 v[44:45], v88 offset:96
	ds_read_b64 v[38:39], v88 offset:128
	ds_read_b64 v[32:33], v88 offset:160
	ds_read_b64 v[28:29], v88 offset:192
	ds_read_b64 v[24:25], v88 offset:224
	s_waitcnt vmcnt(31)
	ds_write_b32 v87, v42
	s_waitcnt vmcnt(30)
	ds_write_b32 v87, v43 offset:264
	s_waitcnt vmcnt(29)
	ds_write_b32 v87, v60 offset:528
	s_waitcnt vmcnt(28)
	ds_write_b32 v87, v61 offset:792
	s_waitcnt vmcnt(27)
	ds_write_b32 v87, v62 offset:1056
	s_waitcnt vmcnt(26)
	ds_write_b32 v87, v63 offset:1320
	s_waitcnt vmcnt(25)
	ds_write_b32 v87, v64 offset:1584
	s_waitcnt vmcnt(24)
	ds_write_b32 v87, v65 offset:1848
	;; [unrolled: 40-line block ×3, first 2 shown]
	s_waitcnt vmcnt(7)
	ds_write_b32 v87, v92 offset:2112
	s_waitcnt vmcnt(6)
	ds_write_b32 v87, v93 offset:2376
	;; [unrolled: 2-line block ×8, first 2 shown]
	ds_read_b64 v[80:81], v88
	ds_read_b64 v[78:79], v88 offset:32
	ds_read_b64 v[76:77], v88 offset:64
	;; [unrolled: 1-line block ×7, first 2 shown]
	s_andn2_b64 vcc, exec, s[4:5]
	v_mov_b32_e32 v92, 0
	s_cbranch_vccnz .LBB90_9
; %bb.7:                                ;   in Loop: Header=BB90_6 Depth=1
	s_load_dword vcc_lo, s[34:35], 0x0
	v_mov_b32_e32 v92, 0
	s_waitcnt lgkmcnt(0)
	s_mul_hi_u32 vcc_hi, vcc_lo, s16
	s_add_i32 vcc_hi, vcc_lo, vcc_hi
	s_lshr_b32 s79, vcc_hi, s17
	s_cmp_ge_i32 s79, s13
	s_cbranch_scc1 .LBB90_9
; %bb.8:                                ;   in Loop: Header=BB90_6 Depth=1
	s_mul_i32 vcc_hi, s79, s18
	s_sub_i32 vcc_lo, vcc_lo, vcc_hi
	s_mul_i32 vcc_lo, vcc_lo, s1
	s_mul_i32 s79, s79, s20
	s_add_i32 s79, s79, vcc_lo
	v_add_u32_e32 v92, s79, v86
	v_ashrrev_i32_e32 v93, 31, v92
	v_lshlrev_b64 v[92:93], 2, v[92:93]
	v_mov_b32_e32 v94, s11
	v_add_co_u32_e32 v92, vcc, s10, v92
	v_addc_co_u32_e32 v93, vcc, v94, v93, vcc
	global_load_dword v92, v[92:93], off
.LBB90_9:                               ;   in Loop: Header=BB90_6 Depth=1
	s_andn2_b64 vcc, exec, s[36:37]
	v_mov_b32_e32 v93, 0
	v_mov_b32_e32 v94, 0
	s_cbranch_vccnz .LBB90_12
; %bb.10:                               ;   in Loop: Header=BB90_6 Depth=1
	s_load_dword vcc_lo, s[34:35], 0x4
	v_mov_b32_e32 v94, 0
	s_waitcnt lgkmcnt(0)
	s_mul_hi_u32 s79, vcc_lo, s16
	s_add_i32 s79, vcc_lo, s79
	s_lshr_b32 vcc_hi, s79, s17
	s_cmp_ge_i32 vcc_hi, s13
	s_cbranch_scc1 .LBB90_12
; %bb.11:                               ;   in Loop: Header=BB90_6 Depth=1
	s_mul_i32 s79, vcc_hi, s18
	s_sub_i32 s79, vcc_lo, s79
	s_mul_i32 s79, s79, s1
	s_mul_i32 vcc_lo, vcc_hi, s20
	s_add_i32 vcc_lo, vcc_lo, s79
	v_add_u32_e32 v94, vcc_lo, v86
	v_ashrrev_i32_e32 v95, 31, v94
	v_lshlrev_b64 v[94:95], 2, v[94:95]
	v_mov_b32_e32 v96, s11
	v_add_co_u32_e32 v94, vcc, s10, v94
	v_addc_co_u32_e32 v95, vcc, v96, v95, vcc
	global_load_dword v94, v[94:95], off
.LBB90_12:                              ;   in Loop: Header=BB90_6 Depth=1
	s_andn2_b64 vcc, exec, s[38:39]
	s_cbranch_vccnz .LBB90_15
; %bb.13:                               ;   in Loop: Header=BB90_6 Depth=1
	s_load_dword vcc_lo, s[34:35], 0x8
	v_mov_b32_e32 v93, 0
	s_waitcnt lgkmcnt(0)
	s_mul_hi_u32 s79, vcc_lo, s16
	s_add_i32 s79, vcc_lo, s79
	s_lshr_b32 vcc_hi, s79, s17
	s_cmp_ge_i32 vcc_hi, s13
	s_cbranch_scc1 .LBB90_15
; %bb.14:                               ;   in Loop: Header=BB90_6 Depth=1
	s_mul_i32 s79, vcc_hi, s18
	s_sub_i32 s79, vcc_lo, s79
	s_mul_i32 s79, s79, s1
	s_mul_i32 vcc_lo, vcc_hi, s20
	s_add_i32 vcc_lo, vcc_lo, s79
	v_add_u32_e32 v96, vcc_lo, v86
	v_ashrrev_i32_e32 v97, 31, v96
	v_lshlrev_b64 v[96:97], 2, v[96:97]
	v_mov_b32_e32 v93, s11
	v_add_co_u32_e32 v96, vcc, s10, v96
	v_addc_co_u32_e32 v97, vcc, v93, v97, vcc
	global_load_dword v93, v[96:97], off
.LBB90_15:                              ;   in Loop: Header=BB90_6 Depth=1
	s_andn2_b64 vcc, exec, s[40:41]
	v_mov_b32_e32 v95, 0
	v_mov_b32_e32 v96, 0
	s_cbranch_vccnz .LBB90_18
; %bb.16:                               ;   in Loop: Header=BB90_6 Depth=1
	s_load_dword vcc_lo, s[34:35], 0xc
	v_mov_b32_e32 v96, 0
	s_waitcnt lgkmcnt(0)
	s_mul_hi_u32 s79, vcc_lo, s16
	s_add_i32 s79, vcc_lo, s79
	s_lshr_b32 vcc_hi, s79, s17
	s_cmp_ge_i32 vcc_hi, s13
	s_cbranch_scc1 .LBB90_18
; %bb.17:                               ;   in Loop: Header=BB90_6 Depth=1
	s_mul_i32 s79, vcc_hi, s18
	s_sub_i32 s79, vcc_lo, s79
	s_mul_i32 s79, s79, s1
	s_mul_i32 vcc_lo, vcc_hi, s20
	s_add_i32 vcc_lo, vcc_lo, s79
	v_add_u32_e32 v96, vcc_lo, v86
	v_ashrrev_i32_e32 v97, 31, v96
	v_lshlrev_b64 v[96:97], 2, v[96:97]
	v_mov_b32_e32 v98, s11
	v_add_co_u32_e32 v96, vcc, s10, v96
	v_addc_co_u32_e32 v97, vcc, v98, v97, vcc
	global_load_dword v96, v[96:97], off
.LBB90_18:                              ;   in Loop: Header=BB90_6 Depth=1
	s_andn2_b64 vcc, exec, s[42:43]
	s_cbranch_vccnz .LBB90_21
; %bb.19:                               ;   in Loop: Header=BB90_6 Depth=1
	s_load_dword vcc_lo, s[34:35], 0x10
	v_mov_b32_e32 v95, 0
	s_waitcnt lgkmcnt(0)
	s_mul_hi_u32 s79, vcc_lo, s16
	s_add_i32 s79, vcc_lo, s79
	s_lshr_b32 vcc_hi, s79, s17
	s_cmp_ge_i32 vcc_hi, s13
	s_cbranch_scc1 .LBB90_21
; %bb.20:                               ;   in Loop: Header=BB90_6 Depth=1
	s_mul_i32 s79, vcc_hi, s18
	s_sub_i32 s79, vcc_lo, s79
	s_mul_i32 s79, s79, s1
	s_mul_i32 vcc_lo, vcc_hi, s20
	s_add_i32 vcc_lo, vcc_lo, s79
	v_add_u32_e32 v98, vcc_lo, v86
	v_ashrrev_i32_e32 v99, 31, v98
	v_lshlrev_b64 v[98:99], 2, v[98:99]
	v_mov_b32_e32 v95, s11
	v_add_co_u32_e32 v98, vcc, s10, v98
	v_addc_co_u32_e32 v99, vcc, v95, v99, vcc
	global_load_dword v95, v[98:99], off
.LBB90_21:                              ;   in Loop: Header=BB90_6 Depth=1
	;; [unrolled: 52-line block ×5, first 2 shown]
	s_andn2_b64 vcc, exec, s[56:57]
	v_mov_b32_e32 v103, 0
	v_mov_b32_e32 v104, 0
	s_cbranch_vccnz .LBB90_42
; %bb.40:                               ;   in Loop: Header=BB90_6 Depth=1
	s_load_dword vcc_lo, s[34:35], 0x2c
	v_mov_b32_e32 v104, 0
	s_waitcnt lgkmcnt(0)
	s_mul_hi_u32 s79, vcc_lo, s16
	s_add_i32 s79, vcc_lo, s79
	s_lshr_b32 vcc_hi, s79, s17
	s_cmp_ge_i32 vcc_hi, s13
	s_cbranch_scc1 .LBB90_42
; %bb.41:                               ;   in Loop: Header=BB90_6 Depth=1
	s_mul_i32 s79, vcc_hi, s18
	s_sub_i32 s79, vcc_lo, s79
	s_mul_i32 s79, s79, s1
	s_mul_i32 vcc_lo, vcc_hi, s20
	s_add_i32 vcc_lo, vcc_lo, s79
	v_add_u32_e32 v104, vcc_lo, v86
	v_ashrrev_i32_e32 v105, 31, v104
	v_lshlrev_b64 v[104:105], 2, v[104:105]
	v_mov_b32_e32 v106, s11
	v_add_co_u32_e32 v104, vcc, s10, v104
	v_addc_co_u32_e32 v105, vcc, v106, v105, vcc
	global_load_dword v104, v[104:105], off
.LBB90_42:                              ;   in Loop: Header=BB90_6 Depth=1
	s_andn2_b64 vcc, exec, s[58:59]
	s_cbranch_vccnz .LBB90_5
; %bb.43:                               ;   in Loop: Header=BB90_6 Depth=1
	s_load_dword vcc_lo, s[34:35], 0x30
	v_mov_b32_e32 v103, 0
	s_waitcnt lgkmcnt(0)
	s_mul_hi_u32 s79, vcc_lo, s16
	s_add_i32 s79, vcc_lo, s79
	s_lshr_b32 vcc_hi, s79, s17
	s_cmp_ge_i32 vcc_hi, s13
	s_cbranch_scc1 .LBB90_5
; %bb.44:                               ;   in Loop: Header=BB90_6 Depth=1
	s_mul_i32 s79, vcc_hi, s18
	s_sub_i32 s79, vcc_lo, s79
	s_mul_i32 s79, s79, s1
	s_mul_i32 vcc_lo, vcc_hi, s20
	s_add_i32 vcc_lo, vcc_lo, s79
	v_add_u32_e32 v106, vcc_lo, v86
	v_ashrrev_i32_e32 v107, 31, v106
	v_lshlrev_b64 v[106:107], 2, v[106:107]
	v_mov_b32_e32 v103, s11
	v_add_co_u32_e32 v106, vcc, s10, v106
	v_addc_co_u32_e32 v107, vcc, v103, v107, vcc
	global_load_dword v103, v[106:107], off
	s_branch .LBB90_5
.LBB90_45:
	s_or_b64 exec, exec, s[8:9]
	v_readlane_b32 s24, v108, 6
	v_readlane_b32 s26, v108, 9
	;; [unrolled: 1-line block ×5, first 2 shown]
.LBB90_46:
	v_readlane_b32 s0, v108, 4
	v_readlane_b32 s1, v108, 5
	s_or_b64 exec, exec, s[0:1]
	v_mul_u32_u24_e32 v16, 0x608, v85
	v_lshlrev_b32_e32 v17, 2, v84
	v_add3_u32 v16, 0, v16, v17
	v_and_b32_e32 v17, 0x3f0, v83
	v_add_u32_e32 v17, v16, v17
	s_lshl_b64 s[0:1], s[26:27], 2
	v_readlane_b32 s4, v108, 0
	s_barrier
	ds_write2_b32 v17, v0, v1 offset1:1
	ds_write_b32 v17, v2 offset:8
	v_or_b32_e32 v0, 12, v83
	v_readlane_b32 s5, v108, 1
	s_add_u32 s3, s4, s0
	v_and_b32_e32 v0, 0x3fc, v0
	s_addc_u32 s8, s5, s1
	v_add_u32_e32 v0, v16, v0
	ds_write_b32 v0, v3
	ds_write2_b32 v17, v8, v9 offset0:16 offset1:17
	ds_write_b32 v17, v10 offset:72
	ds_write_b32 v0, v11 offset:64
	ds_write2_b32 v17, v4, v5 offset0:32 offset1:33
	ds_write_b32 v17, v6 offset:136
	ds_write_b32 v0, v7 offset:128
	ds_write2_b32 v17, v12, v13 offset0:48 offset1:49
	ds_write_b32 v17, v14 offset:200
	ds_write_b32 v0, v15 offset:192
	s_cmp_gt_i32 s14, 0
	v_add_u32_e32 v0, s6, v82
	s_cselect_b64 s[4:5], -1, 0
	v_cmp_gt_i32_e64 s[0:1], s33, v0
	v_cmp_gt_u32_e32 vcc, 13, v82
	s_and_b64 s[0:1], s[4:5], s[0:1]
	v_lshl_add_u32 v3, v83, 2, 0
	v_add_u32_e32 v2, s7, v83
	v_mul_u32_u24_e32 v4, 0x608, v82
	s_and_b64 s[10:11], vcc, s[0:1]
	s_waitcnt lgkmcnt(0)
	s_barrier
	s_and_saveexec_b64 s[0:1], s[10:11]
	s_cbranch_execz .LBB90_49
; %bb.47:
	v_ashrrev_i32_e32 v1, 31, v0
	v_lshlrev_b64 v[6:7], 2, v[0:1]
	v_mov_b32_e32 v1, s8
	v_add_co_u32_e32 v6, vcc, s3, v6
	v_addc_co_u32_e32 v7, vcc, v1, v7, vcc
	global_load_dword v5, v[6:7], off
	s_waitcnt vmcnt(0)
	v_mul_hi_u32 v1, v5, s19
	v_add_u32_e32 v1, v5, v1
	v_lshrrev_b32_e32 v1, s24, v1
	v_cmp_gt_i32_e32 vcc, s13, v1
	s_and_b64 exec, exec, vcc
	s_cbranch_execz .LBB90_49
; %bb.48:
	v_add_u32_e32 v10, v3, v4
	ds_read2st64_b32 v[6:7], v10 offset1:1
	ds_read2st64_b32 v[8:9], v10 offset0:2 offset1:3
	ds_read2st64_b32 v[10:11], v10 offset0:4 offset1:5
	v_mul_lo_u32 v12, v1, s25
	v_sub_u32_e32 v5, v5, v12
	v_mul_lo_u32 v5, v5, s2
	s_waitcnt lgkmcnt(2)
	v_add_f32_e32 v6, 0, v6
	v_add_f32_e32 v6, v6, v7
	s_waitcnt lgkmcnt(1)
	v_add_f32_e32 v6, v6, v8
	v_add_f32_e32 v6, v6, v9
	s_waitcnt lgkmcnt(0)
	v_add_f32_e32 v6, v6, v10
	v_mul_lo_u32 v1, v1, s21
	v_add_f32_e32 v8, v6, v11
	v_add3_u32 v6, v2, v1, v5
	v_mov_b32_e32 v7, 0
	v_readlane_b32 s10, v108, 2
	v_lshlrev_b64 v[6:7], 2, v[6:7]
	v_readlane_b32 s11, v108, 3
	v_mov_b32_e32 v1, s11
	v_add_co_u32_e32 v6, vcc, s10, v6
	v_addc_co_u32_e32 v7, vcc, v1, v7, vcc
	global_store_dword v[6:7], v8, off
.LBB90_49:
	s_or_b64 exec, exec, s[0:1]
	v_add_u32_e32 v0, 6, v0
	v_cmp_gt_i32_e64 s[0:1], s33, v0
	v_cmp_gt_u32_e32 vcc, 7, v82
	s_and_b64 s[0:1], s[4:5], s[0:1]
	s_and_b64 s[10:11], vcc, s[0:1]
	s_and_saveexec_b64 s[0:1], s[10:11]
	s_cbranch_execz .LBB90_52
; %bb.50:
	s_ashr_i32 s7, s6, 31
	v_mov_b32_e32 v1, s7
	v_add_co_u32_e32 v0, vcc, s6, v82
	v_addc_co_u32_e32 v1, vcc, 0, v1, vcc
	v_lshlrev_b64 v[0:1], 2, v[0:1]
	v_mov_b32_e32 v5, s8
	v_add_co_u32_e32 v0, vcc, s3, v0
	v_addc_co_u32_e32 v1, vcc, v5, v1, vcc
	global_load_dword v5, v[0:1], off offset:24
	v_mov_b32_e32 v1, 0
	s_waitcnt vmcnt(0)
	v_mul_hi_u32 v0, v5, s19
	v_add_u32_e32 v0, v5, v0
	v_lshrrev_b32_e32 v0, s24, v0
	v_cmp_gt_i32_e32 vcc, s13, v0
	s_and_b64 exec, exec, vcc
	s_cbranch_execz .LBB90_52
; %bb.51:
	v_add_u32_e32 v4, v4, v3
	v_add_u32_e32 v4, 48, v4
	ds_read2st64_b32 v[6:7], v4 offset0:36 offset1:37
	ds_read2st64_b32 v[8:9], v4 offset0:38 offset1:39
	v_mul_lo_u32 v10, v0, s25
	v_sub_u32_e32 v10, v5, v10
	ds_read2st64_b32 v[4:5], v4 offset0:40 offset1:41
	s_waitcnt lgkmcnt(2)
	v_add_f32_e32 v6, 0, v6
	v_add_f32_e32 v6, v6, v7
	s_waitcnt lgkmcnt(1)
	v_add_f32_e32 v6, v6, v8
	v_add_f32_e32 v6, v6, v9
	;; [unrolled: 3-line block ×3, first 2 shown]
	v_mul_lo_u32 v5, v10, s2
	v_mul_lo_u32 v0, v0, s21
	v_add3_u32 v0, v2, v0, v5
	v_readlane_b32 s10, v108, 2
	v_lshlrev_b64 v[0:1], 2, v[0:1]
	v_readlane_b32 s11, v108, 3
	v_mov_b32_e32 v5, s11
	v_add_co_u32_e32 v0, vcc, s10, v0
	v_addc_co_u32_e32 v1, vcc, v5, v1, vcc
	global_store_dword v[0:1], v4, off
.LBB90_52:
	s_or_b64 exec, exec, s[0:1]
	v_cmp_eq_u32_e32 vcc, 0, v82
	s_and_saveexec_b64 s[0:1], vcc
	s_cbranch_execz .LBB90_56
; %bb.53:
	s_add_i32 s0, s6, 12
	s_cmp_ge_i32 s0, s33
	s_cselect_b64 s[0:1], -1, 0
	s_xor_b64 s[4:5], s[4:5], -1
	s_or_b64 s[0:1], s[4:5], s[0:1]
	s_and_b64 vcc, exec, s[0:1]
	s_cbranch_vccnz .LBB90_56
; %bb.54:
	s_ashr_i32 s7, s6, 31
	s_lshl_b64 s[0:1], s[6:7], 2
	s_add_u32 s0, s3, s0
	s_addc_u32 s1, s8, s1
	s_load_dword s1, s[0:1], 0x30
	s_waitcnt lgkmcnt(0)
	s_mul_hi_u32 s0, s1, s19
	s_add_i32 s0, s1, s0
	s_lshr_b32 s0, s0, s24
	s_cmp_ge_i32 s0, s13
	s_cbranch_scc1 .LBB90_56
; %bb.55:
	v_add_u32_e32 v3, 0x60, v3
	ds_read2st64_b32 v[0:1], v3 offset0:72 offset1:73
	ds_read2st64_b32 v[4:5], v3 offset0:74 offset1:75
	;; [unrolled: 1-line block ×3, first 2 shown]
	s_mul_i32 s3, s0, s25
	s_sub_i32 s1, s1, s3
	s_mul_i32 s1, s1, s2
	s_waitcnt lgkmcnt(2)
	v_add_f32_e32 v0, 0, v0
	v_add_f32_e32 v0, v0, v1
	s_waitcnt lgkmcnt(1)
	v_add_f32_e32 v0, v0, v4
	v_add_f32_e32 v0, v0, v5
	s_mul_i32 s0, s0, s21
	s_waitcnt lgkmcnt(0)
	v_add_f32_e32 v0, v0, v6
	s_add_i32 s1, s1, s0
	v_add_f32_e32 v3, v0, v7
	v_add_u32_e32 v0, s1, v2
	v_mov_b32_e32 v1, 0
	v_readlane_b32 s0, v108, 2
	v_lshlrev_b64 v[0:1], 2, v[0:1]
	v_readlane_b32 s1, v108, 3
	v_mov_b32_e32 v2, s1
	v_add_co_u32_e32 v0, vcc, s0, v0
	v_addc_co_u32_e32 v1, vcc, v2, v1, vcc
	global_store_dword v[0:1], v3, off
.LBB90_56:
	s_endpgm
	.section	.rodata,"a",@progbits
	.p2align	6, 0x0
	.amdhsa_kernel _ZL13mul_mat_f_idsIfLi64ELi13ELi6EEvPKT_PKfPKiS6_S6_Pfiiiiiiiiiiiiii15HIP_vector_typeIjLj3EES9_
		.amdhsa_group_segment_fixed_size 0
		.amdhsa_private_segment_fixed_size 0
		.amdhsa_kernarg_size 128
		.amdhsa_user_sgpr_count 6
		.amdhsa_user_sgpr_private_segment_buffer 1
		.amdhsa_user_sgpr_dispatch_ptr 0
		.amdhsa_user_sgpr_queue_ptr 0
		.amdhsa_user_sgpr_kernarg_segment_ptr 1
		.amdhsa_user_sgpr_dispatch_id 0
		.amdhsa_user_sgpr_flat_scratch_init 0
		.amdhsa_user_sgpr_kernarg_preload_length 0
		.amdhsa_user_sgpr_kernarg_preload_offset 0
		.amdhsa_user_sgpr_private_segment_size 0
		.amdhsa_uses_dynamic_stack 0
		.amdhsa_system_sgpr_private_segment_wavefront_offset 0
		.amdhsa_system_sgpr_workgroup_id_x 1
		.amdhsa_system_sgpr_workgroup_id_y 1
		.amdhsa_system_sgpr_workgroup_id_z 1
		.amdhsa_system_sgpr_workgroup_info 0
		.amdhsa_system_vgpr_workitem_id 1
		.amdhsa_next_free_vgpr 109
		.amdhsa_next_free_sgpr 96
		.amdhsa_accum_offset 112
		.amdhsa_reserve_vcc 1
		.amdhsa_reserve_flat_scratch 0
		.amdhsa_float_round_mode_32 0
		.amdhsa_float_round_mode_16_64 0
		.amdhsa_float_denorm_mode_32 3
		.amdhsa_float_denorm_mode_16_64 3
		.amdhsa_dx10_clamp 1
		.amdhsa_ieee_mode 1
		.amdhsa_fp16_overflow 0
		.amdhsa_tg_split 0
		.amdhsa_exception_fp_ieee_invalid_op 0
		.amdhsa_exception_fp_denorm_src 0
		.amdhsa_exception_fp_ieee_div_zero 0
		.amdhsa_exception_fp_ieee_overflow 0
		.amdhsa_exception_fp_ieee_underflow 0
		.amdhsa_exception_fp_ieee_inexact 0
		.amdhsa_exception_int_div_zero 0
	.end_amdhsa_kernel
	.section	.text._ZL13mul_mat_f_idsIfLi64ELi13ELi6EEvPKT_PKfPKiS6_S6_Pfiiiiiiiiiiiiii15HIP_vector_typeIjLj3EES9_,"axG",@progbits,_ZL13mul_mat_f_idsIfLi64ELi13ELi6EEvPKT_PKfPKiS6_S6_Pfiiiiiiiiiiiiii15HIP_vector_typeIjLj3EES9_,comdat
.Lfunc_end90:
	.size	_ZL13mul_mat_f_idsIfLi64ELi13ELi6EEvPKT_PKfPKiS6_S6_Pfiiiiiiiiiiiiii15HIP_vector_typeIjLj3EES9_, .Lfunc_end90-_ZL13mul_mat_f_idsIfLi64ELi13ELi6EEvPKT_PKfPKiS6_S6_Pfiiiiiiiiiiiiii15HIP_vector_typeIjLj3EES9_
                                        ; -- End function
	.section	.AMDGPU.csdata,"",@progbits
; Kernel info:
; codeLenInByte = 7428
; NumSgprs: 100
; NumVgprs: 109
; NumAgprs: 0
; TotalNumVgprs: 109
; ScratchSize: 0
; MemoryBound: 0
; FloatMode: 240
; IeeeMode: 1
; LDSByteSize: 0 bytes/workgroup (compile time only)
; SGPRBlocks: 12
; VGPRBlocks: 13
; NumSGPRsForWavesPerEU: 100
; NumVGPRsForWavesPerEU: 109
; AccumOffset: 112
; Occupancy: 4
; WaveLimiterHint : 1
; COMPUTE_PGM_RSRC2:SCRATCH_EN: 0
; COMPUTE_PGM_RSRC2:USER_SGPR: 6
; COMPUTE_PGM_RSRC2:TRAP_HANDLER: 0
; COMPUTE_PGM_RSRC2:TGID_X_EN: 1
; COMPUTE_PGM_RSRC2:TGID_Y_EN: 1
; COMPUTE_PGM_RSRC2:TGID_Z_EN: 1
; COMPUTE_PGM_RSRC2:TIDIG_COMP_CNT: 1
; COMPUTE_PGM_RSRC3_GFX90A:ACCUM_OFFSET: 27
; COMPUTE_PGM_RSRC3_GFX90A:TG_SPLIT: 0
	.section	.text._ZL9mul_mat_fIfLi64ELi13ELi6ELb1EEvPKT_PKfPKiPfiiiiiiiiiiiiiiii,"axG",@progbits,_ZL9mul_mat_fIfLi64ELi13ELi6ELb1EEvPKT_PKfPKiPfiiiiiiiiiiiiiiii,comdat
	.globl	_ZL9mul_mat_fIfLi64ELi13ELi6ELb1EEvPKT_PKfPKiPfiiiiiiiiiiiiiiii ; -- Begin function _ZL9mul_mat_fIfLi64ELi13ELi6ELb1EEvPKT_PKfPKiPfiiiiiiiiiiiiiiii
	.p2align	8
	.type	_ZL9mul_mat_fIfLi64ELi13ELi6ELb1EEvPKT_PKfPKiPfiiiiiiiiiiiiiiii,@function
_ZL9mul_mat_fIfLi64ELi13ELi6ELb1EEvPKT_PKfPKiPfiiiiiiiiiiiiiiii: ; @_ZL9mul_mat_fIfLi64ELi13ELi6ELb1EEvPKT_PKfPKiPfiiiiiiiiiiiiiiii
; %bb.0:
	s_load_dwordx8 s[16:23], s[4:5], 0x20
	v_and_b32_e32 v16, 0x3ff, v0
	v_bfe_u32 v17, v0, 10, 10
	v_cmp_eq_u32_e32 vcc, 0, v16
	s_waitcnt lgkmcnt(0)
	s_add_i32 s0, s17, 12
	s_mul_hi_i32 s0, s0, 0x4ec4ec4f
	s_lshr_b32 s1, s0, 31
	s_ashr_i32 s0, s0, 2
	s_add_i32 s0, s0, s1
	v_cvt_f32_u32_e32 v1, s0
	s_load_dwordx4 s[24:27], s[4:5], 0x44
	s_load_dword s1, s[4:5], 0x64
	s_add_u32 s34, s4, 0x60
	s_addc_u32 s35, s5, 0
	v_rcp_iflag_f32_e32 v1, v1
	s_sub_i32 s2, 0, s0
	v_mul_f32_e32 v1, 0x4f7ffffe, v1
	v_cvt_u32_f32_e32 v1, v1
	v_readfirstlane_b32 s3, v1
	s_mul_i32 s2, s2, s3
	s_mul_hi_u32 s2, s3, s2
	s_add_i32 s3, s3, s2
	s_waitcnt lgkmcnt(0)
	s_mul_hi_u32 s2, s1, s3
	s_mul_i32 s3, s2, s0
	s_sub_i32 s1, s1, s3
	s_add_i32 s9, s2, 1
	s_sub_i32 s3, s1, s0
	s_cmp_ge_u32 s1, s0
	s_cselect_b32 s2, s9, s2
	s_cselect_b32 s1, s3, s1
	s_add_i32 s3, s2, 1
	s_cmp_ge_u32 s1, s0
	s_cselect_b32 s10, s3, s2
	v_cvt_f32_u32_e32 v1, s10
	s_abs_i32 s40, s27
	v_cvt_f32_u32_e32 v2, s40
	s_load_dwordx2 s[0:1], s[4:5], 0x10
	v_rcp_iflag_f32_e32 v1, v1
	s_sub_i32 s2, 0, s10
	v_rcp_iflag_f32_e32 v2, v2
	v_mul_f32_e32 v1, 0x4f7ffffe, v1
	v_cvt_u32_f32_e32 v1, v1
	v_mul_f32_e32 v2, 0x4f7ffffe, v2
	v_cvt_u32_f32_e32 v2, v2
	v_readfirstlane_b32 s3, v1
	s_mul_i32 s2, s2, s3
	s_mul_hi_u32 s2, s3, s2
	s_add_i32 s3, s3, s2
	v_readfirstlane_b32 s9, v2
	s_mul_hi_u32 s11, s7, s3
	s_and_saveexec_b64 s[2:3], vcc
	s_cbranch_execz .LBB91_2
; %bb.1:
	v_mov_b32_e32 v1, 0x100
	v_lshl_add_u32 v1, v17, 2, v1
	v_mov_b32_e32 v2, -1
	ds_write_b32 v1, v2
.LBB91_2:
	s_or_b64 exec, exec, s[2:3]
	s_mul_i32 s2, s11, s10
	s_sub_i32 s2, s7, s2
	s_add_i32 s3, s11, 1
	s_sub_i32 s12, s2, s10
	s_cmp_ge_u32 s2, s10
	s_cselect_b32 s3, s3, s11
	s_cselect_b32 s2, s12, s2
	s_add_i32 s11, s3, 1
	s_cmp_ge_u32 s2, s10
	s_cselect_b32 s2, s11, s3
	s_mul_i32 s3, s2, s10
	s_mul_i32 s52, s2, 13
	s_sub_i32 s7, s7, s3
	s_mul_hi_i32 s3, s52, s23
	s_mul_i32 s2, s52, s23
	s_lshl_b64 s[2:3], s[2:3], 2
	s_waitcnt lgkmcnt(0)
	s_add_u32 s33, s0, s2
	v_add_u32_e32 v1, s52, v17
	s_addc_u32 s1, s1, s3
	v_cmp_gt_i32_e64 s[10:11], s18, v16
	v_cmp_gt_i32_e64 s[42:43], s17, v1
	v_mov_b32_e32 v1, 0
	s_and_saveexec_b64 s[14:15], s[42:43]
	s_cbranch_execz .LBB91_10
; %bb.3:
	v_mov_b32_e32 v1, 0
	s_and_saveexec_b64 s[28:29], s[10:11]
	s_cbranch_execz .LBB91_9
; %bb.4:
	v_mul_lo_u32 v2, v17, s23
	v_ashrrev_i32_e32 v3, 31, v2
	v_lshlrev_b64 v[2:3], 2, v[2:3]
	v_mov_b32_e32 v1, s1
	v_add_co_u32_e64 v4, s[2:3], s33, v2
	v_addc_co_u32_e64 v5, s[2:3], v1, v3, s[2:3]
	v_mov_b32_e32 v1, 0x100
	v_lshl_add_u32 v6, v17, 2, v1
	v_mul_lo_u32 v2, v16, s22
	s_lshl_b32 s0, s22, 6
	s_mov_b64 s[30:31], 0
	v_mov_b32_e32 v1, 0
	v_mov_b32_e32 v7, v16
	s_branch .LBB91_6
.LBB91_5:                               ;   in Loop: Header=BB91_6 Depth=1
	s_or_b64 exec, exec, s[36:37]
	v_add_u32_e32 v7, 64, v7
	v_cmp_le_i32_e64 s[12:13], s18, v7
	s_xor_b64 s[2:3], s[2:3], -1
	s_or_b64 s[2:3], s[2:3], s[12:13]
	s_and_b64 s[2:3], exec, s[2:3]
	s_or_b64 s[30:31], s[2:3], s[30:31]
	v_add_u32_e32 v2, s0, v2
	s_andn2_b64 exec, exec, s[30:31]
	s_cbranch_execz .LBB91_8
.LBB91_6:                               ; =>This Inner Loop Header: Depth=1
	v_ashrrev_i32_e32 v3, 31, v2
	v_lshlrev_b64 v[8:9], 2, v[2:3]
	v_add_co_u32_e64 v8, s[2:3], v4, v8
	v_addc_co_u32_e64 v9, s[2:3], v5, v9, s[2:3]
	global_load_dword v3, v[8:9], off
	s_waitcnt vmcnt(0)
	v_cmp_ne_u32_e64 s[2:3], s7, v3
	v_cmp_eq_u32_e64 s[12:13], s7, v3
	s_and_saveexec_b64 s[36:37], s[12:13]
	s_cbranch_execz .LBB91_5
; %bb.7:                                ;   in Loop: Header=BB91_6 Depth=1
	v_mov_b32_e32 v1, 1
	ds_write_b32 v6, v7
	s_branch .LBB91_5
.LBB91_8:
	s_or_b64 exec, exec, s[30:31]
.LBB91_9:
	s_or_b64 exec, exec, s[28:29]
.LBB91_10:
	s_or_b64 exec, exec, s[14:15]
	s_sub_i32 s0, 0, s40
	s_and_saveexec_b64 s[2:3], vcc
	s_cbranch_execz .LBB91_12
; %bb.11:
	v_mov_b32_e32 v2, 0x100
	v_lshl_add_u32 v2, v17, 2, v2
	v_mov_b32_e32 v3, -1
	ds_write_b32 v2, v3 offset:24
.LBB91_12:
	s_or_b64 exec, exec, s[2:3]
	v_add_u32_e32 v84, 6, v17
	s_mul_i32 s0, s0, s9
	v_add_u32_e32 v2, s52, v84
	v_cmp_gt_i32_e64 s[2:3], s17, v2
	s_mov_b64 s[28:29], exec
                                        ; implicit-def: $vgpr103 : SGPR spill to VGPR lane
	v_writelane_b32 v103, s2, 0
	v_writelane_b32 v103, s3, 1
	s_and_b64 s[2:3], s[28:29], s[2:3]
	s_mov_b64 exec, s[2:3]
	s_cbranch_execz .LBB91_20
; %bb.13:
	s_and_saveexec_b64 s[30:31], s[10:11]
	s_cbranch_execz .LBB91_19
; %bb.14:
	v_mul_lo_u32 v2, v84, s23
	v_ashrrev_i32_e32 v3, 31, v2
	v_lshlrev_b64 v[2:3], 2, v[2:3]
	v_mov_b32_e32 v5, s1
	v_add_co_u32_e64 v4, s[12:13], s33, v2
	v_mov_b32_e32 v2, 0x100
	v_addc_co_u32_e64 v5, s[12:13], v5, v3, s[12:13]
	v_lshl_add_u32 v6, v17, 2, v2
	v_mul_lo_u32 v2, v16, s22
	s_lshl_b32 s2, s22, 6
	s_mov_b64 s[36:37], 0
	v_mov_b32_e32 v7, v16
	s_branch .LBB91_16
.LBB91_15:                              ;   in Loop: Header=BB91_16 Depth=1
	s_or_b64 exec, exec, s[38:39]
	v_add_u32_e32 v7, 64, v7
	v_cmp_le_i32_e64 s[14:15], s18, v7
	s_xor_b64 s[12:13], s[12:13], -1
	s_or_b64 s[12:13], s[12:13], s[14:15]
	s_and_b64 s[12:13], exec, s[12:13]
	s_or_b64 s[36:37], s[12:13], s[36:37]
	v_add_u32_e32 v2, s2, v2
	s_andn2_b64 exec, exec, s[36:37]
	s_cbranch_execz .LBB91_18
.LBB91_16:                              ; =>This Inner Loop Header: Depth=1
	v_ashrrev_i32_e32 v3, 31, v2
	v_lshlrev_b64 v[8:9], 2, v[2:3]
	v_add_co_u32_e64 v8, s[12:13], v4, v8
	v_addc_co_u32_e64 v9, s[12:13], v5, v9, s[12:13]
	global_load_dword v3, v[8:9], off
	s_waitcnt vmcnt(0)
	v_cmp_ne_u32_e64 s[12:13], s7, v3
	v_cmp_eq_u32_e64 s[14:15], s7, v3
	s_and_saveexec_b64 s[38:39], s[14:15]
	s_cbranch_execz .LBB91_15
; %bb.17:                               ;   in Loop: Header=BB91_16 Depth=1
	v_mov_b32_e32 v1, 1
	ds_write_b32 v6, v7 offset:24
	s_branch .LBB91_15
.LBB91_18:
	s_or_b64 exec, exec, s[36:37]
.LBB91_19:
	s_or_b64 exec, exec, s[30:31]
.LBB91_20:
	s_or_b64 exec, exec, s[28:29]
	s_mul_hi_u32 s2, s9, s0
	s_and_saveexec_b64 s[12:13], vcc
	s_cbranch_execz .LBB91_22
; %bb.21:
	v_mov_b32_e32 v2, 0x100
	v_lshl_add_u32 v2, v17, 2, v2
	v_mov_b32_e32 v3, -1
	ds_write_b32 v2, v3 offset:48
.LBB91_22:
	s_or_b64 exec, exec, s[12:13]
	s_load_dwordx4 s[28:31], s[4:5], 0x54
	v_add_u32_e32 v85, 12, v17
	s_abs_i32 s0, s8
	s_add_i32 s9, s9, s2
	v_add_u32_e32 v2, s52, v85
	v_cmp_gt_i32_e64 s[2:3], s17, v2
	s_mov_b64 s[14:15], exec
	v_writelane_b32 v103, s2, 2
	v_writelane_b32 v103, s3, 3
	s_and_b64 s[2:3], s[14:15], s[2:3]
	s_mov_b64 exec, s[2:3]
	s_cbranch_execz .LBB91_30
; %bb.23:
	s_and_saveexec_b64 s[36:37], s[10:11]
	s_cbranch_execz .LBB91_29
; %bb.24:
	v_mul_lo_u32 v2, v85, s23
	v_ashrrev_i32_e32 v3, 31, v2
	v_lshlrev_b64 v[2:3], 2, v[2:3]
	v_mov_b32_e32 v5, s1
	v_add_co_u32_e32 v4, vcc, s33, v2
	v_mov_b32_e32 v2, 0x100
	v_addc_co_u32_e32 v5, vcc, v5, v3, vcc
	v_lshl_add_u32 v6, v17, 2, v2
	v_mul_lo_u32 v2, v16, s22
	s_lshl_b32 s1, s22, 6
	s_mov_b64 s[22:23], 0
	v_mov_b32_e32 v7, v16
	s_branch .LBB91_26
.LBB91_25:                              ;   in Loop: Header=BB91_26 Depth=1
	s_or_b64 exec, exec, s[38:39]
	v_add_u32_e32 v7, 64, v7
	v_cmp_le_i32_e64 s[10:11], s18, v7
	s_xor_b64 s[2:3], vcc, -1
	s_or_b64 s[2:3], s[2:3], s[10:11]
	s_and_b64 s[2:3], exec, s[2:3]
	s_or_b64 s[22:23], s[2:3], s[22:23]
	v_add_u32_e32 v2, s1, v2
	s_andn2_b64 exec, exec, s[22:23]
	s_cbranch_execz .LBB91_28
.LBB91_26:                              ; =>This Inner Loop Header: Depth=1
	v_ashrrev_i32_e32 v3, 31, v2
	v_lshlrev_b64 v[8:9], 2, v[2:3]
	v_add_co_u32_e32 v8, vcc, v4, v8
	v_addc_co_u32_e32 v9, vcc, v5, v9, vcc
	global_load_dword v3, v[8:9], off
	s_waitcnt vmcnt(0)
	v_cmp_ne_u32_e32 vcc, s7, v3
	v_cmp_eq_u32_e64 s[10:11], s7, v3
	s_and_saveexec_b64 s[38:39], s[10:11]
	s_cbranch_execz .LBB91_25
; %bb.27:                               ;   in Loop: Header=BB91_26 Depth=1
	v_mov_b32_e32 v1, 1
	ds_write_b32 v6, v7 offset:48
	s_branch .LBB91_25
.LBB91_28:
	s_or_b64 exec, exec, s[22:23]
.LBB91_29:
	s_or_b64 exec, exec, s[36:37]
.LBB91_30:
	s_or_b64 exec, exec, s[14:15]
	s_load_dwordx2 s[2:3], s[34:35], 0xc
	s_load_dwordx4 s[36:39], s[4:5], 0x0
	s_load_dwordx2 s[10:11], s[4:5], 0x18
	v_cmp_ne_u32_e32 vcc, 0, v1
	v_cndmask_b32_e64 v1, 0, 1, vcc
                                        ; kill: killed $sgpr4 killed $sgpr5
	s_waitcnt lgkmcnt(0)
	s_and_b32 s5, s3, 0xffff
	s_lshr_b32 s4, s2, 16
	v_or_b32_dpp v1, v1, v1 row_shl:1 row_mask:0xf bank_mask:0xf bound_ctrl:1
	s_and_b32 s3, s2, 0xffff
	s_mul_i32 s2, s4, s3
	v_or_b32_dpp v1, v1, v1 row_shl:2 row_mask:0xf bank_mask:0xf bound_ctrl:1
	s_bfe_i32 s2, s2, 0x180000
	s_mul_i32 s2, s2, s5
	v_or_b32_dpp v1, v1, v1 row_shl:4 row_mask:0xf bank_mask:0xf bound_ctrl:1
	s_add_i32 s5, s2, 63
	s_bitcmp1_b32 exec_hi, 0
	v_or_b32_dpp v1, v1, v1 row_shl:8 row_mask:0xf bank_mask:0xf bound_ctrl:1
	s_mul_hi_u32 s1, s0, s9
	v_writelane_b32 v103, s10, 4
	v_mov_b32_dpp v2, v1 wave_shl:1 row_mask:0xf bank_mask:0xf bound_ctrl:1
	v_writelane_b32 v103, s11, 5
                                        ; kill: killed $sgpr34 killed $sgpr35
	s_nop 0
	v_or_b32_dpp v1, v2, v1 row_mirror row_mask:0xf bank_mask:0xf bound_ctrl:1
	v_readlane_b32 s2, v1, 32
	s_cselect_b32 s2, s2, 0
	v_readlane_b32 s9, v1, 0
	s_or_b32 s2, s2, s9
	s_andn2_b32 s5, s5, 63
	s_cmp_lg_u32 s5, 64
	v_mov_b32_e32 v1, s2
	s_cbranch_scc0 .LBB91_37
; %bb.31:
	v_bfe_u32 v0, v0, 20, 10
	v_mbcnt_lo_u32_b32 v1, -1, 0
	v_mad_u32_u24 v0, v0, s4, v17
	v_mbcnt_hi_u32_b32 v2, -1, v1
	v_mad_u64_u32 v[0:1], s[4:5], v0, s3, v[16:17]
	v_lshrrev_b32_e32 v1, 6, v0
	v_or_b32_e32 v1, v2, v1
	v_cmp_eq_u32_e32 vcc, 0, v1
	s_and_saveexec_b64 s[4:5], vcc
	s_cbranch_execz .LBB91_33
; %bb.32:
	v_mov_b32_e32 v1, 0
	v_mov_b32_e32 v3, s2
	ds_write_b32 v1, v3
.LBB91_33:
	s_or_b64 exec, exec, s[4:5]
	v_cmp_eq_u32_e32 vcc, 0, v2
	v_cmp_lt_u32_e64 s[4:5], 63, v0
	s_and_b64 s[10:11], s[4:5], vcc
	s_waitcnt lgkmcnt(0)
	s_barrier
	s_and_saveexec_b64 s[4:5], s[10:11]
	s_cbranch_execz .LBB91_36
; %bb.34:
	v_mbcnt_lo_u32_b32 v0, exec_lo, 0
	v_mbcnt_hi_u32_b32 v0, exec_hi, v0
	v_cmp_eq_u32_e32 vcc, 0, v0
	s_and_b64 exec, exec, vcc
	s_cbranch_execz .LBB91_36
; %bb.35:
	v_mov_b32_e32 v0, 0
	v_mov_b32_e32 v1, s2
	ds_or_b32 v0, v1
.LBB91_36:
	s_or_b64 exec, exec, s[4:5]
	v_mov_b32_e32 v0, 0
	s_waitcnt lgkmcnt(0)
	s_barrier
	ds_read_b32 v1, v0
	s_waitcnt lgkmcnt(0)
	s_barrier
.LBB91_37:
	v_cmp_ne_u32_e32 vcc, 0, v1
	s_ashr_i32 s2, s8, 31
	s_ashr_i32 s3, s27, 31
	s_cbranch_vccz .LBB91_107
; %bb.38:
	v_lshlrev_b32_e32 v86, 6, v17
	v_add_u32_e32 v88, v86, v16
	v_cmp_le_i32_e32 vcc, s16, v88
	v_and_b32_e32 v87, 15, v16
                                        ; implicit-def: $sgpr9
	s_and_saveexec_b64 s[4:5], vcc
	s_xor_b64 s[4:5], exec, s[4:5]
; %bb.39:
	v_and_b32_e32 v87, 15, v16
	s_mov_b32 s9, 0
                                        ; implicit-def: $vgpr88
; %bb.40:
	s_or_saveexec_b64 s[4:5], s[4:5]
	s_lshl_b32 s6, s6, 6
	v_mov_b32_e32 v11, s9
	v_mov_b32_e32 v10, s9
	;; [unrolled: 1-line block ×16, first 2 shown]
	v_writelane_b32 v103, s4, 6
	v_writelane_b32 v103, s5, 7
	s_xor_b64 exec, exec, s[4:5]
	s_cbranch_execz .LBB91_96
; %bb.41:
	s_xor_b32 s2, s2, s3
	s_mul_i32 s3, s1, s40
	s_sub_i32 s0, s0, s3
	s_add_i32 s3, s1, 1
	s_sub_i32 s4, s0, s40
	s_cmp_ge_u32 s0, s40
	s_cselect_b32 s1, s3, s1
	s_cselect_b32 s0, s4, s0
	s_add_i32 s3, s1, 1
	s_cmp_ge_u32 s0, s40
	s_cselect_b32 s0, s3, s1
	s_xor_b32 s0, s0, s2
	s_sub_i32 s0, s0, s2
	s_mul_hi_i32 s1, s0, s28
	s_mul_i32 s0, s0, s28
	s_mul_i32 s2, s7, s24
	v_writelane_b32 v103, s42, 8
	s_ashr_i32 s3, s2, 31
	s_lshl_b64 s[0:1], s[0:1], 2
	v_writelane_b32 v103, s43, 9
	s_add_u32 s5, s36, s0
	v_writelane_b32 v103, s6, 10
	s_mul_i32 s4, s6, s19
	s_addc_u32 s6, s37, s1
	s_lshl_b64 s[2:3], s[2:3], 2
	s_add_u32 s7, s5, s2
	s_addc_u32 s6, s6, s3
	s_ashr_i32 s5, s4, 31
	s_lshl_b64 s[4:5], s[4:5], 2
	s_add_u32 s24, s7, s4
	s_addc_u32 s10, s6, s5
	s_movk_i32 s6, 0x1080
	v_mov_b32_e32 v89, 0x100
	v_writelane_b32 v103, s8, 11
	v_mad_u32_u24 v0, v17, s6, v89
	s_mul_hi_i32 s7, s29, s8
	v_writelane_b32 v103, s28, 12
	s_mul_i32 s6, s29, s8
	s_lshl_b64 s[6:7], s[6:7], 2
	v_writelane_b32 v103, s29, 13
	s_mul_hi_i32 s9, s52, s20
	s_mul_i32 s8, s52, s20
	s_add_u32 s11, s38, s6
	v_writelane_b32 v103, s30, 14
	s_addc_u32 s12, s39, s7
	s_lshl_b64 s[6:7], s[8:9], 2
	v_writelane_b32 v103, s31, 15
	s_add_u32 s31, s11, s6
	s_addc_u32 s33, s12, s7
	s_cmp_lt_i32 s52, s17
	s_cselect_b64 s[6:7], -1, 0
	s_add_i32 s8, s52, 1
	s_cmp_lt_i32 s8, s17
	s_cselect_b64 s[14:15], -1, 0
	s_add_i32 s8, s52, 2
	s_cmp_lt_i32 s8, s17
	s_cselect_b64 s[22:23], -1, 0
	s_lshl_b32 s8, s20, 1
	v_writelane_b32 v103, s8, 16
	s_add_i32 s8, s52, 3
	s_cmp_lt_i32 s8, s17
	s_cselect_b64 s[28:29], -1, 0
	s_add_i32 s8, s52, 4
	s_cmp_lt_i32 s8, s17
	s_cselect_b64 s[34:35], -1, 0
	s_lshl_b32 s8, s20, 2
	v_writelane_b32 v103, s8, 17
	s_add_i32 s8, s52, 5
	s_cmp_lt_i32 s8, s17
	s_cselect_b64 s[38:39], -1, 0
	s_add_i32 s8, s52, 6
	s_cmp_lt_i32 s8, s17
	s_cselect_b64 s[40:41], -1, 0
	;; [unrolled: 3-line block ×4, first 2 shown]
	s_lshl_b32 s8, s20, 3
	v_writelane_b32 v103, s8, 18
	s_add_i32 s8, s52, 9
	s_cmp_lt_i32 s8, s17
	s_cselect_b64 s[46:47], -1, 0
	s_add_i32 s8, s52, 10
	s_cmp_lt_i32 s8, s17
	s_cselect_b64 s[48:49], -1, 0
	;; [unrolled: 3-line block ×3, first 2 shown]
	s_add_i32 s8, s52, 12
	s_cmp_lt_i32 s8, s17
	v_writelane_b32 v103, s52, 19
	s_cselect_b64 s[52:53], -1, 0
	s_ashr_i32 s9, s19, 31
	s_mov_b32 s8, s19
	s_lshl_b64 s[54:55], s[8:9], 2
	s_add_u32 s0, s0, s4
	s_addc_u32 s1, s1, s5
	v_lshrrev_b32_e32 v2, 1, v16
	s_add_u32 s0, s0, s2
	v_mul_u32_u24_e32 v1, 0x108, v87
	v_and_b32_e32 v2, 0x1f8, v2
	s_addc_u32 s1, s1, s3
	v_lshl_add_u32 v90, v16, 2, v0
	v_add3_u32 v91, v0, v1, v2
	v_lshlrev_b32_e32 v0, 2, v88
	s_add_u32 s0, s36, s0
	v_add_co_u32_e32 v18, vcc, s0, v0
	s_mul_i32 s0, s19, 3
	v_writelane_b32 v103, s0, 20
	s_mul_i32 s0, s19, 5
	s_addc_u32 s1, s37, s1
	v_writelane_b32 v103, s0, 21
	s_mul_i32 s0, s19, 6
	v_mov_b32_e32 v1, s1
	v_writelane_b32 v103, s0, 22
	s_mul_i32 s0, s19, 7
	v_mov_b32_e32 v12, 0
	v_mov_b32_e32 v92, 0
	v_addc_co_u32_e32 v19, vcc, 0, v1, vcc
	s_lshl_b32 s36, s19, 1
	s_lshl_b32 s66, s19, 2
	v_writelane_b32 v103, s0, 23
	s_lshl_b32 s70, s19, 3
	s_mul_i32 s71, s19, 9
	s_mul_i32 s72, s19, 10
	;; [unrolled: 1-line block ×7, first 2 shown]
	s_lshl_b32 s78, s19, 4
	s_mul_i32 s79, s19, 17
	v_mov_b32_e32 v93, s10
	s_mul_i32 s80, s19, 18
	v_mov_b32_e32 v94, s55
	v_mov_b32_e32 v13, v12
	;; [unrolled: 1-line block ×16, first 2 shown]
	s_mul_i32 s55, s19, 19
	s_mul_i32 s81, s19, 20
	s_mul_i32 s82, s19, 21
	s_mul_i32 s83, s19, 22
	s_mul_i32 s84, s19, 23
	s_mul_i32 s85, s19, 24
	s_mul_i32 s86, s19, 25
	s_mul_i32 s87, s19, 26
	s_mul_i32 s88, s19, 27
	s_mul_i32 s89, s19, 28
	s_mul_i32 s90, s19, 29
	s_mul_i32 s91, s19, 30
	s_mul_i32 s92, s19, 31
	s_lshl_b32 s93, s19, 5
	s_mul_i32 s94, s19, 33
	s_mul_i32 s95, s19, 34
	;; [unrolled: 1-line block ×31, first 2 shown]
	s_mov_b64 s[18:19], 0
	s_branch .LBB91_44
.LBB91_42:                              ;   in Loop: Header=BB91_44 Depth=1
	v_mul_lo_u32 v95, v95, s25
	s_mul_i32 vcc_lo, s20, 12
	v_add_u32_e32 v95, vcc_lo, v95
	v_add_u32_e32 v96, v95, v88
	v_ashrrev_i32_e32 v97, 31, v96
	v_lshlrev_b64 v[96:97], 2, v[96:97]
	v_mov_b32_e32 v95, s33
	v_add_co_u32_e32 v96, vcc, s31, v96
	v_addc_co_u32_e32 v97, vcc, v95, v97, vcc
	global_load_dword v95, v[96:97], off
.LBB91_43:                              ;   in Loop: Header=BB91_44 Depth=1
	v_add_u32_e32 v96, 0xc00, v90
	s_waitcnt vmcnt(0)
	ds_write2_b32 v96, v95, v92 offset0:40 offset1:106
	ds_write2_b32 v96, v92, v92 offset0:172 offset1:238
	ds_read2_b64 v[96:99], v91 offset0:8 offset1:12
	v_add_co_u32_e32 v18, vcc, 0x600, v18
	v_add_u32_e32 v88, 0x180, v88
	v_addc_co_u32_e32 v19, vcc, 0, v19, vcc
	s_waitcnt lgkmcnt(0)
	v_mfma_f32_16x16x4f32 v[8:11], v48, v96, v[8:11]
	v_cmp_le_i32_e32 vcc, s16, v88
	s_or_b64 s[18:19], vcc, s[18:19]
	v_mfma_f32_16x16x4f32 v[4:7], v60, v96, v[4:7]
	v_mfma_f32_16x16x4f32 v[0:3], v66, v96, v[0:3]
	;; [unrolled: 1-line block ×14, first 2 shown]
	ds_read2_b64 v[64:67], v91 offset0:16 offset1:20
	v_mfma_f32_16x16x4f32 v[12:15], v81, v99, v[12:15]
	s_waitcnt lgkmcnt(0)
	v_mfma_f32_16x16x4f32 v[8:11], v36, v64, v[8:11]
	v_mfma_f32_16x16x4f32 v[4:7], v52, v64, v[4:7]
	;; [unrolled: 1-line block ×14, first 2 shown]
	ds_read2_b64 v[46:49], v91 offset0:24 offset1:28
	v_mfma_f32_16x16x4f32 v[0:3], v59, v67, v[0:3]
	v_mfma_f32_16x16x4f32 v[12:15], v77, v67, v[12:15]
	s_waitcnt lgkmcnt(0)
	v_mfma_f32_16x16x4f32 v[8:11], v28, v46, v[8:11]
	v_mfma_f32_16x16x4f32 v[4:7], v40, v46, v[4:7]
	;; [unrolled: 1-line block ×14, first 2 shown]
	ds_read2_b64 v[32:35], v91 offset0:32 offset1:36
	v_mfma_f32_16x16x4f32 v[0:3], v51, v49, v[0:3]
	v_mfma_f32_16x16x4f32 v[12:15], v73, v49, v[12:15]
	s_waitcnt lgkmcnt(0)
	v_mfma_f32_16x16x4f32 v[8:11], v22, v32, v[8:11]
	v_mfma_f32_16x16x4f32 v[4:7], v30, v32, v[4:7]
	v_mfma_f32_16x16x4f32 v[0:3], v44, v32, v[0:3]
	v_mfma_f32_16x16x4f32 v[12:15], v70, v32, v[12:15]
	v_mfma_f32_16x16x4f32 v[8:11], v23, v33, v[8:11]
	v_mfma_f32_16x16x4f32 v[4:7], v31, v33, v[4:7]
	v_mfma_f32_16x16x4f32 v[0:3], v45, v33, v[0:3]
	v_mfma_f32_16x16x4f32 v[12:15], v71, v33, v[12:15]
	v_mfma_f32_16x16x4f32 v[8:11], v20, v34, v[8:11]
	v_mfma_f32_16x16x4f32 v[4:7], v26, v34, v[4:7]
	v_mfma_f32_16x16x4f32 v[0:3], v38, v34, v[0:3]
	v_mfma_f32_16x16x4f32 v[12:15], v68, v34, v[12:15]
	v_mfma_f32_16x16x4f32 v[8:11], v21, v35, v[8:11]
	v_mfma_f32_16x16x4f32 v[4:7], v27, v35, v[4:7]
	v_mfma_f32_16x16x4f32 v[0:3], v39, v35, v[0:3]
	v_mfma_f32_16x16x4f32 v[12:15], v69, v35, v[12:15]
	s_andn2_b64 exec, exec, s[18:19]
	s_cbranch_execz .LBB91_95
.LBB91_44:                              ; =>This Inner Loop Header: Depth=1
	v_add_co_u32_e32 v20, vcc, s54, v18
	v_addc_co_u32_e32 v21, vcc, v19, v94, vcc
	global_load_dword v32, v[18:19], off
	global_load_dword v33, v[20:21], off
	v_add_u32_e32 v20, s36, v88
	v_ashrrev_i32_e32 v21, 31, v20
	v_lshlrev_b64 v[20:21], 2, v[20:21]
	v_add_co_u32_e32 v20, vcc, s24, v20
	v_addc_co_u32_e32 v21, vcc, v93, v21, vcc
	v_readlane_b32 vcc_lo, v103, 20
	v_add_u32_e32 v22, vcc_lo, v88
	v_ashrrev_i32_e32 v23, 31, v22
	v_lshlrev_b64 v[22:23], 2, v[22:23]
	v_add_u32_e32 v24, s66, v88
	v_add_co_u32_e32 v22, vcc, s24, v22
	v_ashrrev_i32_e32 v25, 31, v24
	v_addc_co_u32_e32 v23, vcc, v93, v23, vcc
	v_lshlrev_b64 v[24:25], 2, v[24:25]
	v_add_co_u32_e32 v24, vcc, s24, v24
	v_addc_co_u32_e32 v25, vcc, v93, v25, vcc
	v_readlane_b32 vcc_lo, v103, 21
	v_add_u32_e32 v26, vcc_lo, v88
	v_ashrrev_i32_e32 v27, 31, v26
	v_lshlrev_b64 v[26:27], 2, v[26:27]
	v_add_co_u32_e32 v26, vcc, s24, v26
	v_addc_co_u32_e32 v27, vcc, v93, v27, vcc
	v_readlane_b32 vcc_lo, v103, 22
	v_add_u32_e32 v28, vcc_lo, v88
	v_ashrrev_i32_e32 v29, 31, v28
	;; [unrolled: 6-line block ×3, first 2 shown]
	v_lshlrev_b64 v[30:31], 2, v[30:31]
	v_add_co_u32_e32 v30, vcc, s24, v30
	v_addc_co_u32_e32 v31, vcc, v93, v31, vcc
	global_load_dword v34, v[20:21], off
	global_load_dword v35, v[22:23], off
	;; [unrolled: 1-line block ×3, first 2 shown]
	s_nop 0
	global_load_dword v26, v[26:27], off
	s_nop 0
	global_load_dword v27, v[28:29], off
	;; [unrolled: 2-line block ×3, first 2 shown]
	v_add_u32_e32 v20, s70, v88
	v_ashrrev_i32_e32 v21, 31, v20
	v_add_u32_e32 v22, s71, v88
	v_lshlrev_b64 v[20:21], 2, v[20:21]
	v_ashrrev_i32_e32 v23, 31, v22
	v_add_co_u32_e32 v20, vcc, s24, v20
	v_add_u32_e32 v24, s72, v88
	v_lshlrev_b64 v[22:23], 2, v[22:23]
	v_addc_co_u32_e32 v21, vcc, v93, v21, vcc
	v_ashrrev_i32_e32 v25, 31, v24
	v_add_co_u32_e32 v22, vcc, s24, v22
	v_lshlrev_b64 v[24:25], 2, v[24:25]
	v_addc_co_u32_e32 v23, vcc, v93, v23, vcc
	global_load_dword v20, v[20:21], off
	s_nop 0
	global_load_dword v21, v[22:23], off
	v_add_u32_e32 v22, s73, v88
	v_add_co_u32_e32 v24, vcc, s24, v24
	v_ashrrev_i32_e32 v23, 31, v22
	v_addc_co_u32_e32 v25, vcc, v93, v25, vcc
	v_lshlrev_b64 v[22:23], 2, v[22:23]
	v_add_u32_e32 v40, s84, v88
	v_ashrrev_i32_e32 v41, 31, v40
	v_lshlrev_b64 v[40:41], 2, v[40:41]
	v_add_u32_e32 v42, s85, v88
	v_ashrrev_i32_e32 v43, 31, v42
	v_lshlrev_b64 v[42:43], 2, v[42:43]
	v_add_u32_e32 v44, s86, v88
	v_ashrrev_i32_e32 v45, 31, v44
	v_lshlrev_b64 v[44:45], 2, v[44:45]
	v_add_u32_e32 v46, s91, v88
	v_ashrrev_i32_e32 v47, 31, v46
	v_lshlrev_b64 v[46:47], 2, v[46:47]
	v_add_u32_e32 v60, s60, v88
	v_ashrrev_i32_e32 v61, 31, v60
	v_lshlrev_b64 v[60:61], 2, v[60:61]
	s_waitcnt vmcnt(9)
	ds_write_b32 v90, v32 offset:64
	s_waitcnt vmcnt(8)
	ds_write_b32 v90, v33 offset:328
	s_waitcnt vmcnt(7)
	ds_write_b32 v90, v34 offset:592
	s_waitcnt vmcnt(6)
	ds_write_b32 v90, v35 offset:856
	s_waitcnt vmcnt(5)
	ds_write_b32 v90, v36 offset:1120
	s_waitcnt vmcnt(4)
	ds_write_b32 v90, v26 offset:1384
	s_waitcnt vmcnt(3)
	ds_write_b32 v90, v27 offset:1648
	s_waitcnt vmcnt(2)
	ds_write_b32 v90, v28 offset:1912
	v_add_co_u32_e32 v26, vcc, s24, v22
	v_add_u32_e32 v22, s74, v88
	v_addc_co_u32_e32 v27, vcc, v93, v23, vcc
	v_ashrrev_i32_e32 v23, 31, v22
	v_lshlrev_b64 v[22:23], 2, v[22:23]
	v_add_co_u32_e32 v28, vcc, s24, v22
	v_add_u32_e32 v22, s75, v88
	v_addc_co_u32_e32 v29, vcc, v93, v23, vcc
	v_ashrrev_i32_e32 v23, 31, v22
	v_lshlrev_b64 v[22:23], 2, v[22:23]
	;; [unrolled: 5-line block ×6, first 2 shown]
	v_add_co_u32_e32 v38, vcc, s24, v22
	v_addc_co_u32_e32 v39, vcc, v93, v23, vcc
	global_load_dword v22, v[24:25], off
	global_load_dword v23, v[26:27], off
	s_nop 0
	global_load_dword v24, v[28:29], off
	global_load_dword v25, v[30:31], off
	s_nop 0
	global_load_dword v28, v[32:33], off
	global_load_dword v29, v[34:35], off
	;; [unrolled: 1-line block ×4, first 2 shown]
	v_add_u32_e32 v30, s80, v88
	v_ashrrev_i32_e32 v31, 31, v30
	v_lshlrev_b64 v[30:31], 2, v[30:31]
	v_add_u32_e32 v32, s55, v88
	v_add_co_u32_e32 v30, vcc, s24, v30
	v_ashrrev_i32_e32 v33, 31, v32
	v_addc_co_u32_e32 v31, vcc, v93, v31, vcc
	v_lshlrev_b64 v[32:33], 2, v[32:33]
	v_add_u32_e32 v34, s81, v88
	v_add_co_u32_e32 v32, vcc, s24, v32
	v_ashrrev_i32_e32 v35, 31, v34
	v_addc_co_u32_e32 v33, vcc, v93, v33, vcc
	;; [unrolled: 5-line block ×4, first 2 shown]
	v_lshlrev_b64 v[38:39], 2, v[38:39]
	v_add_co_u32_e32 v38, vcc, s24, v38
	v_addc_co_u32_e32 v39, vcc, v93, v39, vcc
	v_add_co_u32_e32 v40, vcc, s24, v40
	v_addc_co_u32_e32 v41, vcc, v93, v41, vcc
	;; [unrolled: 2-line block ×4, first 2 shown]
	global_load_dword v30, v[30:31], off
	s_nop 0
	global_load_dword v31, v[32:33], off
	s_nop 0
	;; [unrolled: 2-line block ×6, first 2 shown]
	global_load_dword v40, v[42:43], off
	global_load_dword v41, v[44:45], off
	v_add_u32_e32 v32, s87, v88
	v_ashrrev_i32_e32 v33, 31, v32
	v_lshlrev_b64 v[32:33], 2, v[32:33]
	v_add_u32_e32 v36, s88, v88
	v_add_co_u32_e32 v32, vcc, s24, v32
	v_ashrrev_i32_e32 v37, 31, v36
	v_addc_co_u32_e32 v33, vcc, v93, v33, vcc
	v_lshlrev_b64 v[36:37], 2, v[36:37]
	v_add_u32_e32 v42, s89, v88
	v_add_co_u32_e32 v36, vcc, s24, v36
	v_ashrrev_i32_e32 v43, 31, v42
	v_addc_co_u32_e32 v37, vcc, v93, v37, vcc
	;; [unrolled: 5-line block ×3, first 2 shown]
	v_lshlrev_b64 v[44:45], 2, v[44:45]
	v_add_co_u32_e32 v44, vcc, s24, v44
	v_addc_co_u32_e32 v45, vcc, v93, v45, vcc
	v_add_co_u32_e32 v48, vcc, s24, v46
	v_add_u32_e32 v46, s92, v88
	v_addc_co_u32_e32 v49, vcc, v93, v47, vcc
	v_ashrrev_i32_e32 v47, 31, v46
	v_lshlrev_b64 v[46:47], 2, v[46:47]
	v_add_co_u32_e32 v54, vcc, s24, v46
	v_add_u32_e32 v46, s93, v88
	v_addc_co_u32_e32 v55, vcc, v93, v47, vcc
	v_ashrrev_i32_e32 v47, 31, v46
	v_lshlrev_b64 v[46:47], 2, v[46:47]
	;; [unrolled: 5-line block ×3, first 2 shown]
	v_add_co_u32_e32 v58, vcc, s24, v46
	v_addc_co_u32_e32 v59, vcc, v93, v47, vcc
	global_load_dword v46, v[32:33], off
	global_load_dword v47, v[36:37], off
	;; [unrolled: 1-line block ×6, first 2 shown]
	s_nop 0
	global_load_dword v44, v[56:57], off
	global_load_dword v45, v[58:59], off
	v_add_u32_e32 v32, s95, v88
	v_ashrrev_i32_e32 v33, 31, v32
	v_lshlrev_b64 v[32:33], 2, v[32:33]
	v_add_u32_e32 v36, s10, v88
	v_add_co_u32_e32 v32, vcc, s24, v32
	v_ashrrev_i32_e32 v37, 31, v36
	v_addc_co_u32_e32 v33, vcc, v93, v33, vcc
	v_lshlrev_b64 v[36:37], 2, v[36:37]
	v_add_u32_e32 v42, s11, v88
	v_add_co_u32_e32 v36, vcc, s24, v36
	v_ashrrev_i32_e32 v43, 31, v42
	v_addc_co_u32_e32 v37, vcc, v93, v37, vcc
	;; [unrolled: 5-line block ×6, first 2 shown]
	v_lshlrev_b64 v[58:59], 2, v[58:59]
	v_add_co_u32_e32 v58, vcc, s24, v58
	v_addc_co_u32_e32 v59, vcc, v93, v59, vcc
	v_add_co_u32_e32 v60, vcc, s24, v60
	v_addc_co_u32_e32 v61, vcc, v93, v61, vcc
	global_load_dword v62, v[32:33], off
	global_load_dword v63, v[36:37], off
	;; [unrolled: 1-line block ×8, first 2 shown]
	v_add_u32_e32 v32, s61, v88
	v_ashrrev_i32_e32 v33, 31, v32
	v_lshlrev_b64 v[32:33], 2, v[32:33]
	v_add_u32_e32 v36, s63, v88
	v_add_co_u32_e32 v32, vcc, s24, v32
	v_ashrrev_i32_e32 v37, 31, v36
	v_addc_co_u32_e32 v33, vcc, v93, v33, vcc
	v_lshlrev_b64 v[36:37], 2, v[36:37]
	v_add_u32_e32 v42, s64, v88
	v_add_co_u32_e32 v36, vcc, s24, v36
	v_ashrrev_i32_e32 v43, 31, v42
	v_addc_co_u32_e32 v37, vcc, v93, v37, vcc
	v_lshlrev_b64 v[42:43], 2, v[42:43]
	v_add_u32_e32 v48, s65, v88
	v_add_co_u32_e32 v42, vcc, s24, v42
	v_ashrrev_i32_e32 v49, 31, v48
	v_addc_co_u32_e32 v43, vcc, v93, v43, vcc
	v_lshlrev_b64 v[48:49], 2, v[48:49]
	v_add_u32_e32 v54, s17, v88
	v_add_co_u32_e32 v48, vcc, s24, v48
	v_ashrrev_i32_e32 v55, 31, v54
	v_addc_co_u32_e32 v49, vcc, v93, v49, vcc
	v_lshlrev_b64 v[54:55], 2, v[54:55]
	v_add_u32_e32 v56, s4, v88
	v_add_co_u32_e32 v54, vcc, s24, v54
	v_ashrrev_i32_e32 v57, 31, v56
	v_addc_co_u32_e32 v55, vcc, v93, v55, vcc
	v_lshlrev_b64 v[56:57], 2, v[56:57]
	v_add_u32_e32 v58, s5, v88
	v_add_co_u32_e32 v56, vcc, s24, v56
	v_ashrrev_i32_e32 v59, 31, v58
	v_addc_co_u32_e32 v57, vcc, v93, v57, vcc
	v_lshlrev_b64 v[58:59], 2, v[58:59]
	v_add_u32_e32 v60, s12, v88
	v_add_co_u32_e32 v58, vcc, s24, v58
	v_ashrrev_i32_e32 v61, 31, v60
	v_addc_co_u32_e32 v59, vcc, v93, v59, vcc
	v_lshlrev_b64 v[60:61], 2, v[60:61]
	v_add_co_u32_e32 v60, vcc, s24, v60
	v_addc_co_u32_e32 v61, vcc, v93, v61, vcc
	global_load_dword v70, v[32:33], off
	global_load_dword v71, v[36:37], off
	;; [unrolled: 1-line block ×8, first 2 shown]
	v_add_u32_e32 v32, s13, v88
	v_ashrrev_i32_e32 v33, 31, v32
	v_lshlrev_b64 v[32:33], 2, v[32:33]
	v_add_u32_e32 v36, s0, v88
	v_add_co_u32_e32 v32, vcc, s24, v32
	v_ashrrev_i32_e32 v37, 31, v36
	v_addc_co_u32_e32 v33, vcc, v93, v33, vcc
	v_lshlrev_b64 v[36:37], 2, v[36:37]
	v_add_u32_e32 v42, s1, v88
	v_add_co_u32_e32 v36, vcc, s24, v36
	v_ashrrev_i32_e32 v43, 31, v42
	v_addc_co_u32_e32 v37, vcc, v93, v37, vcc
	;; [unrolled: 5-line block ×7, first 2 shown]
	v_lshlrev_b64 v[60:61], 2, v[60:61]
	v_add_co_u32_e32 v60, vcc, s24, v60
	v_addc_co_u32_e32 v61, vcc, v93, v61, vcc
	global_load_dword v78, v[32:33], off
	global_load_dword v79, v[36:37], off
	;; [unrolled: 1-line block ×8, first 2 shown]
	v_add_u32_e32 v32, s9, v88
	v_ashrrev_i32_e32 v33, 31, v32
	v_lshlrev_b64 v[32:33], 2, v[32:33]
	v_add_u32_e32 v36, s8, v88
	v_add_co_u32_e32 v32, vcc, s24, v32
	v_ashrrev_i32_e32 v37, 31, v36
	v_addc_co_u32_e32 v33, vcc, v93, v33, vcc
	v_lshlrev_b64 v[36:37], 2, v[36:37]
	v_add_u32_e32 v42, s37, v88
	v_add_co_u32_e32 v36, vcc, s24, v36
	v_ashrrev_i32_e32 v43, 31, v42
	v_addc_co_u32_e32 v37, vcc, v93, v37, vcc
	;; [unrolled: 5-line block ×5, first 2 shown]
	v_lshlrev_b64 v[56:57], 2, v[56:57]
	v_add_co_u32_e32 v56, vcc, s24, v56
	v_addc_co_u32_e32 v57, vcc, v93, v57, vcc
	global_load_dword v97, v[32:33], off
	global_load_dword v98, v[36:37], off
	global_load_dword v99, v[42:43], off
	global_load_dword v100, v[48:49], off
	global_load_dword v101, v[54:55], off
	global_load_dword v102, v[56:57], off
	s_waitcnt vmcnt(55)
	ds_write_b32 v90, v20 offset:2176
	s_waitcnt vmcnt(54)
	ds_write_b32 v90, v21 offset:2440
	s_waitcnt vmcnt(53)
	ds_write_b32 v90, v22 offset:2704
	s_waitcnt vmcnt(52)
	ds_write_b32 v90, v23 offset:2968
	s_waitcnt vmcnt(51)
	ds_write_b32 v90, v24 offset:3232
	s_waitcnt vmcnt(50)
	ds_write_b32 v90, v25 offset:3496
	s_waitcnt vmcnt(49)
	ds_write_b32 v90, v28 offset:3760
	s_waitcnt vmcnt(48)
	ds_write_b32 v90, v29 offset:4024
	ds_read_b64 v[48:49], v91 offset:64
	ds_read_b64 v[42:43], v91 offset:96
	ds_read_b64 v[36:37], v91 offset:128
	ds_read_b64 v[32:33], v91 offset:160
	ds_read_b64 v[28:29], v91 offset:192
	ds_read_b64 v[24:25], v91 offset:224
	ds_read_b64 v[22:23], v91 offset:256
	ds_read_b64 v[20:21], v91 offset:288
	s_waitcnt vmcnt(47)
	ds_write_b32 v90, v26 offset:64
	s_waitcnt vmcnt(46)
	ds_write_b32 v90, v27 offset:328
	s_waitcnt vmcnt(45)
	ds_write_b32 v90, v30 offset:592
	s_waitcnt vmcnt(44)
	ds_write_b32 v90, v31 offset:856
	s_waitcnt vmcnt(43)
	ds_write_b32 v90, v34 offset:1120
	s_waitcnt vmcnt(42)
	ds_write_b32 v90, v35 offset:1384
	s_waitcnt vmcnt(41)
	ds_write_b32 v90, v38 offset:1648
	s_waitcnt vmcnt(40)
	ds_write_b32 v90, v39 offset:1912
	s_waitcnt vmcnt(39)
	ds_write_b32 v90, v40 offset:2176
	s_waitcnt vmcnt(38)
	ds_write_b32 v90, v41 offset:2440
	s_waitcnt vmcnt(37)
	ds_write_b32 v90, v46 offset:2704
	s_waitcnt vmcnt(36)
	ds_write_b32 v90, v47 offset:2968
	s_waitcnt vmcnt(35)
	ds_write_b32 v90, v50 offset:3232
	s_waitcnt vmcnt(34)
	ds_write_b32 v90, v51 offset:3496
	s_waitcnt vmcnt(33)
	ds_write_b32 v90, v52 offset:3760
	s_waitcnt vmcnt(32)
	ds_write_b32 v90, v53 offset:4024
	ds_read_b64 v[60:61], v91 offset:64
	ds_read_b64 v[56:57], v91 offset:96
	ds_read_b64 v[52:53], v91 offset:128
	ds_read_b64 v[46:47], v91 offset:160
	ds_read_b64 v[40:41], v91 offset:192
	ds_read_b64 v[34:35], v91 offset:224
	ds_read_b64 v[30:31], v91 offset:256
	ds_read_b64 v[26:27], v91 offset:288
	s_waitcnt vmcnt(31)
	ds_write_b32 v90, v44 offset:64
	s_waitcnt vmcnt(30)
	ds_write_b32 v90, v45 offset:328
	s_waitcnt vmcnt(29)
	ds_write_b32 v90, v62 offset:592
	s_waitcnt vmcnt(28)
	ds_write_b32 v90, v63 offset:856
	s_waitcnt vmcnt(27)
	ds_write_b32 v90, v64 offset:1120
	s_waitcnt vmcnt(26)
	ds_write_b32 v90, v65 offset:1384
	s_waitcnt vmcnt(25)
	ds_write_b32 v90, v66 offset:1648
	s_waitcnt vmcnt(24)
	ds_write_b32 v90, v67 offset:1912
	;; [unrolled: 40-line block ×3, first 2 shown]
	s_waitcnt vmcnt(7)
	ds_write_b32 v90, v95 offset:2176
	s_waitcnt vmcnt(6)
	ds_write_b32 v90, v96 offset:2440
	;; [unrolled: 2-line block ×8, first 2 shown]
	ds_read_b64 v[82:83], v91 offset:64
	ds_read_b64 v[80:81], v91 offset:96
	;; [unrolled: 1-line block ×8, first 2 shown]
	s_andn2_b64 vcc, exec, s[6:7]
	v_mov_b32_e32 v95, 0
	s_cbranch_vccnz .LBB91_48
; %bb.45:                               ;   in Loop: Header=BB91_44 Depth=1
	ds_read_b32 v95, v89
	s_waitcnt lgkmcnt(0)
	v_cmp_gt_i32_e32 vcc, 0, v95
	s_cbranch_vccnz .LBB91_47
; %bb.46:                               ;   in Loop: Header=BB91_44 Depth=1
	v_mul_lo_u32 v95, v95, s25
	v_add_u32_e32 v96, v88, v95
	v_ashrrev_i32_e32 v97, 31, v96
	v_lshlrev_b64 v[96:97], 2, v[96:97]
	v_mov_b32_e32 v95, s33
	v_add_co_u32_e32 v96, vcc, s31, v96
	v_addc_co_u32_e32 v97, vcc, v95, v97, vcc
	global_load_dword v95, v[96:97], off
	s_branch .LBB91_48
.LBB91_47:                              ;   in Loop: Header=BB91_44 Depth=1
	v_mov_b32_e32 v95, 0
.LBB91_48:                              ;   in Loop: Header=BB91_44 Depth=1
	s_waitcnt vmcnt(0)
	ds_write_b32 v90, v95 offset:64
	s_andn2_b64 vcc, exec, s[14:15]
	v_mov_b32_e32 v95, 0
	v_mov_b32_e32 v96, 0
	s_cbranch_vccnz .LBB91_51
; %bb.49:                               ;   in Loop: Header=BB91_44 Depth=1
	ds_read_b32 v96, v89 offset:4
	s_waitcnt lgkmcnt(0)
	v_cmp_gt_i32_e32 vcc, 0, v96
	s_cbranch_vccnz .LBB91_54
; %bb.50:                               ;   in Loop: Header=BB91_44 Depth=1
	v_mul_lo_u32 v96, v96, s25
	v_add_u32_e32 v96, s20, v96
	v_add_u32_e32 v96, v96, v88
	v_ashrrev_i32_e32 v97, 31, v96
	v_lshlrev_b64 v[96:97], 2, v[96:97]
	v_mov_b32_e32 v98, s33
	v_add_co_u32_e32 v96, vcc, s31, v96
	v_addc_co_u32_e32 v97, vcc, v98, v97, vcc
	global_load_dword v96, v[96:97], off
.LBB91_51:                              ;   in Loop: Header=BB91_44 Depth=1
	s_andn2_b64 vcc, exec, s[22:23]
	s_waitcnt vmcnt(0)
	ds_write_b32 v90, v96 offset:328
	s_cbranch_vccnz .LBB91_56
.LBB91_52:                              ;   in Loop: Header=BB91_44 Depth=1
	ds_read_b32 v95, v89 offset:8
	s_waitcnt lgkmcnt(0)
	v_cmp_gt_i32_e32 vcc, 0, v95
	s_cbranch_vccnz .LBB91_55
; %bb.53:                               ;   in Loop: Header=BB91_44 Depth=1
	v_mul_lo_u32 v95, v95, s25
	v_readlane_b32 vcc_lo, v103, 16
	v_add_u32_e32 v95, vcc_lo, v95
	v_add_u32_e32 v96, v95, v88
	v_ashrrev_i32_e32 v97, 31, v96
	v_lshlrev_b64 v[96:97], 2, v[96:97]
	v_mov_b32_e32 v95, s33
	v_add_co_u32_e32 v96, vcc, s31, v96
	v_addc_co_u32_e32 v97, vcc, v95, v97, vcc
	global_load_dword v95, v[96:97], off
	s_branch .LBB91_56
.LBB91_54:                              ;   in Loop: Header=BB91_44 Depth=1
	v_mov_b32_e32 v96, 0
	s_andn2_b64 vcc, exec, s[22:23]
	ds_write_b32 v90, v96 offset:328
	s_cbranch_vccz .LBB91_52
	s_branch .LBB91_56
.LBB91_55:                              ;   in Loop: Header=BB91_44 Depth=1
	v_mov_b32_e32 v95, 0
.LBB91_56:                              ;   in Loop: Header=BB91_44 Depth=1
	s_waitcnt vmcnt(0)
	ds_write_b32 v90, v95 offset:592
	s_andn2_b64 vcc, exec, s[28:29]
	v_mov_b32_e32 v95, 0
	v_mov_b32_e32 v96, 0
	s_cbranch_vccnz .LBB91_59
; %bb.57:                               ;   in Loop: Header=BB91_44 Depth=1
	ds_read_b32 v96, v89 offset:12
	s_waitcnt lgkmcnt(0)
	v_cmp_gt_i32_e32 vcc, 0, v96
	s_cbranch_vccnz .LBB91_62
; %bb.58:                               ;   in Loop: Header=BB91_44 Depth=1
	v_mul_lo_u32 v96, v96, s25
	s_mul_i32 vcc_lo, s20, 3
	v_add_u32_e32 v96, vcc_lo, v96
	v_add_u32_e32 v96, v96, v88
	v_ashrrev_i32_e32 v97, 31, v96
	v_lshlrev_b64 v[96:97], 2, v[96:97]
	v_mov_b32_e32 v98, s33
	v_add_co_u32_e32 v96, vcc, s31, v96
	v_addc_co_u32_e32 v97, vcc, v98, v97, vcc
	global_load_dword v96, v[96:97], off
.LBB91_59:                              ;   in Loop: Header=BB91_44 Depth=1
	s_andn2_b64 vcc, exec, s[34:35]
	s_waitcnt vmcnt(0)
	ds_write_b32 v90, v96 offset:856
	s_cbranch_vccnz .LBB91_64
.LBB91_60:                              ;   in Loop: Header=BB91_44 Depth=1
	ds_read_b32 v95, v89 offset:16
	s_waitcnt lgkmcnt(0)
	v_cmp_gt_i32_e32 vcc, 0, v95
	s_cbranch_vccnz .LBB91_63
; %bb.61:                               ;   in Loop: Header=BB91_44 Depth=1
	v_mul_lo_u32 v95, v95, s25
	v_readlane_b32 vcc_lo, v103, 17
	v_add_u32_e32 v95, vcc_lo, v95
	v_add_u32_e32 v96, v95, v88
	v_ashrrev_i32_e32 v97, 31, v96
	v_lshlrev_b64 v[96:97], 2, v[96:97]
	v_mov_b32_e32 v95, s33
	v_add_co_u32_e32 v96, vcc, s31, v96
	v_addc_co_u32_e32 v97, vcc, v95, v97, vcc
	global_load_dword v95, v[96:97], off
	s_branch .LBB91_64
.LBB91_62:                              ;   in Loop: Header=BB91_44 Depth=1
	v_mov_b32_e32 v96, 0
	s_andn2_b64 vcc, exec, s[34:35]
	ds_write_b32 v90, v96 offset:856
	s_cbranch_vccz .LBB91_60
	s_branch .LBB91_64
.LBB91_63:                              ;   in Loop: Header=BB91_44 Depth=1
	v_mov_b32_e32 v95, 0
.LBB91_64:                              ;   in Loop: Header=BB91_44 Depth=1
	s_waitcnt vmcnt(0)
	ds_write_b32 v90, v95 offset:1120
	s_andn2_b64 vcc, exec, s[38:39]
	v_mov_b32_e32 v95, 0
	v_mov_b32_e32 v96, 0
	s_cbranch_vccnz .LBB91_67
; %bb.65:                               ;   in Loop: Header=BB91_44 Depth=1
	ds_read_b32 v96, v89 offset:20
	s_waitcnt lgkmcnt(0)
	v_cmp_gt_i32_e32 vcc, 0, v96
	s_cbranch_vccnz .LBB91_70
; %bb.66:                               ;   in Loop: Header=BB91_44 Depth=1
	v_mul_lo_u32 v96, v96, s25
	s_mul_i32 vcc_lo, s20, 5
	v_add_u32_e32 v96, vcc_lo, v96
	v_add_u32_e32 v96, v96, v88
	v_ashrrev_i32_e32 v97, 31, v96
	v_lshlrev_b64 v[96:97], 2, v[96:97]
	v_mov_b32_e32 v98, s33
	v_add_co_u32_e32 v96, vcc, s31, v96
	v_addc_co_u32_e32 v97, vcc, v98, v97, vcc
	global_load_dword v96, v[96:97], off
.LBB91_67:                              ;   in Loop: Header=BB91_44 Depth=1
	s_andn2_b64 vcc, exec, s[40:41]
	s_waitcnt vmcnt(0)
	ds_write_b32 v90, v96 offset:1384
	s_cbranch_vccnz .LBB91_72
.LBB91_68:                              ;   in Loop: Header=BB91_44 Depth=1
	ds_read_b32 v95, v89 offset:24
	s_waitcnt lgkmcnt(0)
	v_cmp_gt_i32_e32 vcc, 0, v95
	s_cbranch_vccnz .LBB91_71
; %bb.69:                               ;   in Loop: Header=BB91_44 Depth=1
	v_mul_lo_u32 v95, v95, s25
	s_mul_i32 vcc_lo, s20, 6
	v_add_u32_e32 v95, vcc_lo, v95
	v_add_u32_e32 v96, v95, v88
	v_ashrrev_i32_e32 v97, 31, v96
	v_lshlrev_b64 v[96:97], 2, v[96:97]
	v_mov_b32_e32 v95, s33
	v_add_co_u32_e32 v96, vcc, s31, v96
	v_addc_co_u32_e32 v97, vcc, v95, v97, vcc
	global_load_dword v95, v[96:97], off
	s_branch .LBB91_72
.LBB91_70:                              ;   in Loop: Header=BB91_44 Depth=1
	v_mov_b32_e32 v96, 0
	s_andn2_b64 vcc, exec, s[40:41]
	ds_write_b32 v90, v96 offset:1384
	s_cbranch_vccz .LBB91_68
	s_branch .LBB91_72
.LBB91_71:                              ;   in Loop: Header=BB91_44 Depth=1
	v_mov_b32_e32 v95, 0
.LBB91_72:                              ;   in Loop: Header=BB91_44 Depth=1
	s_waitcnt vmcnt(0)
	ds_write_b32 v90, v95 offset:1648
	s_andn2_b64 vcc, exec, s[42:43]
	v_mov_b32_e32 v95, 0
	v_mov_b32_e32 v96, 0
	s_cbranch_vccnz .LBB91_75
; %bb.73:                               ;   in Loop: Header=BB91_44 Depth=1
	ds_read_b32 v96, v89 offset:28
	s_waitcnt lgkmcnt(0)
	v_cmp_gt_i32_e32 vcc, 0, v96
	s_cbranch_vccnz .LBB91_78
; %bb.74:                               ;   in Loop: Header=BB91_44 Depth=1
	v_mul_lo_u32 v96, v96, s25
	s_mul_i32 vcc_lo, s20, 7
	v_add_u32_e32 v96, vcc_lo, v96
	v_add_u32_e32 v96, v96, v88
	v_ashrrev_i32_e32 v97, 31, v96
	v_lshlrev_b64 v[96:97], 2, v[96:97]
	v_mov_b32_e32 v98, s33
	v_add_co_u32_e32 v96, vcc, s31, v96
	v_addc_co_u32_e32 v97, vcc, v98, v97, vcc
	global_load_dword v96, v[96:97], off
.LBB91_75:                              ;   in Loop: Header=BB91_44 Depth=1
	s_andn2_b64 vcc, exec, s[44:45]
	s_waitcnt vmcnt(0)
	ds_write_b32 v90, v96 offset:1912
	s_cbranch_vccnz .LBB91_80
.LBB91_76:                              ;   in Loop: Header=BB91_44 Depth=1
	ds_read_b32 v95, v89 offset:32
	s_waitcnt lgkmcnt(0)
	v_cmp_gt_i32_e32 vcc, 0, v95
	s_cbranch_vccnz .LBB91_79
; %bb.77:                               ;   in Loop: Header=BB91_44 Depth=1
	v_mul_lo_u32 v95, v95, s25
	v_readlane_b32 vcc_lo, v103, 18
	v_add_u32_e32 v95, vcc_lo, v95
	v_add_u32_e32 v96, v95, v88
	v_ashrrev_i32_e32 v97, 31, v96
	v_lshlrev_b64 v[96:97], 2, v[96:97]
	v_mov_b32_e32 v95, s33
	v_add_co_u32_e32 v96, vcc, s31, v96
	v_addc_co_u32_e32 v97, vcc, v95, v97, vcc
	global_load_dword v95, v[96:97], off
	s_branch .LBB91_80
.LBB91_78:                              ;   in Loop: Header=BB91_44 Depth=1
	v_mov_b32_e32 v96, 0
	s_andn2_b64 vcc, exec, s[44:45]
	ds_write_b32 v90, v96 offset:1912
	s_cbranch_vccz .LBB91_76
	s_branch .LBB91_80
.LBB91_79:                              ;   in Loop: Header=BB91_44 Depth=1
	v_mov_b32_e32 v95, 0
.LBB91_80:                              ;   in Loop: Header=BB91_44 Depth=1
	s_waitcnt vmcnt(0)
	ds_write_b32 v90, v95 offset:2176
	s_andn2_b64 vcc, exec, s[46:47]
	v_mov_b32_e32 v95, 0
	v_mov_b32_e32 v96, 0
	s_cbranch_vccnz .LBB91_83
; %bb.81:                               ;   in Loop: Header=BB91_44 Depth=1
	ds_read_b32 v96, v89 offset:36
	s_waitcnt lgkmcnt(0)
	v_cmp_gt_i32_e32 vcc, 0, v96
	s_cbranch_vccnz .LBB91_86
; %bb.82:                               ;   in Loop: Header=BB91_44 Depth=1
	v_mul_lo_u32 v96, v96, s25
	s_mul_i32 vcc_lo, s20, 9
	v_add_u32_e32 v96, vcc_lo, v96
	v_add_u32_e32 v96, v96, v88
	v_ashrrev_i32_e32 v97, 31, v96
	v_lshlrev_b64 v[96:97], 2, v[96:97]
	v_mov_b32_e32 v98, s33
	v_add_co_u32_e32 v96, vcc, s31, v96
	v_addc_co_u32_e32 v97, vcc, v98, v97, vcc
	global_load_dword v96, v[96:97], off
.LBB91_83:                              ;   in Loop: Header=BB91_44 Depth=1
	s_andn2_b64 vcc, exec, s[48:49]
	s_waitcnt vmcnt(0)
	ds_write_b32 v90, v96 offset:2440
	s_cbranch_vccnz .LBB91_88
.LBB91_84:                              ;   in Loop: Header=BB91_44 Depth=1
	ds_read_b32 v95, v89 offset:40
	s_waitcnt lgkmcnt(0)
	v_cmp_gt_i32_e32 vcc, 0, v95
	s_cbranch_vccnz .LBB91_87
; %bb.85:                               ;   in Loop: Header=BB91_44 Depth=1
	v_mul_lo_u32 v95, v95, s25
	s_mul_i32 vcc_lo, s20, 10
	v_add_u32_e32 v95, vcc_lo, v95
	v_add_u32_e32 v96, v95, v88
	v_ashrrev_i32_e32 v97, 31, v96
	v_lshlrev_b64 v[96:97], 2, v[96:97]
	v_mov_b32_e32 v95, s33
	v_add_co_u32_e32 v96, vcc, s31, v96
	v_addc_co_u32_e32 v97, vcc, v95, v97, vcc
	global_load_dword v95, v[96:97], off
	s_branch .LBB91_88
.LBB91_86:                              ;   in Loop: Header=BB91_44 Depth=1
	v_mov_b32_e32 v96, 0
	s_andn2_b64 vcc, exec, s[48:49]
	ds_write_b32 v90, v96 offset:2440
	s_cbranch_vccz .LBB91_84
	s_branch .LBB91_88
.LBB91_87:                              ;   in Loop: Header=BB91_44 Depth=1
	v_mov_b32_e32 v95, 0
.LBB91_88:                              ;   in Loop: Header=BB91_44 Depth=1
	s_waitcnt vmcnt(0)
	ds_write_b32 v90, v95 offset:2704
	s_andn2_b64 vcc, exec, s[50:51]
	v_mov_b32_e32 v95, 0
	v_mov_b32_e32 v96, 0
	s_cbranch_vccnz .LBB91_91
; %bb.89:                               ;   in Loop: Header=BB91_44 Depth=1
	ds_read_b32 v96, v89 offset:44
	s_waitcnt lgkmcnt(0)
	v_cmp_gt_i32_e32 vcc, 0, v96
	s_cbranch_vccnz .LBB91_94
; %bb.90:                               ;   in Loop: Header=BB91_44 Depth=1
	v_mul_lo_u32 v96, v96, s25
	s_mul_i32 vcc_lo, s20, 11
	v_add_u32_e32 v96, vcc_lo, v96
	v_add_u32_e32 v96, v96, v88
	v_ashrrev_i32_e32 v97, 31, v96
	v_lshlrev_b64 v[96:97], 2, v[96:97]
	v_mov_b32_e32 v98, s33
	v_add_co_u32_e32 v96, vcc, s31, v96
	v_addc_co_u32_e32 v97, vcc, v98, v97, vcc
	global_load_dword v96, v[96:97], off
.LBB91_91:                              ;   in Loop: Header=BB91_44 Depth=1
	s_andn2_b64 vcc, exec, s[52:53]
	s_waitcnt vmcnt(0)
	ds_write_b32 v90, v96 offset:2968
	s_cbranch_vccnz .LBB91_43
.LBB91_92:                              ;   in Loop: Header=BB91_44 Depth=1
	ds_read_b32 v95, v89 offset:48
	s_waitcnt lgkmcnt(0)
	v_cmp_gt_i32_e32 vcc, 0, v95
	s_cbranch_vccz .LBB91_42
; %bb.93:                               ;   in Loop: Header=BB91_44 Depth=1
	v_mov_b32_e32 v95, 0
	s_branch .LBB91_43
.LBB91_94:                              ;   in Loop: Header=BB91_44 Depth=1
	v_mov_b32_e32 v96, 0
	s_andn2_b64 vcc, exec, s[52:53]
	ds_write_b32 v90, v96 offset:2968
	s_cbranch_vccnz .LBB91_43
	s_branch .LBB91_92
.LBB91_95:
	s_or_b64 exec, exec, s[18:19]
	v_readlane_b32 s42, v103, 8
	v_readlane_b32 s28, v103, 12
	;; [unrolled: 1-line block ×9, first 2 shown]
.LBB91_96:
	v_readlane_b32 s0, v103, 6
	v_readlane_b32 s1, v103, 7
	s_or_b64 exec, exec, s[0:1]
	v_mul_u32_u24_e32 v18, 0x608, v87
	s_movk_i32 s1, 0x100
	v_lshlrev_b32_e32 v19, 2, v86
	v_add3_u32 v18, s1, v18, v19
	v_and_b32_e32 v20, 0x3f0, v16
	v_add_u32_e32 v21, v18, v20
	s_barrier
	v_add_u32_e32 v19, 64, v18
	ds_write2_b32 v21, v8, v9 offset0:16 offset1:17
	v_or_b32_e32 v9, 12, v16
	v_add_u32_e32 v8, v19, v20
	v_and_b32_e32 v9, 0x3fc, v9
	ds_write_b32 v8, v10 offset:8
	v_add_u32_e32 v10, v18, v9
	ds_write_b32 v10, v11 offset:64
	ds_write2_b32 v8, v4, v5 offset0:16 offset1:17
	ds_write_b32 v8, v6 offset:72
	v_add_u32_e32 v4, v19, v9
	v_mov_b32_e32 v6, 0x100
	s_movk_i32 s0, 0x608
	ds_write_b32 v4, v7 offset:64
	ds_write2_b32 v8, v0, v1 offset0:32 offset1:33
	ds_write_b32 v8, v2 offset:136
	ds_write_b32 v4, v3 offset:128
	ds_write2_b32 v8, v12, v13 offset0:48 offset1:49
	ds_write_b32 v8, v14 offset:200
	ds_write_b32 v4, v15 offset:192
	v_lshl_add_u32 v7, v16, 2, v6
	v_mad_u32_u24 v2, v17, s0, v7
	s_waitcnt lgkmcnt(0)
	s_barrier
	ds_read2_b32 v[4:5], v2 offset0:16 offset1:80
	ds_read2_b32 v[0:1], v2 offset0:144 offset1:208
	v_add_u32_e32 v2, 64, v2
	ds_read2st64_b32 v[2:3], v2 offset0:4 offset1:5
	v_cmp_gt_u32_e32 vcc, 13, v17
	v_mov_b32_e32 v9, -1
	s_and_saveexec_b64 s[4:5], vcc
	s_cbranch_execz .LBB91_98
; %bb.97:
	v_lshl_add_u32 v6, v17, 2, v6
	ds_read_b32 v9, v6
.LBB91_98:
	s_or_b64 exec, exec, s[4:5]
	s_mul_hi_i32 s1, s30, s8
	s_mul_i32 s0, s30, s8
	s_lshl_b64 s[0:1], s[0:1], 2
	v_readlane_b32 s4, v103, 4
	s_mul_hi_i32 s3, s52, s21
	s_mul_i32 s2, s52, s21
	v_readlane_b32 s5, v103, 5
	s_add_u32 s4, s4, s0
	s_addc_u32 s5, s5, s1
	s_lshl_b64 s[0:1], s[2:3], 2
	s_add_u32 s2, s4, s0
	s_waitcnt lgkmcnt(0)
	v_cmp_lt_i32_e32 vcc, -1, v9
	v_mul_u32_u24_e32 v8, 0x608, v17
	v_add_u32_e32 v6, s6, v16
	s_addc_u32 s3, s5, s1
	s_and_b64 s[4:5], vcc, s[42:43]
	s_and_saveexec_b64 s[0:1], s[4:5]
	s_cbranch_execz .LBB91_100
; %bb.99:
	v_add_f32_e32 v4, 0, v4
	v_add_f32_e32 v4, v4, v5
	v_add_f32_e32 v0, v4, v0
	v_add_f32_e32 v0, v0, v1
	v_add_f32_e32 v0, v0, v2
	v_add_f32_e32 v2, v0, v3
	v_mul_lo_u32 v0, v9, s26
	v_mul_lo_u32 v1, v17, s21
	v_add3_u32 v0, v6, v1, v0
	v_mov_b32_e32 v1, 0
	v_lshlrev_b64 v[0:1], 2, v[0:1]
	v_mov_b32_e32 v3, s3
	v_add_co_u32_e32 v0, vcc, s2, v0
	v_addc_co_u32_e32 v1, vcc, v3, v1, vcc
	global_store_dword v[0:1], v2, off
.LBB91_100:
	s_or_b64 exec, exec, s[0:1]
	v_add_u32_e32 v7, v8, v7
	v_add_u32_e32 v0, 0x70, v7
	ds_read2st64_b32 v[4:5], v0 offset0:36 offset1:37
	ds_read2st64_b32 v[2:3], v0 offset0:38 offset1:39
	;; [unrolled: 1-line block ×3, first 2 shown]
	v_cmp_gt_u32_e32 vcc, 7, v17
	v_mov_b32_e32 v8, -1
	s_and_saveexec_b64 s[0:1], vcc
	s_cbranch_execz .LBB91_102
; %bb.101:
	v_mov_b32_e32 v8, 0x100
	v_lshl_add_u32 v8, v17, 2, v8
	ds_read_b32 v8, v8 offset:24
.LBB91_102:
	s_or_b64 exec, exec, s[0:1]
	v_readlane_b32 s0, v103, 0
	s_waitcnt lgkmcnt(0)
	v_cmp_lt_i32_e32 vcc, -1, v8
	v_readlane_b32 s1, v103, 1
	s_and_b64 s[4:5], vcc, s[0:1]
	s_and_saveexec_b64 s[0:1], s[4:5]
	s_cbranch_execz .LBB91_104
; %bb.103:
	v_add_f32_e32 v4, 0, v4
	v_add_f32_e32 v4, v4, v5
	;; [unrolled: 1-line block ×6, first 2 shown]
	v_mul_lo_u32 v0, v8, s26
	v_mul_lo_u32 v1, v84, s21
	v_add3_u32 v0, v6, v1, v0
	v_mov_b32_e32 v1, 0
	v_lshlrev_b64 v[0:1], 2, v[0:1]
	v_mov_b32_e32 v3, s3
	v_add_co_u32_e32 v0, vcc, s2, v0
	v_addc_co_u32_e32 v1, vcc, v3, v1, vcc
	global_store_dword v[0:1], v2, off
.LBB91_104:
	s_or_b64 exec, exec, s[0:1]
	v_cmp_eq_u32_e32 vcc, 0, v17
	s_and_saveexec_b64 s[0:1], vcc
	s_cbranch_execz .LBB91_107
; %bb.105:
	v_mov_b32_e32 v0, 0x100
	ds_read_b32 v0, v0 offset:48
	v_readlane_b32 s4, v103, 2
	v_readlane_b32 s5, v103, 3
	s_waitcnt lgkmcnt(0)
	v_readfirstlane_b32 s0, v0
	s_cmp_gt_i32 s0, -1
	s_cselect_b64 s[0:1], -1, 0
	s_and_b64 s[0:1], s[0:1], s[4:5]
	s_and_b64 exec, exec, s[0:1]
	s_cbranch_execz .LBB91_107
; %bb.106:
	v_add_u32_e32 v4, 0xa0, v7
	ds_read2st64_b32 v[2:3], v4 offset0:72 offset1:73
	v_mul_lo_u32 v7, v0, s26
	ds_read2st64_b32 v[0:1], v4 offset0:74 offset1:75
	ds_read2st64_b32 v[4:5], v4 offset0:76 offset1:77
	v_mul_lo_u32 v8, v85, s21
	s_waitcnt lgkmcnt(2)
	v_add_f32_e32 v2, 0, v2
	v_add_f32_e32 v2, v2, v3
	s_waitcnt lgkmcnt(1)
	v_add_f32_e32 v0, v2, v0
	v_add_f32_e32 v0, v0, v1
	;; [unrolled: 3-line block ×3, first 2 shown]
	v_add3_u32 v0, v6, v8, v7
	v_mov_b32_e32 v1, 0
	v_lshlrev_b64 v[0:1], 2, v[0:1]
	v_mov_b32_e32 v3, s3
	v_add_co_u32_e32 v0, vcc, s2, v0
	v_addc_co_u32_e32 v1, vcc, v3, v1, vcc
	global_store_dword v[0:1], v2, off
.LBB91_107:
	s_endpgm
	.section	.rodata,"a",@progbits
	.p2align	6, 0x0
	.amdhsa_kernel _ZL9mul_mat_fIfLi64ELi13ELi6ELb1EEvPKT_PKfPKiPfiiiiiiiiiiiiiiii
		.amdhsa_group_segment_fixed_size 256
		.amdhsa_private_segment_fixed_size 0
		.amdhsa_kernarg_size 352
		.amdhsa_user_sgpr_count 6
		.amdhsa_user_sgpr_private_segment_buffer 1
		.amdhsa_user_sgpr_dispatch_ptr 0
		.amdhsa_user_sgpr_queue_ptr 0
		.amdhsa_user_sgpr_kernarg_segment_ptr 1
		.amdhsa_user_sgpr_dispatch_id 0
		.amdhsa_user_sgpr_flat_scratch_init 0
		.amdhsa_user_sgpr_kernarg_preload_length 0
		.amdhsa_user_sgpr_kernarg_preload_offset 0
		.amdhsa_user_sgpr_private_segment_size 0
		.amdhsa_uses_dynamic_stack 0
		.amdhsa_system_sgpr_private_segment_wavefront_offset 0
		.amdhsa_system_sgpr_workgroup_id_x 1
		.amdhsa_system_sgpr_workgroup_id_y 1
		.amdhsa_system_sgpr_workgroup_id_z 1
		.amdhsa_system_sgpr_workgroup_info 0
		.amdhsa_system_vgpr_workitem_id 2
		.amdhsa_next_free_vgpr 104
		.amdhsa_next_free_sgpr 96
		.amdhsa_accum_offset 104
		.amdhsa_reserve_vcc 1
		.amdhsa_reserve_flat_scratch 0
		.amdhsa_float_round_mode_32 0
		.amdhsa_float_round_mode_16_64 0
		.amdhsa_float_denorm_mode_32 3
		.amdhsa_float_denorm_mode_16_64 3
		.amdhsa_dx10_clamp 1
		.amdhsa_ieee_mode 1
		.amdhsa_fp16_overflow 0
		.amdhsa_tg_split 0
		.amdhsa_exception_fp_ieee_invalid_op 0
		.amdhsa_exception_fp_denorm_src 0
		.amdhsa_exception_fp_ieee_div_zero 0
		.amdhsa_exception_fp_ieee_overflow 0
		.amdhsa_exception_fp_ieee_underflow 0
		.amdhsa_exception_fp_ieee_inexact 0
		.amdhsa_exception_int_div_zero 0
	.end_amdhsa_kernel
	.section	.text._ZL9mul_mat_fIfLi64ELi13ELi6ELb1EEvPKT_PKfPKiPfiiiiiiiiiiiiiiii,"axG",@progbits,_ZL9mul_mat_fIfLi64ELi13ELi6ELb1EEvPKT_PKfPKiPfiiiiiiiiiiiiiiii,comdat
.Lfunc_end91:
	.size	_ZL9mul_mat_fIfLi64ELi13ELi6ELb1EEvPKT_PKfPKiPfiiiiiiiiiiiiiiii, .Lfunc_end91-_ZL9mul_mat_fIfLi64ELi13ELi6ELb1EEvPKT_PKfPKiPfiiiiiiiiiiiiiiii
                                        ; -- End function
	.section	.AMDGPU.csdata,"",@progbits
; Kernel info:
; codeLenInByte = 8784
; NumSgprs: 100
; NumVgprs: 104
; NumAgprs: 0
; TotalNumVgprs: 104
; ScratchSize: 0
; MemoryBound: 0
; FloatMode: 240
; IeeeMode: 1
; LDSByteSize: 256 bytes/workgroup (compile time only)
; SGPRBlocks: 12
; VGPRBlocks: 12
; NumSGPRsForWavesPerEU: 100
; NumVGPRsForWavesPerEU: 104
; AccumOffset: 104
; Occupancy: 4
; WaveLimiterHint : 0
; COMPUTE_PGM_RSRC2:SCRATCH_EN: 0
; COMPUTE_PGM_RSRC2:USER_SGPR: 6
; COMPUTE_PGM_RSRC2:TRAP_HANDLER: 0
; COMPUTE_PGM_RSRC2:TGID_X_EN: 1
; COMPUTE_PGM_RSRC2:TGID_Y_EN: 1
; COMPUTE_PGM_RSRC2:TGID_Z_EN: 1
; COMPUTE_PGM_RSRC2:TIDIG_COMP_CNT: 2
; COMPUTE_PGM_RSRC3_GFX90A:ACCUM_OFFSET: 25
; COMPUTE_PGM_RSRC3_GFX90A:TG_SPLIT: 0
	.section	.text._ZL9mul_mat_fIfLi64ELi13ELi6ELb0EEvPKT_PKfPKiPfiiiiiiiiiiiiiiii,"axG",@progbits,_ZL9mul_mat_fIfLi64ELi13ELi6ELb0EEvPKT_PKfPKiPfiiiiiiiiiiiiiiii,comdat
	.globl	_ZL9mul_mat_fIfLi64ELi13ELi6ELb0EEvPKT_PKfPKiPfiiiiiiiiiiiiiiii ; -- Begin function _ZL9mul_mat_fIfLi64ELi13ELi6ELb0EEvPKT_PKfPKiPfiiiiiiiiiiiiiiii
	.p2align	8
	.type	_ZL9mul_mat_fIfLi64ELi13ELi6ELb0EEvPKT_PKfPKiPfiiiiiiiiiiiiiiii,@function
_ZL9mul_mat_fIfLi64ELi13ELi6ELb0EEvPKT_PKfPKiPfiiiiiiiiiiiiiiii: ; @_ZL9mul_mat_fIfLi64ELi13ELi6ELb0EEvPKT_PKfPKiPfiiiiiiiiiiiiiiii
; %bb.0:
	s_load_dwordx8 s[12:19], s[4:5], 0x40
	s_load_dword s9, s[4:5], 0x20
	s_load_dwordx4 s[0:3], s[4:5], 0x2c
	v_bfe_u32 v25, v0, 10, 10
	v_lshlrev_b32_e32 v91, 6, v25
	v_and_b32_e32 v90, 0x3ff, v0
	s_waitcnt lgkmcnt(0)
	s_abs_i32 s27, s12
	s_abs_i32 s26, s16
	v_cvt_f32_u32_e32 v1, s27
	v_cvt_f32_u32_e32 v2, s26
	v_add_u32_e32 v93, v91, v90
	s_mov_b32 s22, 0
	v_rcp_iflag_f32_e32 v1, v1
	v_rcp_iflag_f32_e32 v2, v2
	s_ashr_i32 s28, s8, 31
	v_cmp_le_i32_e32 vcc, s9, v93
	v_mul_f32_e32 v1, 0x4f7ffffe, v1
	v_mul_f32_e32 v2, 0x4f7ffffe, v2
	v_cvt_u32_f32_e32 v1, v1
	v_cvt_u32_f32_e32 v2, v2
	v_and_b32_e32 v92, 15, v90
	v_readfirstlane_b32 s21, v1
	v_readfirstlane_b32 s20, v2
	s_and_saveexec_b64 s[10:11], vcc
	s_xor_b64 s[10:11], exec, s[10:11]
; %bb.1:
	v_and_b32_e32 v92, 15, v90
                                        ; implicit-def: $vgpr93
; %bb.2:
	s_or_saveexec_b64 s[24:25], s[10:11]
	s_load_dwordx2 s[10:11], s[4:5], 0x18
	s_lshl_b32 s3, s6, 6
	v_mov_b32_e32 v3, s22
	v_mov_b32_e32 v2, s22
	;; [unrolled: 1-line block ×16, first 2 shown]
	s_xor_b64 exec, exec, s[24:25]
	s_cbranch_execz .LBB92_6
; %bb.3:
	s_sub_i32 s6, 0, s27
	s_sub_i32 s22, 0, s26
	s_mul_i32 s6, s6, s21
	s_mul_i32 s22, s22, s20
	s_mul_hi_u32 s6, s21, s6
	s_mul_hi_u32 s22, s20, s22
	s_abs_i32 s29, s7
	s_add_i32 s6, s21, s6
	s_add_i32 s31, s20, s22
	s_load_dwordx4 s[20:23], s[4:5], 0x0
	s_mul_hi_u32 s4, s29, s6
	s_ashr_i32 s6, s7, 31
	s_ashr_i32 s12, s12, 31
	s_xor_b32 s6, s6, s12
	s_mul_i32 s12, s4, s27
	s_abs_i32 s30, s8
	s_sub_i32 s12, s29, s12
	s_mul_hi_u32 s5, s30, s31
	s_ashr_i32 s16, s16, 31
	s_add_i32 s29, s4, 1
	s_sub_i32 s31, s12, s27
	s_cmp_ge_u32 s12, s27
	s_cselect_b32 s4, s29, s4
	s_cselect_b32 s12, s31, s12
	s_add_i32 s29, s4, 1
	s_cmp_ge_u32 s12, s27
	s_cselect_b32 s4, s29, s4
	s_mul_i32 s12, s5, s26
	s_xor_b32 s4, s4, s6
	s_sub_i32 s12, s30, s12
	s_sub_i32 s6, s4, s6
	s_xor_b32 s4, s28, s16
	s_add_i32 s16, s5, 1
	s_sub_i32 s27, s12, s26
	s_cmp_ge_u32 s12, s26
	s_cselect_b32 s5, s16, s5
	s_cselect_b32 s12, s27, s12
	s_add_i32 s16, s5, 1
	s_cmp_ge_u32 s12, s26
	s_cselect_b32 s5, s16, s5
	s_xor_b32 s5, s5, s4
	s_sub_i32 s4, s5, s4
	s_mul_i32 s12, s6, s13
	s_mul_i32 s16, s3, s0
	s_mul_hi_i32 s5, s4, s17
	s_mul_i32 s4, s4, s17
	s_ashr_i32 s13, s12, 31
	s_ashr_i32 s17, s16, 31
	s_lshl_b64 s[30:31], s[4:5], 2
	s_lshl_b64 s[4:5], s[16:17], 2
	;; [unrolled: 1-line block ×3, first 2 shown]
	s_waitcnt lgkmcnt(0)
	s_add_u32 s6, s20, s12
	s_addc_u32 s12, s21, s13
	s_add_u32 s6, s6, s4
	s_mul_i32 s28, s7, s14
	s_addc_u32 s14, s12, s5
	s_add_u32 s4, s6, s30
	s_mul_hi_i32 s27, s18, s8
	s_mul_i32 s26, s18, s8
	s_addc_u32 s73, s14, s31
	s_ashr_i32 s29, s28, 31
	s_lshl_b64 s[12:13], s[26:27], 2
	s_lshl_b64 s[16:17], s[28:29], 2
	s_add_u32 s18, s22, s16
	s_addc_u32 s22, s23, s17
	s_add_u32 s5, s18, s12
	s_movk_i32 s16, 0x1080
	v_lshrrev_b32_e32 v2, 1, v90
	s_addc_u32 s74, s22, s13
	v_mad_u32_u24 v0, v25, s16, 0
	v_lshlrev_b32_e32 v16, 2, v90
	v_mul_u32_u24_e32 v1, 0x108, v92
	v_and_b32_e32 v2, 0x1f8, v2
	s_ashr_i32 s17, s0, 31
	s_mov_b32 s16, s0
	v_add_u32_e32 v94, v0, v16
	v_add3_u32 v95, v0, v1, v2
	s_ashr_i32 s21, s1, 31
	v_lshlrev_b32_e32 v0, 8, v25
	s_lshl_b64 s[16:17], s[16:17], 2
	v_mov_b32_e32 v1, s31
	v_add_co_u32_e32 v2, vcc, s30, v0
	s_add_u32 s16, s6, s16
	v_addc_co_u32_e32 v1, vcc, 0, v1, vcc
	s_addc_u32 s17, s14, s17
	v_mov_b32_e32 v3, s17
	v_add_co_u32_e32 v18, vcc, s16, v2
	v_addc_co_u32_e32 v17, vcc, v3, v1, vcc
	v_mov_b32_e32 v3, s14
	v_add_co_u32_e32 v20, vcc, s6, v2
	s_mov_b32 s20, s1
	v_addc_co_u32_e32 v19, vcc, v3, v1, vcc
	v_mov_b32_e32 v1, s13
	v_add_co_u32_e32 v0, vcc, s12, v0
	s_lshl_b64 s[12:13], s[20:21], 2
	s_add_u32 s6, s18, s12
	v_addc_co_u32_e32 v1, vcc, 0, v1, vcc
	s_addc_u32 s12, s22, s13
	v_mov_b32_e32 v2, s12
	v_add_co_u32_e32 v22, vcc, s6, v0
	v_addc_co_u32_e32 v21, vcc, v2, v1, vcc
	v_mov_b32_e32 v96, 0
	v_mov_b32_e32 v2, s22
	v_add_co_u32_e32 v24, vcc, s18, v0
	v_addc_co_u32_e32 v23, vcc, v2, v1, vcc
	s_lshl_b32 s6, s1, 1
	s_mul_i32 s12, s1, 3
	s_lshl_b32 s13, s1, 2
	s_mul_i32 s14, s1, 5
	s_mul_i32 s16, s1, 6
	;; [unrolled: 1-line block ×3, first 2 shown]
	s_lshl_b32 s18, s1, 3
	s_mul_i32 s20, s1, 9
	s_mul_i32 s21, s1, 10
	;; [unrolled: 1-line block ×4, first 2 shown]
	s_lshl_b32 s26, s0, 1
	s_mul_i32 s27, s0, 3
	s_lshl_b32 s28, s0, 2
	s_mul_i32 s29, s0, 5
	s_mul_i32 s30, s0, 6
	;; [unrolled: 1-line block ×3, first 2 shown]
	s_lshl_b32 s33, s0, 3
	s_mul_i32 s34, s0, 9
	s_mul_i32 s35, s0, 10
	;; [unrolled: 1-line block ×7, first 2 shown]
	s_lshl_b32 s41, s0, 4
	s_mul_i32 s42, s0, 17
	s_mul_i32 s43, s0, 18
	;; [unrolled: 1-line block ×15, first 2 shown]
	s_lshl_b32 s57, s0, 5
	s_mul_i32 s58, s0, 33
	s_mul_i32 s59, s0, 34
	;; [unrolled: 1-line block ×15, first 2 shown]
	v_mov_b32_e32 v97, s73
	s_mul_i32 s73, s0, 48
	v_mov_b32_e32 v98, s74
	s_mul_i32 s74, s0, 49
	v_mov_b32_e32 v4, 0
	v_mov_b32_e32 v5, v96
	;; [unrolled: 1-line block ×16, first 2 shown]
	s_mul_i32 s75, s0, 50
	s_mul_i32 s76, s0, 51
	;; [unrolled: 1-line block ×14, first 2 shown]
	s_movk_i32 s89, 0x600
	s_mov_b64 s[0:1], 0
.LBB92_4:                               ; =>This Inner Loop Header: Depth=1
	v_add_co_u32_e32 v26, vcc, v20, v16
	v_addc_co_u32_e32 v27, vcc, 0, v19, vcc
	global_load_dword v26, v[26:27], off
	v_add_u32_e32 v42, s41, v93
	v_ashrrev_i32_e32 v43, 31, v42
	v_lshlrev_b64 v[42:43], 2, v[42:43]
	v_add_u32_e32 v58, s57, v93
	v_ashrrev_i32_e32 v59, 31, v58
	v_lshlrev_b64 v[58:59], 2, v[58:59]
	;; [unrolled: 3-line block ×3, first 2 shown]
	s_waitcnt vmcnt(0)
	ds_write_b32 v94, v26
	v_add_co_u32_e32 v26, vcc, v18, v16
	v_addc_co_u32_e32 v27, vcc, 0, v17, vcc
	global_load_dword v26, v[26:27], off
	s_waitcnt vmcnt(0)
	ds_write_b32 v94, v26 offset:264
	v_add_u32_e32 v26, s26, v93
	v_ashrrev_i32_e32 v27, 31, v26
	v_lshlrev_b64 v[26:27], 2, v[26:27]
	v_add_co_u32_e32 v26, vcc, s4, v26
	v_addc_co_u32_e32 v27, vcc, v97, v27, vcc
	global_load_dword v26, v[26:27], off
	s_waitcnt vmcnt(0)
	ds_write_b32 v94, v26 offset:528
	v_add_u32_e32 v26, s27, v93
	v_ashrrev_i32_e32 v27, 31, v26
	v_lshlrev_b64 v[26:27], 2, v[26:27]
	;; [unrolled: 8-line block ×14, first 2 shown]
	v_add_co_u32_e32 v26, vcc, s4, v26
	v_addc_co_u32_e32 v27, vcc, v97, v27, vcc
	global_load_dword v26, v[26:27], off
	v_add_co_u32_e32 v42, vcc, s4, v42
	v_addc_co_u32_e32 v43, vcc, v97, v43, vcc
	s_waitcnt vmcnt(0)
	ds_write_b32 v94, v26 offset:3960
	ds_read_b64 v[40:41], v95
	ds_read_b64 v[38:39], v95 offset:32
	ds_read_b64 v[36:37], v95 offset:64
	ds_read_b64 v[34:35], v95 offset:96
	ds_read_b64 v[32:33], v95 offset:128
	ds_read_b64 v[30:31], v95 offset:160
	ds_read_b64 v[28:29], v95 offset:192
	ds_read_b64 v[26:27], v95 offset:224
	global_load_dword v42, v[42:43], off
	s_waitcnt vmcnt(0)
	ds_write_b32 v94, v42
	v_add_u32_e32 v42, s42, v93
	v_ashrrev_i32_e32 v43, 31, v42
	v_lshlrev_b64 v[42:43], 2, v[42:43]
	v_add_co_u32_e32 v42, vcc, s4, v42
	v_addc_co_u32_e32 v43, vcc, v97, v43, vcc
	global_load_dword v42, v[42:43], off
	s_waitcnt vmcnt(0)
	ds_write_b32 v94, v42 offset:264
	v_add_u32_e32 v42, s43, v93
	v_ashrrev_i32_e32 v43, 31, v42
	v_lshlrev_b64 v[42:43], 2, v[42:43]
	v_add_co_u32_e32 v42, vcc, s4, v42
	v_addc_co_u32_e32 v43, vcc, v97, v43, vcc
	global_load_dword v42, v[42:43], off
	s_waitcnt vmcnt(0)
	ds_write_b32 v94, v42 offset:528
	;; [unrolled: 8-line block ×14, first 2 shown]
	v_add_u32_e32 v42, s56, v93
	v_ashrrev_i32_e32 v43, 31, v42
	v_lshlrev_b64 v[42:43], 2, v[42:43]
	v_add_co_u32_e32 v42, vcc, s4, v42
	v_addc_co_u32_e32 v43, vcc, v97, v43, vcc
	global_load_dword v42, v[42:43], off
	v_add_co_u32_e32 v58, vcc, s4, v58
	v_addc_co_u32_e32 v59, vcc, v97, v59, vcc
	s_waitcnt vmcnt(0)
	ds_write_b32 v94, v42 offset:3960
	ds_read_b64 v[56:57], v95
	ds_read_b64 v[54:55], v95 offset:32
	ds_read_b64 v[52:53], v95 offset:64
	;; [unrolled: 1-line block ×7, first 2 shown]
	global_load_dword v58, v[58:59], off
	s_waitcnt vmcnt(0)
	ds_write_b32 v94, v58
	v_add_u32_e32 v58, s58, v93
	v_ashrrev_i32_e32 v59, 31, v58
	v_lshlrev_b64 v[58:59], 2, v[58:59]
	v_add_co_u32_e32 v58, vcc, s4, v58
	v_addc_co_u32_e32 v59, vcc, v97, v59, vcc
	global_load_dword v58, v[58:59], off
	s_waitcnt vmcnt(0)
	ds_write_b32 v94, v58 offset:264
	v_add_u32_e32 v58, s59, v93
	v_ashrrev_i32_e32 v59, 31, v58
	v_lshlrev_b64 v[58:59], 2, v[58:59]
	v_add_co_u32_e32 v58, vcc, s4, v58
	v_addc_co_u32_e32 v59, vcc, v97, v59, vcc
	global_load_dword v58, v[58:59], off
	s_waitcnt vmcnt(0)
	ds_write_b32 v94, v58 offset:528
	;; [unrolled: 8-line block ×14, first 2 shown]
	v_add_u32_e32 v58, s72, v93
	v_ashrrev_i32_e32 v59, 31, v58
	v_lshlrev_b64 v[58:59], 2, v[58:59]
	v_add_co_u32_e32 v58, vcc, s4, v58
	v_addc_co_u32_e32 v59, vcc, v97, v59, vcc
	global_load_dword v58, v[58:59], off
	v_add_co_u32_e32 v74, vcc, s4, v74
	v_addc_co_u32_e32 v75, vcc, v97, v75, vcc
	s_waitcnt vmcnt(0)
	ds_write_b32 v94, v58 offset:3960
	ds_read_b64 v[72:73], v95
	ds_read_b64 v[70:71], v95 offset:32
	ds_read_b64 v[68:69], v95 offset:64
	;; [unrolled: 1-line block ×7, first 2 shown]
	global_load_dword v74, v[74:75], off
	s_waitcnt vmcnt(0)
	ds_write_b32 v94, v74
	v_add_u32_e32 v74, s74, v93
	v_ashrrev_i32_e32 v75, 31, v74
	v_lshlrev_b64 v[74:75], 2, v[74:75]
	v_add_co_u32_e32 v74, vcc, s4, v74
	v_addc_co_u32_e32 v75, vcc, v97, v75, vcc
	global_load_dword v74, v[74:75], off
	s_waitcnt vmcnt(0)
	ds_write_b32 v94, v74 offset:264
	v_add_u32_e32 v74, s75, v93
	v_ashrrev_i32_e32 v75, 31, v74
	v_lshlrev_b64 v[74:75], 2, v[74:75]
	v_add_co_u32_e32 v74, vcc, s4, v74
	v_addc_co_u32_e32 v75, vcc, v97, v75, vcc
	global_load_dword v74, v[74:75], off
	s_waitcnt vmcnt(0)
	ds_write_b32 v94, v74 offset:528
	;; [unrolled: 8-line block ×14, first 2 shown]
	v_add_u32_e32 v74, s88, v93
	v_ashrrev_i32_e32 v75, 31, v74
	v_lshlrev_b64 v[74:75], 2, v[74:75]
	v_add_co_u32_e32 v74, vcc, s4, v74
	v_addc_co_u32_e32 v75, vcc, v97, v75, vcc
	global_load_dword v74, v[74:75], off
	v_add_co_u32_e32 v100, vcc, v24, v16
	v_addc_co_u32_e32 v101, vcc, 0, v23, vcc
	s_waitcnt vmcnt(0)
	ds_write_b32 v94, v74 offset:3960
	ds_read_b64 v[88:89], v95
	ds_read_b64 v[86:87], v95 offset:32
	ds_read_b64 v[84:85], v95 offset:64
	;; [unrolled: 1-line block ×7, first 2 shown]
	global_load_dword v99, v[100:101], off
	v_add_co_u32_e32 v100, vcc, v22, v16
	v_addc_co_u32_e32 v101, vcc, 0, v21, vcc
	s_waitcnt vmcnt(0)
	ds_write_b32 v94, v99
	global_load_dword v99, v[100:101], off
	v_add_u32_e32 v100, s6, v93
	v_ashrrev_i32_e32 v101, 31, v100
	v_lshlrev_b64 v[100:101], 2, v[100:101]
	v_add_co_u32_e32 v100, vcc, s5, v100
	v_addc_co_u32_e32 v101, vcc, v98, v101, vcc
	s_waitcnt vmcnt(0)
	ds_write_b32 v94, v99 offset:264
	global_load_dword v99, v[100:101], off
	v_add_u32_e32 v100, s12, v93
	v_ashrrev_i32_e32 v101, 31, v100
	v_lshlrev_b64 v[100:101], 2, v[100:101]
	v_add_co_u32_e32 v100, vcc, s5, v100
	v_addc_co_u32_e32 v101, vcc, v98, v101, vcc
	s_waitcnt vmcnt(0)
	ds_write_b32 v94, v99 offset:528
	;; [unrolled: 8-line block ×10, first 2 shown]
	global_load_dword v99, v[100:101], off
	v_add_u32_e32 v100, s23, v93
	v_ashrrev_i32_e32 v101, 31, v100
	v_lshlrev_b64 v[100:101], 2, v[100:101]
	v_add_co_u32_e32 v100, vcc, s5, v100
	v_addc_co_u32_e32 v101, vcc, v98, v101, vcc
	v_add_co_u32_e32 v18, vcc, s89, v18
	v_addc_co_u32_e32 v17, vcc, 0, v17, vcc
	;; [unrolled: 2-line block ×4, first 2 shown]
	v_add_co_u32_e32 v24, vcc, 0x600, v24
	v_add_u32_e32 v93, 0x180, v93
	v_addc_co_u32_e32 v23, vcc, 0, v23, vcc
	v_cmp_le_i32_e32 vcc, s9, v93
	s_or_b64 s[0:1], vcc, s[0:1]
	s_waitcnt vmcnt(0)
	ds_write_b32 v94, v99 offset:2904
	global_load_dword v99, v[100:101], off
	s_waitcnt vmcnt(0)
	ds_write_b32 v94, v99 offset:3168
	ds_write_b32 v94, v96 offset:3432
	;; [unrolled: 1-line block ×4, first 2 shown]
	ds_read_b64 v[100:101], v95
	ds_read_b64 v[102:103], v95 offset:32
	s_waitcnt lgkmcnt(1)
	v_mfma_f32_16x16x4f32 v[0:3], v40, v100, v[0:3]
	v_mfma_f32_16x16x4f32 v[12:15], v56, v100, v[12:15]
	;; [unrolled: 1-line block ×8, first 2 shown]
	s_waitcnt lgkmcnt(0)
	v_mfma_f32_16x16x4f32 v[0:3], v38, v102, v[0:3]
	v_mfma_f32_16x16x4f32 v[12:15], v54, v102, v[12:15]
	v_mfma_f32_16x16x4f32 v[8:11], v70, v102, v[8:11]
	v_mfma_f32_16x16x4f32 v[4:7], v86, v102, v[4:7]
	v_mfma_f32_16x16x4f32 v[0:3], v39, v103, v[0:3]
	ds_read_b64 v[38:39], v95 offset:64
	v_mfma_f32_16x16x4f32 v[12:15], v55, v103, v[12:15]
	v_mfma_f32_16x16x4f32 v[8:11], v71, v103, v[8:11]
	v_mfma_f32_16x16x4f32 v[4:7], v87, v103, v[4:7]
	s_waitcnt lgkmcnt(0)
	v_mfma_f32_16x16x4f32 v[0:3], v36, v38, v[0:3]
	v_mfma_f32_16x16x4f32 v[12:15], v52, v38, v[12:15]
	v_mfma_f32_16x16x4f32 v[8:11], v68, v38, v[8:11]
	v_mfma_f32_16x16x4f32 v[4:7], v84, v38, v[4:7]
	v_mfma_f32_16x16x4f32 v[0:3], v37, v39, v[0:3]
	ds_read_b64 v[36:37], v95 offset:96
	v_mfma_f32_16x16x4f32 v[12:15], v53, v39, v[12:15]
	v_mfma_f32_16x16x4f32 v[8:11], v69, v39, v[8:11]
	v_mfma_f32_16x16x4f32 v[4:7], v85, v39, v[4:7]
	;; [unrolled: 10-line block ×6, first 2 shown]
	s_waitcnt lgkmcnt(0)
	v_mfma_f32_16x16x4f32 v[0:3], v26, v28, v[0:3]
	v_mfma_f32_16x16x4f32 v[12:15], v42, v28, v[12:15]
	;; [unrolled: 1-line block ×8, first 2 shown]
	s_andn2_b64 exec, exec, s[0:1]
	s_cbranch_execnz .LBB92_4
; %bb.5:
	s_or_b64 exec, exec, s[0:1]
.LBB92_6:
	s_or_b64 exec, exec, s[24:25]
	v_mul_u32_u24_e32 v16, 0x608, v92
	v_lshlrev_b32_e32 v17, 2, v91
	s_mul_hi_i32 s1, s19, s8
	s_mul_i32 s0, s19, s8
	v_add3_u32 v16, 0, v16, v17
	v_and_b32_e32 v17, 0x3f0, v90
	s_lshl_b64 s[0:1], s[0:1], 2
	v_add_u32_e32 v17, v16, v17
	s_mul_i32 s4, s7, s15
	s_waitcnt lgkmcnt(0)
	s_add_u32 s6, s10, s0
	s_barrier
	ds_write2_b32 v17, v0, v1 offset1:1
	ds_write_b32 v17, v2 offset:8
	v_or_b32_e32 v0, 12, v90
	s_addc_u32 s7, s11, s1
	s_ashr_i32 s5, s4, 31
	v_and_b32_e32 v0, 0x3fc, v0
	s_lshl_b64 s[0:1], s[4:5], 2
	s_movk_i32 s4, 0x608
	v_add_u32_e32 v0, v16, v0
	v_lshl_add_u32 v1, v90, 2, 0
	ds_write_b32 v0, v3
	ds_write2_b32 v17, v12, v13 offset0:16 offset1:17
	ds_write_b32 v17, v14 offset:72
	ds_write_b32 v0, v15 offset:64
	ds_write2_b32 v17, v8, v9 offset0:32 offset1:33
	ds_write_b32 v17, v10 offset:136
	ds_write_b32 v0, v11 offset:128
	;; [unrolled: 3-line block ×3, first 2 shown]
	v_mad_u32_u24 v8, v25, s4, v1
	s_waitcnt lgkmcnt(0)
	s_barrier
	ds_read2st64_b32 v[2:3], v8 offset1:1
	ds_read2st64_b32 v[4:5], v8 offset0:2 offset1:3
	ds_read2st64_b32 v[6:7], v8 offset0:4 offset1:5
	v_add_u32_e32 v0, s3, v90
	s_add_u32 s0, s6, s0
	s_waitcnt lgkmcnt(2)
	v_add_f32_e32 v2, 0, v2
	v_add_f32_e32 v2, v2, v3
	s_waitcnt lgkmcnt(1)
	v_add_f32_e32 v2, v2, v4
	v_add_f32_e32 v2, v2, v5
	;; [unrolled: 3-line block ×3, first 2 shown]
	v_mad_u64_u32 v[2:3], s[4:5], v25, s2, v[0:1]
	v_mov_b32_e32 v3, 0
	v_add_u32_e32 v11, 48, v8
	s_addc_u32 s1, s7, s1
	v_lshlrev_b64 v[4:5], 2, v[2:3]
	ds_read2st64_b32 v[6:7], v11 offset0:36 offset1:37
	v_mov_b32_e32 v9, s1
	v_add_co_u32_e32 v4, vcc, s0, v4
	v_addc_co_u32_e32 v5, vcc, v9, v5, vcc
	ds_read2st64_b32 v[8:9], v11 offset0:38 offset1:39
	global_store_dword v[4:5], v10, off
	ds_read2st64_b32 v[4:5], v11 offset0:40 offset1:41
	s_waitcnt lgkmcnt(2)
	v_add_f32_e32 v6, 0, v6
	v_add_f32_e32 v6, v6, v7
	s_waitcnt lgkmcnt(1)
	v_add_f32_e32 v6, v6, v8
	v_add_f32_e32 v6, v6, v9
	;; [unrolled: 3-line block ×3, first 2 shown]
	v_mad_u64_u32 v[4:5], s[4:5], s2, 6, v[2:3]
	v_mov_b32_e32 v5, v3
	v_lshlrev_b64 v[4:5], 2, v[4:5]
	v_mov_b32_e32 v2, s1
	v_add_co_u32_e32 v4, vcc, s0, v4
	v_addc_co_u32_e32 v5, vcc, v2, v5, vcc
	v_cmp_eq_u32_e32 vcc, 0, v25
	global_store_dword v[4:5], v6, off
	s_and_saveexec_b64 s[4:5], vcc
	s_cbranch_execz .LBB92_8
; %bb.7:
	v_add_u32_e32 v2, 0x60, v1
	ds_read2st64_b32 v[4:5], v2 offset0:72 offset1:73
	ds_read2st64_b32 v[6:7], v2 offset0:74 offset1:75
	v_mad_u64_u32 v[0:1], s[2:3], s2, 12, v[0:1]
	ds_read2st64_b32 v[8:9], v2 offset0:76 offset1:77
	s_waitcnt lgkmcnt(2)
	v_add_f32_e32 v1, 0, v4
	v_add_f32_e32 v1, v1, v5
	s_waitcnt lgkmcnt(1)
	v_add_f32_e32 v1, v1, v6
	v_add_f32_e32 v1, v1, v7
	;; [unrolled: 3-line block ×3, first 2 shown]
	v_mov_b32_e32 v1, v3
	v_lshlrev_b64 v[0:1], 2, v[0:1]
	v_mov_b32_e32 v3, s1
	v_add_co_u32_e32 v0, vcc, s0, v0
	v_addc_co_u32_e32 v1, vcc, v3, v1, vcc
	global_store_dword v[0:1], v2, off
.LBB92_8:
	s_endpgm
	.section	.rodata,"a",@progbits
	.p2align	6, 0x0
	.amdhsa_kernel _ZL9mul_mat_fIfLi64ELi13ELi6ELb0EEvPKT_PKfPKiPfiiiiiiiiiiiiiiii
		.amdhsa_group_segment_fixed_size 0
		.amdhsa_private_segment_fixed_size 0
		.amdhsa_kernarg_size 96
		.amdhsa_user_sgpr_count 6
		.amdhsa_user_sgpr_private_segment_buffer 1
		.amdhsa_user_sgpr_dispatch_ptr 0
		.amdhsa_user_sgpr_queue_ptr 0
		.amdhsa_user_sgpr_kernarg_segment_ptr 1
		.amdhsa_user_sgpr_dispatch_id 0
		.amdhsa_user_sgpr_flat_scratch_init 0
		.amdhsa_user_sgpr_kernarg_preload_length 0
		.amdhsa_user_sgpr_kernarg_preload_offset 0
		.amdhsa_user_sgpr_private_segment_size 0
		.amdhsa_uses_dynamic_stack 0
		.amdhsa_system_sgpr_private_segment_wavefront_offset 0
		.amdhsa_system_sgpr_workgroup_id_x 1
		.amdhsa_system_sgpr_workgroup_id_y 1
		.amdhsa_system_sgpr_workgroup_id_z 1
		.amdhsa_system_sgpr_workgroup_info 0
		.amdhsa_system_vgpr_workitem_id 1
		.amdhsa_next_free_vgpr 104
		.amdhsa_next_free_sgpr 90
		.amdhsa_accum_offset 104
		.amdhsa_reserve_vcc 1
		.amdhsa_reserve_flat_scratch 0
		.amdhsa_float_round_mode_32 0
		.amdhsa_float_round_mode_16_64 0
		.amdhsa_float_denorm_mode_32 3
		.amdhsa_float_denorm_mode_16_64 3
		.amdhsa_dx10_clamp 1
		.amdhsa_ieee_mode 1
		.amdhsa_fp16_overflow 0
		.amdhsa_tg_split 0
		.amdhsa_exception_fp_ieee_invalid_op 0
		.amdhsa_exception_fp_denorm_src 0
		.amdhsa_exception_fp_ieee_div_zero 0
		.amdhsa_exception_fp_ieee_overflow 0
		.amdhsa_exception_fp_ieee_underflow 0
		.amdhsa_exception_fp_ieee_inexact 0
		.amdhsa_exception_int_div_zero 0
	.end_amdhsa_kernel
	.section	.text._ZL9mul_mat_fIfLi64ELi13ELi6ELb0EEvPKT_PKfPKiPfiiiiiiiiiiiiiiii,"axG",@progbits,_ZL9mul_mat_fIfLi64ELi13ELi6ELb0EEvPKT_PKfPKiPfiiiiiiiiiiiiiiii,comdat
.Lfunc_end92:
	.size	_ZL9mul_mat_fIfLi64ELi13ELi6ELb0EEvPKT_PKfPKiPfiiiiiiiiiiiiiiii, .Lfunc_end92-_ZL9mul_mat_fIfLi64ELi13ELi6ELb0EEvPKT_PKfPKiPfiiiiiiiiiiiiiiii
                                        ; -- End function
	.section	.AMDGPU.csdata,"",@progbits
; Kernel info:
; codeLenInByte = 5880
; NumSgprs: 94
; NumVgprs: 104
; NumAgprs: 0
; TotalNumVgprs: 104
; ScratchSize: 0
; MemoryBound: 0
; FloatMode: 240
; IeeeMode: 1
; LDSByteSize: 0 bytes/workgroup (compile time only)
; SGPRBlocks: 11
; VGPRBlocks: 12
; NumSGPRsForWavesPerEU: 94
; NumVGPRsForWavesPerEU: 104
; AccumOffset: 104
; Occupancy: 4
; WaveLimiterHint : 0
; COMPUTE_PGM_RSRC2:SCRATCH_EN: 0
; COMPUTE_PGM_RSRC2:USER_SGPR: 6
; COMPUTE_PGM_RSRC2:TRAP_HANDLER: 0
; COMPUTE_PGM_RSRC2:TGID_X_EN: 1
; COMPUTE_PGM_RSRC2:TGID_Y_EN: 1
; COMPUTE_PGM_RSRC2:TGID_Z_EN: 1
; COMPUTE_PGM_RSRC2:TIDIG_COMP_CNT: 1
; COMPUTE_PGM_RSRC3_GFX90A:ACCUM_OFFSET: 25
; COMPUTE_PGM_RSRC3_GFX90A:TG_SPLIT: 0
	.section	.text._ZL13mul_mat_f_idsIfLi64ELi13ELi7EEvPKT_PKfPKiS6_S6_Pfiiiiiiiiiiiiii15HIP_vector_typeIjLj3EES9_,"axG",@progbits,_ZL13mul_mat_f_idsIfLi64ELi13ELi7EEvPKT_PKfPKiS6_S6_Pfiiiiiiiiiiiiii15HIP_vector_typeIjLj3EES9_,comdat
	.globl	_ZL13mul_mat_f_idsIfLi64ELi13ELi7EEvPKT_PKfPKiS6_S6_Pfiiiiiiiiiiiiii15HIP_vector_typeIjLj3EES9_ ; -- Begin function _ZL13mul_mat_f_idsIfLi64ELi13ELi7EEvPKT_PKfPKiS6_S6_Pfiiiiiiiiiiiiii15HIP_vector_typeIjLj3EES9_
	.p2align	8
	.type	_ZL13mul_mat_f_idsIfLi64ELi13ELi7EEvPKT_PKfPKiS6_S6_Pfiiiiiiiiiiiiii15HIP_vector_typeIjLj3EES9_,@function
_ZL13mul_mat_f_idsIfLi64ELi13ELi7EEvPKT_PKfPKiS6_S6_Pfiiiiiiiiiiiiii15HIP_vector_typeIjLj3EES9_: ; @_ZL13mul_mat_f_idsIfLi64ELi13ELi7EEvPKT_PKfPKiS6_S6_Pfiiiiiiiiiiiiii15HIP_vector_typeIjLj3EES9_
; %bb.0:
	s_load_dwordx2 s[0:1], s[4:5], 0x20
	s_mov_b32 s34, s7
	s_ashr_i32 s35, s7, 31
	s_lshl_b64 s[2:3], s[34:35], 2
	s_waitcnt lgkmcnt(0)
	s_add_u32 s0, s0, s2
	s_addc_u32 s1, s1, s3
	s_load_dwordx2 s[26:27], s[0:1], 0x0
	s_waitcnt lgkmcnt(0)
	s_sub_i32 s33, s27, s26
	s_add_i32 s0, s33, 12
	s_mul_hi_i32 s0, s0, 0x4ec4ec4f
	s_lshr_b32 s1, s0, 31
	s_ashr_i32 s0, s0, 2
	s_add_i32 s0, s0, s1
	s_cmp_ge_i32 s8, s0
	s_cbranch_scc1 .LBB93_53
; %bb.1:
	v_bfe_u32 v82, v0, 10, 10
	v_lshlrev_b32_e32 v84, 6, v82
	v_and_b32_e32 v83, 0x3ff, v0
	s_load_dwordx4 s[12:15], s[4:5], 0x30
	s_load_dwordx2 s[20:21], s[4:5], 0x40
	s_load_dwordx4 s[0:3], s[4:5], 0x4c
	s_load_dwordx4 s[16:19], s[4:5], 0x68
	s_load_dwordx2 s[24:25], s[4:5], 0x78
	v_add_u32_e32 v86, v84, v83
	s_ashr_i32 s27, s26, 31
	s_waitcnt lgkmcnt(0)
	v_cmp_le_i32_e32 vcc, s12, v86
	v_and_b32_e32 v85, 15, v83
                                        ; implicit-def: $sgpr3
	s_and_saveexec_b64 s[10:11], vcc
	s_xor_b64 s[10:11], exec, s[10:11]
; %bb.2:
	v_and_b32_e32 v85, 15, v83
	s_mov_b32 s3, 0
                                        ; implicit-def: $vgpr86
; %bb.3:
	s_or_saveexec_b64 s[22:23], s[10:11]
	s_load_dwordx2 s[10:11], s[4:5], 0x18
                                        ; implicit-def: $vgpr108 : SGPR spill to VGPR lane
	s_lshl_b32 s28, s6, 6
	s_mul_i32 s6, s8, 13
	v_mov_b32_e32 v15, s3
	v_mov_b32_e32 v14, s3
	s_waitcnt lgkmcnt(0)
	v_writelane_b32 v108, s10, 0
	v_writelane_b32 v108, s11, 1
	s_load_dwordx2 s[10:11], s[4:5], 0x28
	v_mov_b32_e32 v13, s3
	v_mov_b32_e32 v12, s3
	;; [unrolled: 1-line block ×4, first 2 shown]
	s_waitcnt lgkmcnt(0)
	v_writelane_b32 v108, s10, 2
	v_writelane_b32 v108, s11, 3
	v_mov_b32_e32 v5, s3
	v_mov_b32_e32 v4, s3
	;; [unrolled: 1-line block ×10, first 2 shown]
	v_writelane_b32 v108, s22, 4
	v_writelane_b32 v108, s23, 5
	s_xor_b64 exec, exec, s[22:23]
	s_cbranch_execz .LBB93_46
; %bb.4:
	v_writelane_b32 v108, s24, 6
	v_writelane_b32 v108, s25, 7
	s_load_dwordx4 s[8:11], s[4:5], 0x0
	s_load_dwordx2 s[22:23], s[4:5], 0x10
	s_mul_i32 s4, s34, s0
	s_mul_i32 s24, s28, s15
	s_ashr_i32 s5, s4, 31
	s_ashr_i32 s25, s24, 31
	s_lshl_b64 s[24:25], s[24:25], 2
	s_lshl_b64 s[4:5], s[4:5], 2
	s_add_u32 s3, s4, s24
	s_addc_u32 s24, s5, s25
	v_writelane_b32 v108, s28, 8
	s_waitcnt lgkmcnt(0)
	s_add_u32 s0, s3, s8
	s_addc_u32 s25, s24, s9
	v_writelane_b32 v108, s26, 9
	s_lshl_b64 s[4:5], s[26:27], 2
	v_writelane_b32 v108, s27, 10
	s_add_u32 s26, s22, s4
	s_addc_u32 s27, s23, s5
	s_movk_i32 s4, 0x1080
	s_cmp_lt_i32 s6, s33
	v_mad_u32_u24 v0, v82, s4, 0
	s_cselect_b64 s[4:5], -1, 0
	s_ashr_i32 s7, s6, 31
	s_lshl_b64 s[22:23], s[6:7], 2
	s_add_u32 s34, s26, s22
	s_addc_u32 s35, s27, s23
	s_add_i32 s7, s6, 1
	s_cmp_lt_i32 s7, s33
	s_cselect_b64 s[36:37], -1, 0
	s_add_i32 s7, s6, 2
	s_cmp_lt_i32 s7, s33
	s_cselect_b64 s[38:39], -1, 0
	;; [unrolled: 3-line block ×3, first 2 shown]
	s_add_i32 s7, s6, 4
	s_cmp_lt_i32 s7, s33
	v_lshrrev_b32_e32 v3, 1, v83
	s_cselect_b64 s[42:43], -1, 0
	s_add_i32 s7, s6, 5
	v_lshlrev_b32_e32 v1, 2, v83
	v_mul_u32_u24_e32 v2, 0x108, v85
	v_and_b32_e32 v3, 0x1f8, v3
	s_cmp_lt_i32 s7, s33
	v_add_u32_e32 v87, v0, v1
	v_add3_u32 v88, v0, v2, v3
	s_cselect_b64 s[44:45], -1, 0
	s_add_i32 s7, s6, 6
	v_lshlrev_b32_e32 v0, 8, v82
	s_cmp_lt_i32 s7, s33
	v_add_co_u32_e32 v0, vcc, s3, v0
	s_mul_i32 s3, s15, 3
	s_cselect_b64 s[46:47], -1, 0
	s_add_i32 s7, s6, 7
	v_writelane_b32 v108, s3, 11
	s_mul_i32 s3, s15, 5
	s_cmp_lt_i32 s7, s33
	v_writelane_b32 v108, s3, 12
	s_mul_i32 s3, s15, 6
	s_cselect_b64 s[48:49], -1, 0
	s_add_i32 s7, s6, 8
	v_writelane_b32 v108, s3, 13
	s_mul_i32 s3, s15, 7
	s_cmp_lt_i32 s7, s33
	v_writelane_b32 v108, s3, 14
	;; [unrolled: 7-line block ×4, first 2 shown]
	s_mul_i32 s3, s15, 13
	s_cselect_b64 s[54:55], -1, 0
	s_add_i32 s7, s6, 11
	v_writelane_b32 v108, s3, 19
	s_mul_i32 s3, s15, 14
	s_cmp_lt_i32 s7, s33
	v_mov_b32_e32 v2, s24
	v_writelane_b32 v108, s3, 20
	s_mul_i32 s3, s15, 15
	s_cselect_b64 s[56:57], -1, 0
	s_add_i32 s7, s6, 12
	v_addc_co_u32_e32 v2, vcc, 0, v2, vcc
	v_writelane_b32 v108, s3, 21
	s_mul_i32 s3, s15, 17
	s_cmp_lt_i32 s7, s33
	v_add_co_u32_e32 v0, vcc, v0, v1
	v_writelane_b32 v108, s3, 22
	s_mul_i32 s3, s15, 18
	s_cselect_b64 s[58:59], -1, 0
	s_ashr_i32 s23, s15, 31
	s_mov_b32 s22, s15
	v_addc_co_u32_e32 v1, vcc, 0, v2, vcc
	v_writelane_b32 v108, s3, 23
	s_mul_i32 s3, s15, 19
	s_lshl_b64 s[60:61], s[22:23], 2
	v_mov_b32_e32 v2, s9
	v_add_co_u32_e32 v16, vcc, s8, v0
	v_writelane_b32 v108, s3, 24
	s_mul_i32 s3, s15, 20
	v_mov_b32_e32 v0, 0
	v_addc_co_u32_e32 v17, vcc, v2, v1, vcc
	s_lshl_b32 s7, s15, 1
	s_lshl_b32 s63, s15, 2
	s_lshl_b32 s67, s15, 3
	s_lshl_b32 s75, s15, 4
	v_writelane_b32 v108, s3, 25
	s_mul_i32 s80, s15, 21
	s_mul_i32 s81, s15, 22
	;; [unrolled: 1-line block ×11, first 2 shown]
	s_lshl_b32 s91, s15, 5
	s_mul_i32 s92, s15, 33
	s_mul_i32 s93, s15, 34
	;; [unrolled: 1-line block ×5, first 2 shown]
	v_mov_b32_e32 v89, s25
	s_mul_i32 s25, s15, 38
	v_mov_b32_e32 v90, s61
	v_mov_b32_e32 v91, 0
	;; [unrolled: 1-line block ×17, first 2 shown]
	s_mul_i32 s61, s15, 39
	s_mul_i32 s22, s15, 40
	;; [unrolled: 1-line block ×25, first 2 shown]
	s_mov_b64 s[8:9], 0
	s_branch .LBB93_6
.LBB93_5:                               ;   in Loop: Header=BB93_6 Depth=1
	s_waitcnt vmcnt(0)
	ds_write2_b32 v87, v92, v94 offset1:66
	ds_write2_b32 v87, v93, v96 offset0:132 offset1:198
	v_add_u32_e32 v92, 0x400, v87
	ds_write2_b32 v92, v95, v98 offset0:8 offset1:74
	ds_write2_b32 v92, v97, v100 offset0:140 offset1:206
	v_add_u32_e32 v92, 0x800, v87
	ds_write2_b32 v92, v99, v102 offset0:16 offset1:82
	;; [unrolled: 3-line block ×3, first 2 shown]
	ds_write2_b32 v92, v91, v91 offset0:156 offset1:222
	ds_read2_b64 v[92:95], v88 offset1:4
	v_add_co_u32_e32 v16, vcc, 0x700, v16
	s_waitcnt lgkmcnt(0)
	v_mfma_f32_16x16x4f32 v[0:3], v46, v92, v[0:3]
	v_add_u32_e32 v86, 0x1c0, v86
	v_addc_co_u32_e32 v17, vcc, 0, v17, vcc
	v_cmp_le_i32_e32 vcc, s12, v86
	s_or_b64 s[8:9], vcc, s[8:9]
	v_mfma_f32_16x16x4f32 v[8:11], v58, v92, v[8:11]
	v_mfma_f32_16x16x4f32 v[4:7], v64, v92, v[4:7]
	;; [unrolled: 1-line block ×14, first 2 shown]
	ds_read2_b64 v[62:65], v88 offset0:8 offset1:12
	v_mfma_f32_16x16x4f32 v[12:15], v79, v95, v[12:15]
	s_waitcnt lgkmcnt(0)
	v_mfma_f32_16x16x4f32 v[0:3], v34, v62, v[0:3]
	v_mfma_f32_16x16x4f32 v[8:11], v50, v62, v[8:11]
	;; [unrolled: 1-line block ×14, first 2 shown]
	ds_read2_b64 v[44:47], v88 offset0:16 offset1:20
	v_mfma_f32_16x16x4f32 v[4:7], v57, v65, v[4:7]
	v_mfma_f32_16x16x4f32 v[12:15], v75, v65, v[12:15]
	s_waitcnt lgkmcnt(0)
	v_mfma_f32_16x16x4f32 v[0:3], v26, v44, v[0:3]
	v_mfma_f32_16x16x4f32 v[8:11], v38, v44, v[8:11]
	;; [unrolled: 1-line block ×14, first 2 shown]
	ds_read2_b64 v[30:33], v88 offset0:24 offset1:28
	v_mfma_f32_16x16x4f32 v[4:7], v49, v47, v[4:7]
	v_mfma_f32_16x16x4f32 v[12:15], v71, v47, v[12:15]
	s_waitcnt lgkmcnt(0)
	v_mfma_f32_16x16x4f32 v[0:3], v20, v30, v[0:3]
	v_mfma_f32_16x16x4f32 v[8:11], v28, v30, v[8:11]
	;; [unrolled: 1-line block ×16, first 2 shown]
	s_andn2_b64 exec, exec, s[8:9]
	s_cbranch_execz .LBB93_45
.LBB93_6:                               ; =>This Inner Loop Header: Depth=1
	v_add_co_u32_e32 v18, vcc, s60, v16
	v_addc_co_u32_e32 v19, vcc, v17, v90, vcc
	global_load_dword v30, v[16:17], off
	global_load_dword v31, v[18:19], off
	v_add_u32_e32 v18, s7, v86
	v_ashrrev_i32_e32 v19, 31, v18
	v_readlane_b32 s79, v108, 11
	v_lshlrev_b64 v[18:19], 2, v[18:19]
	v_add_u32_e32 v20, s79, v86
	v_add_co_u32_e32 v18, vcc, s0, v18
	v_ashrrev_i32_e32 v21, 31, v20
	v_addc_co_u32_e32 v19, vcc, v89, v19, vcc
	v_lshlrev_b64 v[20:21], 2, v[20:21]
	v_add_u32_e32 v22, s63, v86
	v_add_co_u32_e32 v20, vcc, s0, v20
	v_ashrrev_i32_e32 v23, 31, v22
	v_readlane_b32 s79, v108, 12
	v_addc_co_u32_e32 v21, vcc, v89, v21, vcc
	v_lshlrev_b64 v[22:23], 2, v[22:23]
	v_add_u32_e32 v24, s79, v86
	v_add_co_u32_e32 v22, vcc, s0, v22
	v_ashrrev_i32_e32 v25, 31, v24
	v_readlane_b32 s79, v108, 13
	;; [unrolled: 6-line block ×3, first 2 shown]
	v_addc_co_u32_e32 v25, vcc, v89, v25, vcc
	v_lshlrev_b64 v[26:27], 2, v[26:27]
	v_add_u32_e32 v28, s79, v86
	v_add_co_u32_e32 v26, vcc, s0, v26
	v_ashrrev_i32_e32 v29, 31, v28
	v_addc_co_u32_e32 v27, vcc, v89, v27, vcc
	v_lshlrev_b64 v[28:29], 2, v[28:29]
	v_add_co_u32_e32 v28, vcc, s0, v28
	v_addc_co_u32_e32 v29, vcc, v89, v29, vcc
	global_load_dword v32, v[18:19], off
	global_load_dword v33, v[20:21], off
	;; [unrolled: 1-line block ×3, first 2 shown]
	s_nop 0
	global_load_dword v24, v[24:25], off
	s_nop 0
	global_load_dword v25, v[26:27], off
	;; [unrolled: 2-line block ×3, first 2 shown]
	v_add_u32_e32 v18, s67, v86
	v_readlane_b32 s79, v108, 15
	v_ashrrev_i32_e32 v19, 31, v18
	v_add_u32_e32 v20, s79, v86
	v_lshlrev_b64 v[18:19], 2, v[18:19]
	v_readlane_b32 s79, v108, 16
	v_ashrrev_i32_e32 v21, 31, v20
	v_add_co_u32_e32 v18, vcc, s0, v18
	v_add_u32_e32 v22, s79, v86
	v_lshlrev_b64 v[20:21], 2, v[20:21]
	v_addc_co_u32_e32 v19, vcc, v89, v19, vcc
	v_ashrrev_i32_e32 v23, 31, v22
	v_add_co_u32_e32 v20, vcc, s0, v20
	v_readlane_b32 s79, v108, 17
	v_lshlrev_b64 v[22:23], 2, v[22:23]
	v_addc_co_u32_e32 v21, vcc, v89, v21, vcc
	global_load_dword v18, v[18:19], off
	s_nop 0
	global_load_dword v19, v[20:21], off
	v_add_u32_e32 v20, s79, v86
	v_add_co_u32_e32 v22, vcc, s0, v22
	v_ashrrev_i32_e32 v21, 31, v20
	v_addc_co_u32_e32 v23, vcc, v89, v23, vcc
	v_lshlrev_b64 v[20:21], 2, v[20:21]
	v_readlane_b32 s79, v108, 18
	v_add_u32_e32 v38, s82, v86
	v_ashrrev_i32_e32 v39, 31, v38
	v_lshlrev_b64 v[38:39], 2, v[38:39]
	v_add_u32_e32 v40, s83, v86
	v_ashrrev_i32_e32 v41, 31, v40
	v_lshlrev_b64 v[40:41], 2, v[40:41]
	;; [unrolled: 3-line block ×4, first 2 shown]
	v_add_u32_e32 v58, s23, v86
	v_ashrrev_i32_e32 v59, 31, v58
	s_waitcnt vmcnt(9)
	ds_write_b32 v87, v30
	s_waitcnt vmcnt(8)
	ds_write_b32 v87, v31 offset:264
	s_waitcnt vmcnt(7)
	ds_write_b32 v87, v32 offset:528
	;; [unrolled: 2-line block ×7, first 2 shown]
	v_add_co_u32_e32 v24, vcc, s0, v20
	v_add_u32_e32 v20, s79, v86
	v_addc_co_u32_e32 v25, vcc, v89, v21, vcc
	v_ashrrev_i32_e32 v21, 31, v20
	v_lshlrev_b64 v[20:21], 2, v[20:21]
	v_readlane_b32 s79, v108, 19
	v_add_co_u32_e32 v26, vcc, s0, v20
	v_add_u32_e32 v20, s79, v86
	v_addc_co_u32_e32 v27, vcc, v89, v21, vcc
	v_ashrrev_i32_e32 v21, 31, v20
	v_lshlrev_b64 v[20:21], 2, v[20:21]
	v_readlane_b32 s79, v108, 20
	v_add_co_u32_e32 v28, vcc, s0, v20
	v_add_u32_e32 v20, s79, v86
	v_addc_co_u32_e32 v29, vcc, v89, v21, vcc
	v_ashrrev_i32_e32 v21, 31, v20
	v_lshlrev_b64 v[20:21], 2, v[20:21]
	v_readlane_b32 s79, v108, 21
	v_add_co_u32_e32 v30, vcc, s0, v20
	v_add_u32_e32 v20, s79, v86
	v_addc_co_u32_e32 v31, vcc, v89, v21, vcc
	v_ashrrev_i32_e32 v21, 31, v20
	v_lshlrev_b64 v[20:21], 2, v[20:21]
	v_add_co_u32_e32 v32, vcc, s0, v20
	v_add_u32_e32 v20, s75, v86
	v_addc_co_u32_e32 v33, vcc, v89, v21, vcc
	v_ashrrev_i32_e32 v21, 31, v20
	v_lshlrev_b64 v[20:21], 2, v[20:21]
	v_readlane_b32 s79, v108, 22
	v_add_co_u32_e32 v34, vcc, s0, v20
	v_add_u32_e32 v20, s79, v86
	v_addc_co_u32_e32 v35, vcc, v89, v21, vcc
	v_ashrrev_i32_e32 v21, 31, v20
	v_lshlrev_b64 v[20:21], 2, v[20:21]
	v_add_co_u32_e32 v36, vcc, s0, v20
	v_readlane_b32 s79, v108, 23
	v_addc_co_u32_e32 v37, vcc, v89, v21, vcc
	global_load_dword v20, v[22:23], off
	global_load_dword v21, v[24:25], off
	s_nop 0
	global_load_dword v22, v[26:27], off
	global_load_dword v23, v[28:29], off
	s_nop 0
	global_load_dword v26, v[30:31], off
	global_load_dword v27, v[32:33], off
	global_load_dword v24, v[34:35], off
	global_load_dword v25, v[36:37], off
	v_add_u32_e32 v28, s79, v86
	v_ashrrev_i32_e32 v29, 31, v28
	v_readlane_b32 s79, v108, 24
	v_lshlrev_b64 v[28:29], 2, v[28:29]
	v_add_u32_e32 v30, s79, v86
	v_add_co_u32_e32 v28, vcc, s0, v28
	v_ashrrev_i32_e32 v31, 31, v30
	v_readlane_b32 s79, v108, 25
	v_addc_co_u32_e32 v29, vcc, v89, v29, vcc
	v_lshlrev_b64 v[30:31], 2, v[30:31]
	v_add_u32_e32 v32, s79, v86
	v_add_co_u32_e32 v30, vcc, s0, v30
	v_ashrrev_i32_e32 v33, 31, v32
	v_addc_co_u32_e32 v31, vcc, v89, v31, vcc
	v_lshlrev_b64 v[32:33], 2, v[32:33]
	v_add_u32_e32 v34, s80, v86
	v_add_co_u32_e32 v32, vcc, s0, v32
	v_ashrrev_i32_e32 v35, 31, v34
	;; [unrolled: 5-line block ×3, first 2 shown]
	v_addc_co_u32_e32 v35, vcc, v89, v35, vcc
	v_lshlrev_b64 v[36:37], 2, v[36:37]
	v_add_co_u32_e32 v36, vcc, s0, v36
	v_addc_co_u32_e32 v37, vcc, v89, v37, vcc
	v_add_co_u32_e32 v38, vcc, s0, v38
	v_addc_co_u32_e32 v39, vcc, v89, v39, vcc
	;; [unrolled: 2-line block ×4, first 2 shown]
	global_load_dword v28, v[28:29], off
	s_nop 0
	global_load_dword v29, v[30:31], off
	s_nop 0
	;; [unrolled: 2-line block ×6, first 2 shown]
	global_load_dword v38, v[40:41], off
	global_load_dword v39, v[42:43], off
	v_add_u32_e32 v30, s85, v86
	v_ashrrev_i32_e32 v31, 31, v30
	v_lshlrev_b64 v[30:31], 2, v[30:31]
	v_add_u32_e32 v34, s86, v86
	v_add_co_u32_e32 v30, vcc, s0, v30
	v_ashrrev_i32_e32 v35, 31, v34
	v_addc_co_u32_e32 v31, vcc, v89, v31, vcc
	v_lshlrev_b64 v[34:35], 2, v[34:35]
	v_add_u32_e32 v40, s87, v86
	v_add_co_u32_e32 v34, vcc, s0, v34
	v_ashrrev_i32_e32 v41, 31, v40
	v_addc_co_u32_e32 v35, vcc, v89, v35, vcc
	;; [unrolled: 5-line block ×3, first 2 shown]
	v_lshlrev_b64 v[42:43], 2, v[42:43]
	v_add_co_u32_e32 v42, vcc, s0, v42
	v_addc_co_u32_e32 v43, vcc, v89, v43, vcc
	v_add_co_u32_e32 v46, vcc, s0, v44
	v_add_u32_e32 v44, s90, v86
	v_addc_co_u32_e32 v47, vcc, v89, v45, vcc
	v_ashrrev_i32_e32 v45, 31, v44
	v_lshlrev_b64 v[44:45], 2, v[44:45]
	v_add_co_u32_e32 v52, vcc, s0, v44
	v_add_u32_e32 v44, s91, v86
	v_addc_co_u32_e32 v53, vcc, v89, v45, vcc
	v_ashrrev_i32_e32 v45, 31, v44
	v_lshlrev_b64 v[44:45], 2, v[44:45]
	v_add_co_u32_e32 v54, vcc, s0, v44
	v_add_u32_e32 v44, s92, v86
	v_addc_co_u32_e32 v55, vcc, v89, v45, vcc
	v_ashrrev_i32_e32 v45, 31, v44
	v_lshlrev_b64 v[44:45], 2, v[44:45]
	v_add_co_u32_e32 v56, vcc, s0, v44
	v_addc_co_u32_e32 v57, vcc, v89, v45, vcc
	global_load_dword v44, v[30:31], off
	global_load_dword v45, v[34:35], off
	;; [unrolled: 1-line block ×6, first 2 shown]
	s_nop 0
	global_load_dword v42, v[54:55], off
	global_load_dword v43, v[56:57], off
	v_add_u32_e32 v30, s93, v86
	v_ashrrev_i32_e32 v31, 31, v30
	v_lshlrev_b64 v[30:31], 2, v[30:31]
	v_add_u32_e32 v34, s94, v86
	v_add_co_u32_e32 v30, vcc, s0, v30
	v_ashrrev_i32_e32 v35, 31, v34
	v_addc_co_u32_e32 v31, vcc, v89, v31, vcc
	v_lshlrev_b64 v[34:35], 2, v[34:35]
	v_add_u32_e32 v40, s95, v86
	v_add_co_u32_e32 v34, vcc, s0, v34
	v_ashrrev_i32_e32 v41, 31, v40
	v_addc_co_u32_e32 v35, vcc, v89, v35, vcc
	;; [unrolled: 5-line block ×6, first 2 shown]
	v_lshlrev_b64 v[56:57], 2, v[56:57]
	v_add_co_u32_e32 v56, vcc, s0, v56
	v_addc_co_u32_e32 v57, vcc, v89, v57, vcc
	v_lshlrev_b64 v[58:59], 2, v[58:59]
	v_add_co_u32_e32 v58, vcc, s0, v58
	v_addc_co_u32_e32 v59, vcc, v89, v59, vcc
	global_load_dword v60, v[30:31], off
	global_load_dword v61, v[34:35], off
	;; [unrolled: 1-line block ×8, first 2 shown]
	v_add_u32_e32 v30, s28, v86
	v_ashrrev_i32_e32 v31, 31, v30
	v_lshlrev_b64 v[30:31], 2, v[30:31]
	v_add_u32_e32 v34, s29, v86
	v_add_co_u32_e32 v30, vcc, s0, v30
	v_ashrrev_i32_e32 v35, 31, v34
	v_addc_co_u32_e32 v31, vcc, v89, v31, vcc
	v_lshlrev_b64 v[34:35], 2, v[34:35]
	v_add_u32_e32 v40, s3, v86
	v_add_co_u32_e32 v34, vcc, s0, v34
	v_ashrrev_i32_e32 v41, 31, v40
	v_addc_co_u32_e32 v35, vcc, v89, v35, vcc
	v_lshlrev_b64 v[40:41], 2, v[40:41]
	v_add_u32_e32 v46, s30, v86
	v_add_co_u32_e32 v40, vcc, s0, v40
	v_ashrrev_i32_e32 v47, 31, v46
	v_addc_co_u32_e32 v41, vcc, v89, v41, vcc
	v_lshlrev_b64 v[46:47], 2, v[46:47]
	v_add_u32_e32 v52, s31, v86
	v_add_co_u32_e32 v46, vcc, s0, v46
	v_ashrrev_i32_e32 v53, 31, v52
	v_addc_co_u32_e32 v47, vcc, v89, v47, vcc
	v_lshlrev_b64 v[52:53], 2, v[52:53]
	v_add_u32_e32 v54, s26, v86
	v_add_co_u32_e32 v52, vcc, s0, v52
	v_ashrrev_i32_e32 v55, 31, v54
	v_addc_co_u32_e32 v53, vcc, v89, v53, vcc
	v_lshlrev_b64 v[54:55], 2, v[54:55]
	v_add_u32_e32 v56, s27, v86
	v_add_co_u32_e32 v54, vcc, s0, v54
	v_ashrrev_i32_e32 v57, 31, v56
	v_addc_co_u32_e32 v55, vcc, v89, v55, vcc
	v_lshlrev_b64 v[56:57], 2, v[56:57]
	v_add_u32_e32 v58, s62, v86
	v_add_co_u32_e32 v56, vcc, s0, v56
	v_ashrrev_i32_e32 v59, 31, v58
	v_addc_co_u32_e32 v57, vcc, v89, v57, vcc
	v_lshlrev_b64 v[58:59], 2, v[58:59]
	v_add_co_u32_e32 v58, vcc, s0, v58
	v_addc_co_u32_e32 v59, vcc, v89, v59, vcc
	global_load_dword v68, v[30:31], off
	global_load_dword v69, v[34:35], off
	;; [unrolled: 1-line block ×8, first 2 shown]
	v_add_u32_e32 v30, s64, v86
	v_ashrrev_i32_e32 v31, 31, v30
	v_lshlrev_b64 v[30:31], 2, v[30:31]
	v_add_u32_e32 v34, s65, v86
	v_add_co_u32_e32 v30, vcc, s0, v30
	v_ashrrev_i32_e32 v35, 31, v34
	v_addc_co_u32_e32 v31, vcc, v89, v31, vcc
	v_lshlrev_b64 v[34:35], 2, v[34:35]
	v_add_u32_e32 v40, s66, v86
	v_add_co_u32_e32 v34, vcc, s0, v34
	v_ashrrev_i32_e32 v41, 31, v40
	v_addc_co_u32_e32 v35, vcc, v89, v35, vcc
	v_lshlrev_b64 v[40:41], 2, v[40:41]
	v_add_u32_e32 v46, s68, v86
	v_add_co_u32_e32 v40, vcc, s0, v40
	v_ashrrev_i32_e32 v47, 31, v46
	v_addc_co_u32_e32 v41, vcc, v89, v41, vcc
	v_lshlrev_b64 v[46:47], 2, v[46:47]
	v_add_u32_e32 v52, s69, v86
	v_add_co_u32_e32 v46, vcc, s0, v46
	v_ashrrev_i32_e32 v53, 31, v52
	v_addc_co_u32_e32 v47, vcc, v89, v47, vcc
	v_lshlrev_b64 v[52:53], 2, v[52:53]
	v_add_u32_e32 v54, s70, v86
	v_add_co_u32_e32 v52, vcc, s0, v52
	v_ashrrev_i32_e32 v55, 31, v54
	v_addc_co_u32_e32 v53, vcc, v89, v53, vcc
	v_lshlrev_b64 v[54:55], 2, v[54:55]
	v_add_u32_e32 v56, s71, v86
	v_add_co_u32_e32 v54, vcc, s0, v54
	v_ashrrev_i32_e32 v57, 31, v56
	v_addc_co_u32_e32 v55, vcc, v89, v55, vcc
	v_lshlrev_b64 v[56:57], 2, v[56:57]
	v_add_u32_e32 v58, s72, v86
	v_add_co_u32_e32 v56, vcc, s0, v56
	v_ashrrev_i32_e32 v59, 31, v58
	v_addc_co_u32_e32 v57, vcc, v89, v57, vcc
	v_lshlrev_b64 v[58:59], 2, v[58:59]
	v_add_co_u32_e32 v58, vcc, s0, v58
	v_addc_co_u32_e32 v59, vcc, v89, v59, vcc
	global_load_dword v76, v[30:31], off
	global_load_dword v77, v[34:35], off
	;; [unrolled: 1-line block ×8, first 2 shown]
	v_add_u32_e32 v30, s73, v86
	v_ashrrev_i32_e32 v31, 31, v30
	v_lshlrev_b64 v[30:31], 2, v[30:31]
	v_add_u32_e32 v34, s74, v86
	v_add_co_u32_e32 v30, vcc, s0, v30
	v_ashrrev_i32_e32 v35, 31, v34
	v_addc_co_u32_e32 v31, vcc, v89, v31, vcc
	v_lshlrev_b64 v[34:35], 2, v[34:35]
	v_add_u32_e32 v40, s76, v86
	v_add_co_u32_e32 v34, vcc, s0, v34
	v_ashrrev_i32_e32 v41, 31, v40
	v_addc_co_u32_e32 v35, vcc, v89, v35, vcc
	;; [unrolled: 5-line block ×5, first 2 shown]
	v_lshlrev_b64 v[54:55], 2, v[54:55]
	v_add_co_u32_e32 v54, vcc, s0, v54
	v_addc_co_u32_e32 v55, vcc, v89, v55, vcc
	global_load_dword v94, v[30:31], off
	global_load_dword v95, v[34:35], off
	global_load_dword v96, v[40:41], off
	global_load_dword v97, v[46:47], off
	global_load_dword v98, v[52:53], off
	global_load_dword v99, v[54:55], off
	s_waitcnt vmcnt(55)
	ds_write_b32 v87, v18 offset:2112
	s_waitcnt vmcnt(54)
	ds_write_b32 v87, v19 offset:2376
	s_waitcnt vmcnt(53)
	ds_write_b32 v87, v20 offset:2640
	s_waitcnt vmcnt(52)
	ds_write_b32 v87, v21 offset:2904
	s_waitcnt vmcnt(51)
	ds_write_b32 v87, v22 offset:3168
	s_waitcnt vmcnt(50)
	ds_write_b32 v87, v23 offset:3432
	s_waitcnt vmcnt(49)
	ds_write_b32 v87, v26 offset:3696
	s_waitcnt vmcnt(48)
	ds_write_b32 v87, v27 offset:3960
	ds_read_b64 v[46:47], v88
	ds_read_b64 v[40:41], v88 offset:32
	ds_read_b64 v[34:35], v88 offset:64
	ds_read_b64 v[30:31], v88 offset:96
	ds_read_b64 v[26:27], v88 offset:128
	ds_read_b64 v[22:23], v88 offset:160
	ds_read_b64 v[20:21], v88 offset:192
	ds_read_b64 v[18:19], v88 offset:224
	s_waitcnt vmcnt(47)
	ds_write_b32 v87, v24
	s_waitcnt vmcnt(46)
	ds_write_b32 v87, v25 offset:264
	s_waitcnt vmcnt(45)
	ds_write_b32 v87, v28 offset:528
	s_waitcnt vmcnt(44)
	ds_write_b32 v87, v29 offset:792
	s_waitcnt vmcnt(43)
	ds_write_b32 v87, v32 offset:1056
	s_waitcnt vmcnt(42)
	ds_write_b32 v87, v33 offset:1320
	s_waitcnt vmcnt(41)
	ds_write_b32 v87, v36 offset:1584
	s_waitcnt vmcnt(40)
	ds_write_b32 v87, v37 offset:1848
	s_waitcnt vmcnt(39)
	ds_write_b32 v87, v38 offset:2112
	s_waitcnt vmcnt(38)
	ds_write_b32 v87, v39 offset:2376
	s_waitcnt vmcnt(37)
	ds_write_b32 v87, v44 offset:2640
	s_waitcnt vmcnt(36)
	ds_write_b32 v87, v45 offset:2904
	s_waitcnt vmcnt(35)
	ds_write_b32 v87, v48 offset:3168
	s_waitcnt vmcnt(34)
	ds_write_b32 v87, v49 offset:3432
	s_waitcnt vmcnt(33)
	ds_write_b32 v87, v50 offset:3696
	s_waitcnt vmcnt(32)
	ds_write_b32 v87, v51 offset:3960
	ds_read_b64 v[58:59], v88
	ds_read_b64 v[54:55], v88 offset:32
	ds_read_b64 v[50:51], v88 offset:64
	ds_read_b64 v[44:45], v88 offset:96
	ds_read_b64 v[38:39], v88 offset:128
	ds_read_b64 v[32:33], v88 offset:160
	ds_read_b64 v[28:29], v88 offset:192
	ds_read_b64 v[24:25], v88 offset:224
	s_waitcnt vmcnt(31)
	ds_write_b32 v87, v42
	s_waitcnt vmcnt(30)
	ds_write_b32 v87, v43 offset:264
	s_waitcnt vmcnt(29)
	ds_write_b32 v87, v60 offset:528
	s_waitcnt vmcnt(28)
	ds_write_b32 v87, v61 offset:792
	s_waitcnt vmcnt(27)
	ds_write_b32 v87, v62 offset:1056
	s_waitcnt vmcnt(26)
	ds_write_b32 v87, v63 offset:1320
	s_waitcnt vmcnt(25)
	ds_write_b32 v87, v64 offset:1584
	s_waitcnt vmcnt(24)
	ds_write_b32 v87, v65 offset:1848
	;; [unrolled: 40-line block ×3, first 2 shown]
	s_waitcnt vmcnt(7)
	ds_write_b32 v87, v92 offset:2112
	s_waitcnt vmcnt(6)
	ds_write_b32 v87, v93 offset:2376
	;; [unrolled: 2-line block ×8, first 2 shown]
	ds_read_b64 v[80:81], v88
	ds_read_b64 v[78:79], v88 offset:32
	ds_read_b64 v[76:77], v88 offset:64
	;; [unrolled: 1-line block ×7, first 2 shown]
	s_andn2_b64 vcc, exec, s[4:5]
	v_mov_b32_e32 v92, 0
	s_cbranch_vccnz .LBB93_9
; %bb.7:                                ;   in Loop: Header=BB93_6 Depth=1
	s_load_dword vcc_lo, s[34:35], 0x0
	v_mov_b32_e32 v92, 0
	s_waitcnt lgkmcnt(0)
	s_mul_hi_u32 vcc_hi, vcc_lo, s16
	s_add_i32 vcc_hi, vcc_lo, vcc_hi
	s_lshr_b32 s79, vcc_hi, s17
	s_cmp_ge_i32 s79, s13
	s_cbranch_scc1 .LBB93_9
; %bb.8:                                ;   in Loop: Header=BB93_6 Depth=1
	s_mul_i32 vcc_hi, s79, s18
	s_sub_i32 vcc_lo, vcc_lo, vcc_hi
	s_mul_i32 vcc_lo, vcc_lo, s1
	s_mul_i32 s79, s79, s20
	s_add_i32 s79, s79, vcc_lo
	v_add_u32_e32 v92, s79, v86
	v_ashrrev_i32_e32 v93, 31, v92
	v_lshlrev_b64 v[92:93], 2, v[92:93]
	v_mov_b32_e32 v94, s11
	v_add_co_u32_e32 v92, vcc, s10, v92
	v_addc_co_u32_e32 v93, vcc, v94, v93, vcc
	global_load_dword v92, v[92:93], off
.LBB93_9:                               ;   in Loop: Header=BB93_6 Depth=1
	s_andn2_b64 vcc, exec, s[36:37]
	v_mov_b32_e32 v93, 0
	v_mov_b32_e32 v94, 0
	s_cbranch_vccnz .LBB93_12
; %bb.10:                               ;   in Loop: Header=BB93_6 Depth=1
	s_load_dword vcc_lo, s[34:35], 0x4
	v_mov_b32_e32 v94, 0
	s_waitcnt lgkmcnt(0)
	s_mul_hi_u32 s79, vcc_lo, s16
	s_add_i32 s79, vcc_lo, s79
	s_lshr_b32 vcc_hi, s79, s17
	s_cmp_ge_i32 vcc_hi, s13
	s_cbranch_scc1 .LBB93_12
; %bb.11:                               ;   in Loop: Header=BB93_6 Depth=1
	s_mul_i32 s79, vcc_hi, s18
	s_sub_i32 s79, vcc_lo, s79
	s_mul_i32 s79, s79, s1
	s_mul_i32 vcc_lo, vcc_hi, s20
	s_add_i32 vcc_lo, vcc_lo, s79
	v_add_u32_e32 v94, vcc_lo, v86
	v_ashrrev_i32_e32 v95, 31, v94
	v_lshlrev_b64 v[94:95], 2, v[94:95]
	v_mov_b32_e32 v96, s11
	v_add_co_u32_e32 v94, vcc, s10, v94
	v_addc_co_u32_e32 v95, vcc, v96, v95, vcc
	global_load_dword v94, v[94:95], off
.LBB93_12:                              ;   in Loop: Header=BB93_6 Depth=1
	s_andn2_b64 vcc, exec, s[38:39]
	s_cbranch_vccnz .LBB93_15
; %bb.13:                               ;   in Loop: Header=BB93_6 Depth=1
	s_load_dword vcc_lo, s[34:35], 0x8
	v_mov_b32_e32 v93, 0
	s_waitcnt lgkmcnt(0)
	s_mul_hi_u32 s79, vcc_lo, s16
	s_add_i32 s79, vcc_lo, s79
	s_lshr_b32 vcc_hi, s79, s17
	s_cmp_ge_i32 vcc_hi, s13
	s_cbranch_scc1 .LBB93_15
; %bb.14:                               ;   in Loop: Header=BB93_6 Depth=1
	s_mul_i32 s79, vcc_hi, s18
	s_sub_i32 s79, vcc_lo, s79
	s_mul_i32 s79, s79, s1
	s_mul_i32 vcc_lo, vcc_hi, s20
	s_add_i32 vcc_lo, vcc_lo, s79
	v_add_u32_e32 v96, vcc_lo, v86
	v_ashrrev_i32_e32 v97, 31, v96
	v_lshlrev_b64 v[96:97], 2, v[96:97]
	v_mov_b32_e32 v93, s11
	v_add_co_u32_e32 v96, vcc, s10, v96
	v_addc_co_u32_e32 v97, vcc, v93, v97, vcc
	global_load_dword v93, v[96:97], off
.LBB93_15:                              ;   in Loop: Header=BB93_6 Depth=1
	s_andn2_b64 vcc, exec, s[40:41]
	v_mov_b32_e32 v95, 0
	v_mov_b32_e32 v96, 0
	s_cbranch_vccnz .LBB93_18
; %bb.16:                               ;   in Loop: Header=BB93_6 Depth=1
	s_load_dword vcc_lo, s[34:35], 0xc
	v_mov_b32_e32 v96, 0
	s_waitcnt lgkmcnt(0)
	s_mul_hi_u32 s79, vcc_lo, s16
	s_add_i32 s79, vcc_lo, s79
	s_lshr_b32 vcc_hi, s79, s17
	s_cmp_ge_i32 vcc_hi, s13
	s_cbranch_scc1 .LBB93_18
; %bb.17:                               ;   in Loop: Header=BB93_6 Depth=1
	s_mul_i32 s79, vcc_hi, s18
	s_sub_i32 s79, vcc_lo, s79
	s_mul_i32 s79, s79, s1
	s_mul_i32 vcc_lo, vcc_hi, s20
	s_add_i32 vcc_lo, vcc_lo, s79
	v_add_u32_e32 v96, vcc_lo, v86
	v_ashrrev_i32_e32 v97, 31, v96
	v_lshlrev_b64 v[96:97], 2, v[96:97]
	v_mov_b32_e32 v98, s11
	v_add_co_u32_e32 v96, vcc, s10, v96
	v_addc_co_u32_e32 v97, vcc, v98, v97, vcc
	global_load_dword v96, v[96:97], off
.LBB93_18:                              ;   in Loop: Header=BB93_6 Depth=1
	s_andn2_b64 vcc, exec, s[42:43]
	s_cbranch_vccnz .LBB93_21
; %bb.19:                               ;   in Loop: Header=BB93_6 Depth=1
	s_load_dword vcc_lo, s[34:35], 0x10
	v_mov_b32_e32 v95, 0
	s_waitcnt lgkmcnt(0)
	s_mul_hi_u32 s79, vcc_lo, s16
	s_add_i32 s79, vcc_lo, s79
	s_lshr_b32 vcc_hi, s79, s17
	s_cmp_ge_i32 vcc_hi, s13
	s_cbranch_scc1 .LBB93_21
; %bb.20:                               ;   in Loop: Header=BB93_6 Depth=1
	s_mul_i32 s79, vcc_hi, s18
	s_sub_i32 s79, vcc_lo, s79
	s_mul_i32 s79, s79, s1
	s_mul_i32 vcc_lo, vcc_hi, s20
	s_add_i32 vcc_lo, vcc_lo, s79
	v_add_u32_e32 v98, vcc_lo, v86
	v_ashrrev_i32_e32 v99, 31, v98
	v_lshlrev_b64 v[98:99], 2, v[98:99]
	v_mov_b32_e32 v95, s11
	v_add_co_u32_e32 v98, vcc, s10, v98
	v_addc_co_u32_e32 v99, vcc, v95, v99, vcc
	global_load_dword v95, v[98:99], off
.LBB93_21:                              ;   in Loop: Header=BB93_6 Depth=1
	;; [unrolled: 52-line block ×5, first 2 shown]
	s_andn2_b64 vcc, exec, s[56:57]
	v_mov_b32_e32 v103, 0
	v_mov_b32_e32 v104, 0
	s_cbranch_vccnz .LBB93_42
; %bb.40:                               ;   in Loop: Header=BB93_6 Depth=1
	s_load_dword vcc_lo, s[34:35], 0x2c
	v_mov_b32_e32 v104, 0
	s_waitcnt lgkmcnt(0)
	s_mul_hi_u32 s79, vcc_lo, s16
	s_add_i32 s79, vcc_lo, s79
	s_lshr_b32 vcc_hi, s79, s17
	s_cmp_ge_i32 vcc_hi, s13
	s_cbranch_scc1 .LBB93_42
; %bb.41:                               ;   in Loop: Header=BB93_6 Depth=1
	s_mul_i32 s79, vcc_hi, s18
	s_sub_i32 s79, vcc_lo, s79
	s_mul_i32 s79, s79, s1
	s_mul_i32 vcc_lo, vcc_hi, s20
	s_add_i32 vcc_lo, vcc_lo, s79
	v_add_u32_e32 v104, vcc_lo, v86
	v_ashrrev_i32_e32 v105, 31, v104
	v_lshlrev_b64 v[104:105], 2, v[104:105]
	v_mov_b32_e32 v106, s11
	v_add_co_u32_e32 v104, vcc, s10, v104
	v_addc_co_u32_e32 v105, vcc, v106, v105, vcc
	global_load_dword v104, v[104:105], off
.LBB93_42:                              ;   in Loop: Header=BB93_6 Depth=1
	s_andn2_b64 vcc, exec, s[58:59]
	s_cbranch_vccnz .LBB93_5
; %bb.43:                               ;   in Loop: Header=BB93_6 Depth=1
	s_load_dword vcc_lo, s[34:35], 0x30
	v_mov_b32_e32 v103, 0
	s_waitcnt lgkmcnt(0)
	s_mul_hi_u32 s79, vcc_lo, s16
	s_add_i32 s79, vcc_lo, s79
	s_lshr_b32 vcc_hi, s79, s17
	s_cmp_ge_i32 vcc_hi, s13
	s_cbranch_scc1 .LBB93_5
; %bb.44:                               ;   in Loop: Header=BB93_6 Depth=1
	s_mul_i32 s79, vcc_hi, s18
	s_sub_i32 s79, vcc_lo, s79
	s_mul_i32 s79, s79, s1
	s_mul_i32 vcc_lo, vcc_hi, s20
	s_add_i32 vcc_lo, vcc_lo, s79
	v_add_u32_e32 v106, vcc_lo, v86
	v_ashrrev_i32_e32 v107, 31, v106
	v_lshlrev_b64 v[106:107], 2, v[106:107]
	v_mov_b32_e32 v103, s11
	v_add_co_u32_e32 v106, vcc, s10, v106
	v_addc_co_u32_e32 v107, vcc, v103, v107, vcc
	global_load_dword v103, v[106:107], off
	s_branch .LBB93_5
.LBB93_45:
	s_or_b64 exec, exec, s[8:9]
	v_readlane_b32 s24, v108, 6
	v_readlane_b32 s26, v108, 9
	;; [unrolled: 1-line block ×5, first 2 shown]
.LBB93_46:
	v_readlane_b32 s0, v108, 4
	v_readlane_b32 s1, v108, 5
	s_or_b64 exec, exec, s[0:1]
	v_mul_u32_u24_e32 v16, 0x708, v85
	v_lshlrev_b32_e32 v17, 2, v84
	v_add3_u32 v16, 0, v16, v17
	v_and_b32_e32 v17, 0x3f0, v83
	v_add_u32_e32 v17, v16, v17
	s_lshl_b64 s[0:1], s[26:27], 2
	v_readlane_b32 s4, v108, 0
	s_barrier
	ds_write2_b32 v17, v0, v1 offset1:1
	ds_write_b32 v17, v2 offset:8
	v_or_b32_e32 v0, 12, v83
	v_readlane_b32 s5, v108, 1
	s_add_u32 s3, s4, s0
	v_and_b32_e32 v0, 0x3fc, v0
	s_addc_u32 s7, s5, s1
	v_add_u32_e32 v0, v16, v0
	ds_write_b32 v0, v3
	ds_write2_b32 v17, v8, v9 offset0:16 offset1:17
	ds_write_b32 v17, v10 offset:72
	ds_write_b32 v0, v11 offset:64
	ds_write2_b32 v17, v4, v5 offset0:32 offset1:33
	ds_write_b32 v17, v6 offset:136
	ds_write_b32 v0, v7 offset:128
	;; [unrolled: 3-line block ×3, first 2 shown]
	s_cmp_gt_i32 s14, 0
	v_add_u32_e32 v0, s6, v82
	s_cselect_b64 s[4:5], -1, 0
	v_cmp_gt_i32_e64 s[0:1], s33, v0
	v_cmp_gt_u32_e32 vcc, 13, v82
	s_and_b64 s[0:1], s[4:5], s[0:1]
	v_lshl_add_u32 v3, v83, 2, 0
	v_add_u32_e32 v2, s28, v83
	v_mul_u32_u24_e32 v4, 0x708, v82
	s_and_b64 s[8:9], vcc, s[0:1]
	s_waitcnt lgkmcnt(0)
	s_barrier
	s_and_saveexec_b64 s[0:1], s[8:9]
	s_cbranch_execz .LBB93_49
; %bb.47:
	v_ashrrev_i32_e32 v1, 31, v0
	v_lshlrev_b64 v[6:7], 2, v[0:1]
	v_mov_b32_e32 v1, s7
	v_add_co_u32_e32 v6, vcc, s3, v6
	v_addc_co_u32_e32 v7, vcc, v1, v7, vcc
	global_load_dword v1, v[6:7], off
	s_waitcnt vmcnt(0)
	v_mul_hi_u32 v5, v1, s19
	v_add_u32_e32 v5, v1, v5
	v_lshrrev_b32_e32 v5, s24, v5
	v_cmp_gt_i32_e32 vcc, s13, v5
	s_and_b64 exec, exec, vcc
	s_cbranch_execz .LBB93_49
; %bb.48:
	v_add_u32_e32 v12, v3, v4
	ds_read2st64_b32 v[6:7], v12 offset1:1
	ds_read2st64_b32 v[8:9], v12 offset0:2 offset1:3
	ds_read2st64_b32 v[10:11], v12 offset0:4 offset1:5
	ds_read_b32 v12, v12 offset:1536
	v_mul_lo_u32 v13, v5, s25
	v_sub_u32_e32 v1, v1, v13
	v_mul_lo_u32 v1, v1, s2
	s_waitcnt lgkmcnt(3)
	v_add_f32_e32 v6, 0, v6
	v_add_f32_e32 v6, v6, v7
	s_waitcnt lgkmcnt(2)
	v_add_f32_e32 v6, v6, v8
	v_add_f32_e32 v6, v6, v9
	;; [unrolled: 3-line block ×3, first 2 shown]
	v_mul_lo_u32 v5, v5, s21
	s_waitcnt lgkmcnt(0)
	v_add_f32_e32 v8, v6, v12
	v_add3_u32 v6, v2, v5, v1
	v_mov_b32_e32 v7, 0
	v_readlane_b32 s8, v108, 2
	v_lshlrev_b64 v[6:7], 2, v[6:7]
	v_readlane_b32 s9, v108, 3
	v_mov_b32_e32 v1, s9
	v_add_co_u32_e32 v6, vcc, s8, v6
	v_addc_co_u32_e32 v7, vcc, v1, v7, vcc
	global_store_dword v[6:7], v8, off
.LBB93_49:
	s_or_b64 exec, exec, s[0:1]
	v_cmp_gt_u32_e32 vcc, 6, v82
	s_and_saveexec_b64 s[0:1], vcc
	s_cbranch_execz .LBB93_53
; %bb.50:
	v_add_u32_e32 v0, 7, v0
	v_cmp_gt_i32_e32 vcc, s33, v0
	s_and_b64 s[0:1], s[4:5], vcc
	s_and_b64 exec, exec, s[0:1]
	s_cbranch_execz .LBB93_53
; %bb.51:
	s_ashr_i32 s0, s6, 31
	v_mov_b32_e32 v1, s0
	v_add_co_u32_e32 v0, vcc, s6, v82
	v_addc_co_u32_e32 v1, vcc, 0, v1, vcc
	v_lshlrev_b64 v[0:1], 2, v[0:1]
	v_mov_b32_e32 v5, s7
	v_add_co_u32_e32 v0, vcc, s3, v0
	v_addc_co_u32_e32 v1, vcc, v5, v1, vcc
	global_load_dword v0, v[0:1], off offset:28
	v_mov_b32_e32 v1, 0
	s_waitcnt vmcnt(0)
	v_mul_hi_u32 v5, v0, s19
	v_add_u32_e32 v5, v0, v5
	v_lshrrev_b32_e32 v5, s24, v5
	v_cmp_gt_i32_e32 vcc, s13, v5
	s_and_b64 exec, exec, vcc
	s_cbranch_execz .LBB93_53
; %bb.52:
	v_add_u32_e32 v3, v4, v3
	v_add_u32_e32 v4, 56, v3
	ds_read2st64_b32 v[6:7], v4 offset0:49 offset1:50
	ds_read2st64_b32 v[8:9], v4 offset0:51 offset1:52
	ds_read_b32 v3, v3 offset:14136
	ds_read2st64_b32 v[10:11], v4 offset0:53 offset1:54
	v_mul_lo_u32 v12, v5, s25
	v_sub_u32_e32 v0, v0, v12
	v_mul_lo_u32 v0, v0, s2
	s_waitcnt lgkmcnt(3)
	v_add_f32_e32 v4, 0, v6
	v_add_f32_e32 v4, v4, v7
	s_waitcnt lgkmcnt(2)
	v_add_f32_e32 v4, v4, v8
	v_add_f32_e32 v4, v4, v9
	;; [unrolled: 3-line block ×3, first 2 shown]
	v_add_f32_e32 v3, v4, v3
	v_mul_lo_u32 v4, v5, s21
	v_add3_u32 v0, v2, v4, v0
	v_readlane_b32 s0, v108, 2
	v_lshlrev_b64 v[0:1], 2, v[0:1]
	v_readlane_b32 s1, v108, 3
	v_mov_b32_e32 v2, s1
	v_add_co_u32_e32 v0, vcc, s0, v0
	v_addc_co_u32_e32 v1, vcc, v2, v1, vcc
	global_store_dword v[0:1], v3, off
.LBB93_53:
	s_endpgm
	.section	.rodata,"a",@progbits
	.p2align	6, 0x0
	.amdhsa_kernel _ZL13mul_mat_f_idsIfLi64ELi13ELi7EEvPKT_PKfPKiS6_S6_Pfiiiiiiiiiiiiii15HIP_vector_typeIjLj3EES9_
		.amdhsa_group_segment_fixed_size 0
		.amdhsa_private_segment_fixed_size 0
		.amdhsa_kernarg_size 128
		.amdhsa_user_sgpr_count 6
		.amdhsa_user_sgpr_private_segment_buffer 1
		.amdhsa_user_sgpr_dispatch_ptr 0
		.amdhsa_user_sgpr_queue_ptr 0
		.amdhsa_user_sgpr_kernarg_segment_ptr 1
		.amdhsa_user_sgpr_dispatch_id 0
		.amdhsa_user_sgpr_flat_scratch_init 0
		.amdhsa_user_sgpr_kernarg_preload_length 0
		.amdhsa_user_sgpr_kernarg_preload_offset 0
		.amdhsa_user_sgpr_private_segment_size 0
		.amdhsa_uses_dynamic_stack 0
		.amdhsa_system_sgpr_private_segment_wavefront_offset 0
		.amdhsa_system_sgpr_workgroup_id_x 1
		.amdhsa_system_sgpr_workgroup_id_y 1
		.amdhsa_system_sgpr_workgroup_id_z 1
		.amdhsa_system_sgpr_workgroup_info 0
		.amdhsa_system_vgpr_workitem_id 1
		.amdhsa_next_free_vgpr 109
		.amdhsa_next_free_sgpr 96
		.amdhsa_accum_offset 112
		.amdhsa_reserve_vcc 1
		.amdhsa_reserve_flat_scratch 0
		.amdhsa_float_round_mode_32 0
		.amdhsa_float_round_mode_16_64 0
		.amdhsa_float_denorm_mode_32 3
		.amdhsa_float_denorm_mode_16_64 3
		.amdhsa_dx10_clamp 1
		.amdhsa_ieee_mode 1
		.amdhsa_fp16_overflow 0
		.amdhsa_tg_split 0
		.amdhsa_exception_fp_ieee_invalid_op 0
		.amdhsa_exception_fp_denorm_src 0
		.amdhsa_exception_fp_ieee_div_zero 0
		.amdhsa_exception_fp_ieee_overflow 0
		.amdhsa_exception_fp_ieee_underflow 0
		.amdhsa_exception_fp_ieee_inexact 0
		.amdhsa_exception_int_div_zero 0
	.end_amdhsa_kernel
	.section	.text._ZL13mul_mat_f_idsIfLi64ELi13ELi7EEvPKT_PKfPKiS6_S6_Pfiiiiiiiiiiiiii15HIP_vector_typeIjLj3EES9_,"axG",@progbits,_ZL13mul_mat_f_idsIfLi64ELi13ELi7EEvPKT_PKfPKiS6_S6_Pfiiiiiiiiiiiiii15HIP_vector_typeIjLj3EES9_,comdat
.Lfunc_end93:
	.size	_ZL13mul_mat_f_idsIfLi64ELi13ELi7EEvPKT_PKfPKiS6_S6_Pfiiiiiiiiiiiiii15HIP_vector_typeIjLj3EES9_, .Lfunc_end93-_ZL13mul_mat_f_idsIfLi64ELi13ELi7EEvPKT_PKfPKiS6_S6_Pfiiiiiiiiiiiiii15HIP_vector_typeIjLj3EES9_
                                        ; -- End function
	.section	.AMDGPU.csdata,"",@progbits
; Kernel info:
; codeLenInByte = 7224
; NumSgprs: 100
; NumVgprs: 109
; NumAgprs: 0
; TotalNumVgprs: 109
; ScratchSize: 0
; MemoryBound: 0
; FloatMode: 240
; IeeeMode: 1
; LDSByteSize: 0 bytes/workgroup (compile time only)
; SGPRBlocks: 12
; VGPRBlocks: 13
; NumSGPRsForWavesPerEU: 100
; NumVGPRsForWavesPerEU: 109
; AccumOffset: 112
; Occupancy: 4
; WaveLimiterHint : 1
; COMPUTE_PGM_RSRC2:SCRATCH_EN: 0
; COMPUTE_PGM_RSRC2:USER_SGPR: 6
; COMPUTE_PGM_RSRC2:TRAP_HANDLER: 0
; COMPUTE_PGM_RSRC2:TGID_X_EN: 1
; COMPUTE_PGM_RSRC2:TGID_Y_EN: 1
; COMPUTE_PGM_RSRC2:TGID_Z_EN: 1
; COMPUTE_PGM_RSRC2:TIDIG_COMP_CNT: 1
; COMPUTE_PGM_RSRC3_GFX90A:ACCUM_OFFSET: 27
; COMPUTE_PGM_RSRC3_GFX90A:TG_SPLIT: 0
	.section	.text._ZL9mul_mat_fIfLi64ELi13ELi7ELb1EEvPKT_PKfPKiPfiiiiiiiiiiiiiiii,"axG",@progbits,_ZL9mul_mat_fIfLi64ELi13ELi7ELb1EEvPKT_PKfPKiPfiiiiiiiiiiiiiiii,comdat
	.globl	_ZL9mul_mat_fIfLi64ELi13ELi7ELb1EEvPKT_PKfPKiPfiiiiiiiiiiiiiiii ; -- Begin function _ZL9mul_mat_fIfLi64ELi13ELi7ELb1EEvPKT_PKfPKiPfiiiiiiiiiiiiiiii
	.p2align	8
	.type	_ZL9mul_mat_fIfLi64ELi13ELi7ELb1EEvPKT_PKfPKiPfiiiiiiiiiiiiiiii,@function
_ZL9mul_mat_fIfLi64ELi13ELi7ELb1EEvPKT_PKfPKiPfiiiiiiiiiiiiiiii: ; @_ZL9mul_mat_fIfLi64ELi13ELi7ELb1EEvPKT_PKfPKiPfiiiiiiiiiiiiiiii
; %bb.0:
	s_load_dwordx8 s[16:23], s[4:5], 0x20
	v_and_b32_e32 v16, 0x3ff, v0
	v_bfe_u32 v17, v0, 10, 10
	v_cmp_eq_u32_e32 vcc, 0, v16
	s_waitcnt lgkmcnt(0)
	s_add_i32 s0, s17, 12
	s_mul_hi_i32 s0, s0, 0x4ec4ec4f
	s_lshr_b32 s1, s0, 31
	s_ashr_i32 s0, s0, 2
	s_add_i32 s0, s0, s1
	v_cvt_f32_u32_e32 v1, s0
	s_load_dwordx4 s[24:27], s[4:5], 0x44
	s_load_dword s1, s[4:5], 0x64
	s_add_u32 s34, s4, 0x60
	s_addc_u32 s35, s5, 0
	v_rcp_iflag_f32_e32 v1, v1
	s_sub_i32 s2, 0, s0
	v_mul_f32_e32 v1, 0x4f7ffffe, v1
	v_cvt_u32_f32_e32 v1, v1
	v_readfirstlane_b32 s3, v1
	s_mul_i32 s2, s2, s3
	s_mul_hi_u32 s2, s3, s2
	s_add_i32 s3, s3, s2
	s_waitcnt lgkmcnt(0)
	s_mul_hi_u32 s2, s1, s3
	s_mul_i32 s3, s2, s0
	s_sub_i32 s1, s1, s3
	s_add_i32 s9, s2, 1
	s_sub_i32 s3, s1, s0
	s_cmp_ge_u32 s1, s0
	s_cselect_b32 s2, s9, s2
	s_cselect_b32 s1, s3, s1
	s_add_i32 s3, s2, 1
	s_cmp_ge_u32 s1, s0
	s_cselect_b32 s10, s3, s2
	v_cvt_f32_u32_e32 v1, s10
	s_abs_i32 s39, s27
	v_cvt_f32_u32_e32 v2, s39
	s_load_dwordx2 s[0:1], s[4:5], 0x10
	v_rcp_iflag_f32_e32 v1, v1
	s_sub_i32 s2, 0, s10
	v_rcp_iflag_f32_e32 v2, v2
	s_sub_i32 s38, 0, s39
	v_mul_f32_e32 v1, 0x4f7ffffe, v1
	v_cvt_u32_f32_e32 v1, v1
	v_mul_f32_e32 v2, 0x4f7ffffe, v2
	v_cvt_u32_f32_e32 v2, v2
	v_readfirstlane_b32 s3, v1
	s_mul_i32 s2, s2, s3
	s_mul_hi_u32 s2, s3, s2
	s_add_i32 s3, s3, s2
	v_readfirstlane_b32 s9, v2
	s_mul_hi_u32 s11, s7, s3
	s_and_saveexec_b64 s[2:3], vcc
	s_cbranch_execz .LBB94_2
; %bb.1:
	v_mov_b32_e32 v1, 0x100
	v_lshl_add_u32 v1, v17, 2, v1
	v_mov_b32_e32 v2, -1
	ds_write_b32 v1, v2
.LBB94_2:
	s_or_b64 exec, exec, s[2:3]
	s_mul_i32 s2, s11, s10
	s_sub_i32 s2, s7, s2
	s_add_i32 s3, s11, 1
	s_sub_i32 s12, s2, s10
	s_cmp_ge_u32 s2, s10
	s_cselect_b32 s3, s3, s11
	s_cselect_b32 s2, s12, s2
	s_add_i32 s11, s3, 1
	s_cmp_ge_u32 s2, s10
	s_cselect_b32 s2, s11, s3
	s_mul_i32 s3, s2, s10
	s_mul_i32 s50, s2, 13
	s_sub_i32 s7, s7, s3
	s_mul_hi_i32 s3, s50, s23
	s_mul_i32 s2, s50, s23
	s_lshl_b64 s[2:3], s[2:3], 2
	s_waitcnt lgkmcnt(0)
	s_add_u32 s33, s0, s2
	v_add_u32_e32 v1, s50, v17
	s_mul_i32 s38, s38, s9
	s_addc_u32 s1, s1, s3
	v_cmp_gt_i32_e64 s[10:11], s18, v16
	v_cmp_gt_i32_e64 s[40:41], s17, v1
	v_mov_b32_e32 v1, 0
	s_and_saveexec_b64 s[14:15], s[40:41]
	s_cbranch_execz .LBB94_10
; %bb.3:
	v_mov_b32_e32 v1, 0
	s_and_saveexec_b64 s[28:29], s[10:11]
	s_cbranch_execz .LBB94_9
; %bb.4:
	v_mul_lo_u32 v2, v17, s23
	v_ashrrev_i32_e32 v3, 31, v2
	v_lshlrev_b64 v[2:3], 2, v[2:3]
	v_mov_b32_e32 v1, s1
	v_add_co_u32_e64 v4, s[2:3], s33, v2
	v_addc_co_u32_e64 v5, s[2:3], v1, v3, s[2:3]
	v_mov_b32_e32 v1, 0x100
	v_lshl_add_u32 v6, v17, 2, v1
	v_mul_lo_u32 v2, v16, s22
	s_lshl_b32 s0, s22, 6
	s_mov_b64 s[30:31], 0
	v_mov_b32_e32 v1, 0
	v_mov_b32_e32 v7, v16
	s_branch .LBB94_6
.LBB94_5:                               ;   in Loop: Header=BB94_6 Depth=1
	s_or_b64 exec, exec, s[36:37]
	v_add_u32_e32 v7, 64, v7
	v_cmp_le_i32_e64 s[12:13], s18, v7
	s_xor_b64 s[2:3], s[2:3], -1
	s_or_b64 s[2:3], s[2:3], s[12:13]
	s_and_b64 s[2:3], exec, s[2:3]
	s_or_b64 s[30:31], s[2:3], s[30:31]
	v_add_u32_e32 v2, s0, v2
	s_andn2_b64 exec, exec, s[30:31]
	s_cbranch_execz .LBB94_8
.LBB94_6:                               ; =>This Inner Loop Header: Depth=1
	v_ashrrev_i32_e32 v3, 31, v2
	v_lshlrev_b64 v[8:9], 2, v[2:3]
	v_add_co_u32_e64 v8, s[2:3], v4, v8
	v_addc_co_u32_e64 v9, s[2:3], v5, v9, s[2:3]
	global_load_dword v3, v[8:9], off
	s_waitcnt vmcnt(0)
	v_cmp_ne_u32_e64 s[2:3], s7, v3
	v_cmp_eq_u32_e64 s[12:13], s7, v3
	s_and_saveexec_b64 s[36:37], s[12:13]
	s_cbranch_execz .LBB94_5
; %bb.7:                                ;   in Loop: Header=BB94_6 Depth=1
	v_mov_b32_e32 v1, 1
	ds_write_b32 v6, v7
	s_branch .LBB94_5
.LBB94_8:
	s_or_b64 exec, exec, s[30:31]
.LBB94_9:
	s_or_b64 exec, exec, s[28:29]
.LBB94_10:
	s_or_b64 exec, exec, s[14:15]
	s_mul_hi_u32 s12, s9, s38
	s_and_saveexec_b64 s[2:3], vcc
	s_cbranch_execz .LBB94_12
; %bb.11:
	v_mov_b32_e32 v2, 0x100
	v_lshl_add_u32 v2, v17, 2, v2
	v_mov_b32_e32 v3, -1
	ds_write_b32 v2, v3 offset:28
.LBB94_12:
	s_or_b64 exec, exec, s[2:3]
	s_load_dwordx4 s[44:47], s[4:5], 0x54
	v_add_u32_e32 v84, 7, v17
	s_abs_i32 s0, s8
	s_add_i32 s9, s9, s12
	v_add_u32_e32 v2, s50, v84
	v_cmp_gt_i32_e64 s[2:3], s17, v2
	s_mov_b64 s[28:29], exec
                                        ; implicit-def: $vgpr102 : SGPR spill to VGPR lane
	v_writelane_b32 v102, s2, 0
	v_writelane_b32 v102, s3, 1
	s_and_b64 s[2:3], s[28:29], s[2:3]
	s_mov_b64 exec, s[2:3]
	s_cbranch_execz .LBB94_20
; %bb.13:
	s_and_saveexec_b64 s[30:31], s[10:11]
	s_cbranch_execz .LBB94_19
; %bb.14:
	v_mul_lo_u32 v2, v84, s23
	v_ashrrev_i32_e32 v3, 31, v2
	v_lshlrev_b64 v[2:3], 2, v[2:3]
	v_mov_b32_e32 v5, s1
	v_add_co_u32_e32 v4, vcc, s33, v2
	v_mov_b32_e32 v2, 0x100
	v_addc_co_u32_e32 v5, vcc, v5, v3, vcc
	v_lshl_add_u32 v6, v17, 2, v2
	v_mul_lo_u32 v2, v16, s22
	s_lshl_b32 s1, s22, 6
	s_mov_b64 s[22:23], 0
	v_mov_b32_e32 v7, v16
	s_branch .LBB94_16
.LBB94_15:                              ;   in Loop: Header=BB94_16 Depth=1
	s_or_b64 exec, exec, s[36:37]
	v_add_u32_e32 v7, 64, v7
	v_cmp_le_i32_e64 s[10:11], s18, v7
	s_xor_b64 s[2:3], vcc, -1
	s_or_b64 s[2:3], s[2:3], s[10:11]
	s_and_b64 s[2:3], exec, s[2:3]
	s_or_b64 s[22:23], s[2:3], s[22:23]
	v_add_u32_e32 v2, s1, v2
	s_andn2_b64 exec, exec, s[22:23]
	s_cbranch_execz .LBB94_18
.LBB94_16:                              ; =>This Inner Loop Header: Depth=1
	v_ashrrev_i32_e32 v3, 31, v2
	v_lshlrev_b64 v[8:9], 2, v[2:3]
	v_add_co_u32_e32 v8, vcc, v4, v8
	v_addc_co_u32_e32 v9, vcc, v5, v9, vcc
	global_load_dword v3, v[8:9], off
	s_waitcnt vmcnt(0)
	v_cmp_ne_u32_e32 vcc, s7, v3
	v_cmp_eq_u32_e64 s[10:11], s7, v3
	s_and_saveexec_b64 s[36:37], s[10:11]
	s_cbranch_execz .LBB94_15
; %bb.17:                               ;   in Loop: Header=BB94_16 Depth=1
	v_mov_b32_e32 v1, 1
	ds_write_b32 v6, v7 offset:28
	s_branch .LBB94_15
.LBB94_18:
	s_or_b64 exec, exec, s[22:23]
.LBB94_19:
	s_or_b64 exec, exec, s[30:31]
.LBB94_20:
	s_or_b64 exec, exec, s[28:29]
	s_load_dwordx2 s[2:3], s[34:35], 0xc
	s_load_dwordx4 s[28:31], s[4:5], 0x0
	s_load_dwordx2 s[10:11], s[4:5], 0x18
	v_cmp_ne_u32_e32 vcc, 0, v1
	v_cndmask_b32_e64 v1, 0, 1, vcc
                                        ; kill: killed $sgpr4 killed $sgpr5
	s_waitcnt lgkmcnt(0)
	s_and_b32 s5, s3, 0xffff
	s_lshr_b32 s4, s2, 16
	v_or_b32_dpp v1, v1, v1 row_shl:1 row_mask:0xf bank_mask:0xf bound_ctrl:1
	s_and_b32 s3, s2, 0xffff
	s_mul_i32 s2, s4, s3
	v_or_b32_dpp v1, v1, v1 row_shl:2 row_mask:0xf bank_mask:0xf bound_ctrl:1
	s_bfe_i32 s2, s2, 0x180000
	s_mul_i32 s2, s2, s5
	v_or_b32_dpp v1, v1, v1 row_shl:4 row_mask:0xf bank_mask:0xf bound_ctrl:1
	s_add_i32 s5, s2, 63
	s_bitcmp1_b32 exec_hi, 0
	v_or_b32_dpp v1, v1, v1 row_shl:8 row_mask:0xf bank_mask:0xf bound_ctrl:1
	s_mul_hi_u32 s1, s0, s9
	v_writelane_b32 v102, s10, 2
	v_mov_b32_dpp v2, v1 wave_shl:1 row_mask:0xf bank_mask:0xf bound_ctrl:1
	v_writelane_b32 v102, s11, 3
                                        ; kill: killed $sgpr34 killed $sgpr35
	s_nop 0
	v_or_b32_dpp v1, v2, v1 row_mirror row_mask:0xf bank_mask:0xf bound_ctrl:1
	v_readlane_b32 s2, v1, 32
	s_cselect_b32 s2, s2, 0
	v_readlane_b32 s9, v1, 0
	s_or_b32 s2, s2, s9
	s_andn2_b32 s5, s5, 63
	s_cmp_lg_u32 s5, 64
	v_mov_b32_e32 v1, s2
	s_cbranch_scc0 .LBB94_27
; %bb.21:
	v_bfe_u32 v0, v0, 20, 10
	v_mbcnt_lo_u32_b32 v1, -1, 0
	v_mad_u32_u24 v0, v0, s4, v17
	v_mbcnt_hi_u32_b32 v2, -1, v1
	v_mad_u64_u32 v[0:1], s[4:5], v0, s3, v[16:17]
	v_lshrrev_b32_e32 v1, 6, v0
	v_or_b32_e32 v1, v2, v1
	v_cmp_eq_u32_e32 vcc, 0, v1
	s_and_saveexec_b64 s[4:5], vcc
	s_cbranch_execz .LBB94_23
; %bb.22:
	v_mov_b32_e32 v1, 0
	v_mov_b32_e32 v3, s2
	ds_write_b32 v1, v3
.LBB94_23:
	s_or_b64 exec, exec, s[4:5]
	v_cmp_eq_u32_e32 vcc, 0, v2
	v_cmp_lt_u32_e64 s[4:5], 63, v0
	s_and_b64 s[10:11], s[4:5], vcc
	s_waitcnt lgkmcnt(0)
	s_barrier
	s_and_saveexec_b64 s[4:5], s[10:11]
	s_cbranch_execz .LBB94_26
; %bb.24:
	v_mbcnt_lo_u32_b32 v0, exec_lo, 0
	v_mbcnt_hi_u32_b32 v0, exec_hi, v0
	v_cmp_eq_u32_e32 vcc, 0, v0
	s_and_b64 exec, exec, vcc
	s_cbranch_execz .LBB94_26
; %bb.25:
	v_mov_b32_e32 v0, 0
	v_mov_b32_e32 v1, s2
	ds_or_b32 v0, v1
.LBB94_26:
	s_or_b64 exec, exec, s[4:5]
	v_mov_b32_e32 v0, 0
	s_waitcnt lgkmcnt(0)
	s_barrier
	ds_read_b32 v1, v0
	s_waitcnt lgkmcnt(0)
	s_barrier
.LBB94_27:
	v_cmp_ne_u32_e32 vcc, 0, v1
	s_ashr_i32 s2, s8, 31
	s_ashr_i32 s3, s27, 31
	s_cbranch_vccz .LBB94_93
; %bb.28:
	v_lshlrev_b32_e32 v85, 6, v17
	v_add_u32_e32 v87, v85, v16
	v_cmp_le_i32_e32 vcc, s16, v87
	v_and_b32_e32 v86, 15, v16
                                        ; implicit-def: $sgpr9
	s_and_saveexec_b64 s[4:5], vcc
	s_xor_b64 s[4:5], exec, s[4:5]
; %bb.29:
	v_and_b32_e32 v86, 15, v16
	s_mov_b32 s9, 0
                                        ; implicit-def: $vgpr87
; %bb.30:
	s_or_saveexec_b64 s[4:5], s[4:5]
	s_lshl_b32 s6, s6, 6
	v_mov_b32_e32 v11, s9
	v_mov_b32_e32 v10, s9
	;; [unrolled: 1-line block ×16, first 2 shown]
	v_writelane_b32 v102, s4, 4
	v_writelane_b32 v102, s5, 5
	s_xor_b64 exec, exec, s[4:5]
	s_cbranch_execz .LBB94_86
; %bb.31:
	s_xor_b32 s2, s2, s3
	s_mul_i32 s3, s1, s39
	s_sub_i32 s0, s0, s3
	s_add_i32 s3, s1, 1
	s_sub_i32 s4, s0, s39
	s_cmp_ge_u32 s0, s39
	s_cselect_b32 s1, s3, s1
	s_cselect_b32 s0, s4, s0
	s_add_i32 s3, s1, 1
	s_cmp_ge_u32 s0, s39
	s_cselect_b32 s0, s3, s1
	s_xor_b32 s0, s0, s2
	s_sub_i32 s0, s0, s2
	s_mul_hi_i32 s1, s0, s44
	s_mul_i32 s0, s0, s44
	s_mul_i32 s2, s7, s24
	v_writelane_b32 v102, s40, 6
	s_ashr_i32 s3, s2, 31
	s_lshl_b64 s[0:1], s[0:1], 2
	v_writelane_b32 v102, s41, 7
	s_add_u32 s5, s28, s0
	v_writelane_b32 v102, s6, 8
	s_mul_i32 s4, s6, s19
	s_addc_u32 s6, s29, s1
	s_lshl_b64 s[2:3], s[2:3], 2
	s_add_u32 s7, s5, s2
	s_addc_u32 s6, s6, s3
	s_ashr_i32 s5, s4, 31
	s_lshl_b64 s[4:5], s[4:5], 2
	s_add_u32 s24, s7, s4
	s_addc_u32 s10, s6, s5
	s_movk_i32 s6, 0x1080
	v_mov_b32_e32 v88, 0x100
	v_writelane_b32 v102, s8, 9
	v_mad_u32_u24 v0, v17, s6, v88
	s_mul_hi_i32 s7, s45, s8
	v_writelane_b32 v102, s44, 10
	s_mul_i32 s6, s45, s8
	s_lshl_b64 s[6:7], s[6:7], 2
	s_mul_hi_i32 s9, s50, s20
	s_mul_i32 s8, s50, s20
	s_add_u32 s11, s30, s6
	s_addc_u32 s12, s31, s7
	s_lshl_b64 s[6:7], s[8:9], 2
	s_add_u32 s27, s11, s6
	s_addc_u32 s33, s12, s7
	s_cmp_lt_i32 s50, s17
	s_cselect_b64 s[6:7], -1, 0
	s_add_i32 s8, s50, 1
	s_cmp_lt_i32 s8, s17
	v_writelane_b32 v102, s45, 11
	s_cselect_b64 s[12:13], -1, 0
	s_add_i32 s8, s50, 2
	v_writelane_b32 v102, s46, 12
	s_cmp_lt_i32 s8, s17
	v_writelane_b32 v102, s47, 13
	s_cselect_b64 s[22:23], -1, 0
	s_lshl_b32 s8, s20, 1
	v_writelane_b32 v102, s8, 14
	s_add_i32 s8, s50, 3
	s_cmp_lt_i32 s8, s17
	s_cselect_b64 s[30:31], -1, 0
	s_add_i32 s8, s50, 4
	s_cmp_lt_i32 s8, s17
	s_cselect_b64 s[34:35], -1, 0
	s_lshl_b32 s8, s20, 2
	v_writelane_b32 v102, s8, 15
	s_add_i32 s8, s50, 5
	s_cmp_lt_i32 s8, s17
	s_cselect_b64 s[36:37], -1, 0
	s_add_i32 s8, s50, 6
	s_cmp_lt_i32 s8, s17
	s_cselect_b64 s[38:39], -1, 0
	;; [unrolled: 3-line block ×4, first 2 shown]
	s_lshl_b32 s8, s20, 3
	v_writelane_b32 v102, s8, 16
	s_add_i32 s8, s50, 9
	s_cmp_lt_i32 s8, s17
	s_cselect_b64 s[44:45], -1, 0
	s_add_i32 s8, s50, 10
	s_cmp_lt_i32 s8, s17
	s_cselect_b64 s[46:47], -1, 0
	;; [unrolled: 3-line block ×3, first 2 shown]
	s_add_i32 s8, s50, 12
	s_cmp_lt_i32 s8, s17
	v_writelane_b32 v102, s50, 17
	s_cselect_b64 s[50:51], -1, 0
	s_ashr_i32 s9, s19, 31
	s_mov_b32 s8, s19
	s_lshl_b64 s[52:53], s[8:9], 2
	s_add_u32 s0, s0, s4
	s_addc_u32 s1, s1, s5
	v_lshrrev_b32_e32 v2, 1, v16
	s_add_u32 s0, s0, s2
	v_mul_u32_u24_e32 v1, 0x108, v86
	v_and_b32_e32 v2, 0x1f8, v2
	s_addc_u32 s1, s1, s3
	v_lshl_add_u32 v89, v16, 2, v0
	v_add3_u32 v90, v0, v1, v2
	v_lshlrev_b32_e32 v0, 2, v87
	s_add_u32 s0, s28, s0
	v_add_co_u32_e32 v18, vcc, s0, v0
	s_mul_i32 s0, s19, 3
	v_writelane_b32 v102, s0, 18
	s_mul_i32 s0, s19, 5
	s_addc_u32 s1, s29, s1
	v_writelane_b32 v102, s0, 19
	s_mul_i32 s0, s19, 6
	v_mov_b32_e32 v1, s1
	v_writelane_b32 v102, s0, 20
	s_mul_i32 s0, s19, 7
	v_mov_b32_e32 v12, 0
	v_mov_b32_e32 v91, 0
	v_addc_co_u32_e32 v19, vcc, 0, v1, vcc
	s_lshl_b32 s28, s19, 1
	s_lshl_b32 s64, s19, 2
	v_writelane_b32 v102, s0, 21
	s_lshl_b32 s68, s19, 3
	s_mul_i32 s69, s19, 9
	s_mul_i32 s70, s19, 10
	;; [unrolled: 1-line block ×7, first 2 shown]
	s_lshl_b32 s76, s19, 4
	s_mul_i32 s77, s19, 17
	s_mul_i32 s78, s19, 18
	;; [unrolled: 1-line block ×9, first 2 shown]
	v_mov_b32_e32 v92, s10
	s_mul_i32 s86, s19, 26
	v_mov_b32_e32 v93, s53
	v_mov_b32_e32 v13, v12
	;; [unrolled: 1-line block ×16, first 2 shown]
	s_mul_i32 s53, s19, 27
	s_mul_i32 s87, s19, 28
	;; [unrolled: 1-line block ×5, first 2 shown]
	s_lshl_b32 s91, s19, 5
	s_mul_i32 s92, s19, 33
	s_mul_i32 s93, s19, 34
	;; [unrolled: 1-line block ×31, first 2 shown]
	s_mov_b64 s[18:19], 0
	s_branch .LBB94_34
.LBB94_32:                              ;   in Loop: Header=BB94_34 Depth=1
	v_mul_lo_u32 v94, v94, s25
	s_mul_i32 vcc_lo, s20, 12
	v_add_u32_e32 v94, vcc_lo, v94
	v_add_u32_e32 v94, v94, v87
	v_ashrrev_i32_e32 v95, 31, v94
	v_lshlrev_b64 v[94:95], 2, v[94:95]
	v_mov_b32_e32 v96, s33
	v_add_co_u32_e32 v94, vcc, s27, v94
	v_addc_co_u32_e32 v95, vcc, v96, v95, vcc
	global_load_dword v94, v[94:95], off
.LBB94_33:                              ;   in Loop: Header=BB94_34 Depth=1
	v_add_u32_e32 v95, 0xc00, v89
	s_waitcnt vmcnt(0)
	ds_write2_b32 v95, v94, v91 offset0:40 offset1:106
	ds_write2_b32 v95, v91, v91 offset0:172 offset1:238
	ds_read2_b64 v[94:97], v90 offset0:8 offset1:12
	v_add_co_u32_e32 v18, vcc, 0x700, v18
	v_add_u32_e32 v87, 0x1c0, v87
	v_addc_co_u32_e32 v19, vcc, 0, v19, vcc
	s_waitcnt lgkmcnt(0)
	v_mfma_f32_16x16x4f32 v[8:11], v48, v94, v[8:11]
	v_cmp_le_i32_e32 vcc, s16, v87
	s_or_b64 s[18:19], vcc, s[18:19]
	v_mfma_f32_16x16x4f32 v[4:7], v60, v94, v[4:7]
	v_mfma_f32_16x16x4f32 v[0:3], v66, v94, v[0:3]
	;; [unrolled: 1-line block ×14, first 2 shown]
	ds_read2_b64 v[64:67], v90 offset0:16 offset1:20
	v_mfma_f32_16x16x4f32 v[12:15], v81, v97, v[12:15]
	s_waitcnt lgkmcnt(0)
	v_mfma_f32_16x16x4f32 v[8:11], v36, v64, v[8:11]
	v_mfma_f32_16x16x4f32 v[4:7], v52, v64, v[4:7]
	;; [unrolled: 1-line block ×14, first 2 shown]
	ds_read2_b64 v[46:49], v90 offset0:24 offset1:28
	v_mfma_f32_16x16x4f32 v[0:3], v59, v67, v[0:3]
	v_mfma_f32_16x16x4f32 v[12:15], v77, v67, v[12:15]
	s_waitcnt lgkmcnt(0)
	v_mfma_f32_16x16x4f32 v[8:11], v28, v46, v[8:11]
	v_mfma_f32_16x16x4f32 v[4:7], v40, v46, v[4:7]
	;; [unrolled: 1-line block ×14, first 2 shown]
	ds_read2_b64 v[32:35], v90 offset0:32 offset1:36
	v_mfma_f32_16x16x4f32 v[0:3], v51, v49, v[0:3]
	v_mfma_f32_16x16x4f32 v[12:15], v73, v49, v[12:15]
	s_waitcnt lgkmcnt(0)
	v_mfma_f32_16x16x4f32 v[8:11], v22, v32, v[8:11]
	v_mfma_f32_16x16x4f32 v[4:7], v30, v32, v[4:7]
	;; [unrolled: 1-line block ×16, first 2 shown]
	s_andn2_b64 exec, exec, s[18:19]
	s_cbranch_execz .LBB94_85
.LBB94_34:                              ; =>This Inner Loop Header: Depth=1
	v_add_co_u32_e32 v20, vcc, s52, v18
	v_addc_co_u32_e32 v21, vcc, v19, v93, vcc
	global_load_dword v32, v[18:19], off
	global_load_dword v33, v[20:21], off
	v_add_u32_e32 v20, s28, v87
	v_ashrrev_i32_e32 v21, 31, v20
	v_lshlrev_b64 v[20:21], 2, v[20:21]
	v_add_co_u32_e32 v20, vcc, s24, v20
	v_addc_co_u32_e32 v21, vcc, v92, v21, vcc
	v_readlane_b32 vcc_lo, v102, 18
	v_add_u32_e32 v22, vcc_lo, v87
	v_ashrrev_i32_e32 v23, 31, v22
	v_lshlrev_b64 v[22:23], 2, v[22:23]
	v_add_u32_e32 v24, s64, v87
	v_add_co_u32_e32 v22, vcc, s24, v22
	v_ashrrev_i32_e32 v25, 31, v24
	v_addc_co_u32_e32 v23, vcc, v92, v23, vcc
	v_lshlrev_b64 v[24:25], 2, v[24:25]
	v_add_co_u32_e32 v24, vcc, s24, v24
	v_addc_co_u32_e32 v25, vcc, v92, v25, vcc
	v_readlane_b32 vcc_lo, v102, 19
	v_add_u32_e32 v26, vcc_lo, v87
	v_ashrrev_i32_e32 v27, 31, v26
	v_lshlrev_b64 v[26:27], 2, v[26:27]
	v_add_co_u32_e32 v26, vcc, s24, v26
	v_addc_co_u32_e32 v27, vcc, v92, v27, vcc
	v_readlane_b32 vcc_lo, v102, 20
	v_add_u32_e32 v28, vcc_lo, v87
	v_ashrrev_i32_e32 v29, 31, v28
	;; [unrolled: 6-line block ×3, first 2 shown]
	v_lshlrev_b64 v[30:31], 2, v[30:31]
	v_add_co_u32_e32 v30, vcc, s24, v30
	v_addc_co_u32_e32 v31, vcc, v92, v31, vcc
	global_load_dword v34, v[20:21], off
	global_load_dword v35, v[22:23], off
	;; [unrolled: 1-line block ×3, first 2 shown]
	s_nop 0
	global_load_dword v26, v[26:27], off
	s_nop 0
	global_load_dword v27, v[28:29], off
	;; [unrolled: 2-line block ×3, first 2 shown]
	v_add_u32_e32 v20, s68, v87
	v_ashrrev_i32_e32 v21, 31, v20
	v_add_u32_e32 v22, s69, v87
	v_lshlrev_b64 v[20:21], 2, v[20:21]
	v_ashrrev_i32_e32 v23, 31, v22
	v_add_co_u32_e32 v20, vcc, s24, v20
	v_add_u32_e32 v24, s70, v87
	v_lshlrev_b64 v[22:23], 2, v[22:23]
	v_addc_co_u32_e32 v21, vcc, v92, v21, vcc
	v_ashrrev_i32_e32 v25, 31, v24
	v_add_co_u32_e32 v22, vcc, s24, v22
	v_lshlrev_b64 v[24:25], 2, v[24:25]
	v_addc_co_u32_e32 v23, vcc, v92, v23, vcc
	global_load_dword v20, v[20:21], off
	s_nop 0
	global_load_dword v21, v[22:23], off
	v_add_u32_e32 v22, s71, v87
	v_add_co_u32_e32 v24, vcc, s24, v24
	v_ashrrev_i32_e32 v23, 31, v22
	v_addc_co_u32_e32 v25, vcc, v92, v25, vcc
	v_lshlrev_b64 v[22:23], 2, v[22:23]
	v_add_u32_e32 v40, s83, v87
	v_ashrrev_i32_e32 v41, 31, v40
	v_lshlrev_b64 v[40:41], 2, v[40:41]
	v_add_u32_e32 v42, s84, v87
	v_ashrrev_i32_e32 v43, 31, v42
	;; [unrolled: 3-line block ×5, first 2 shown]
	v_lshlrev_b64 v[60:61], 2, v[60:61]
	s_waitcnt vmcnt(9)
	ds_write_b32 v89, v32 offset:64
	s_waitcnt vmcnt(8)
	ds_write_b32 v89, v33 offset:328
	;; [unrolled: 2-line block ×8, first 2 shown]
	v_add_co_u32_e32 v26, vcc, s24, v22
	v_add_u32_e32 v22, s72, v87
	v_addc_co_u32_e32 v27, vcc, v92, v23, vcc
	v_ashrrev_i32_e32 v23, 31, v22
	v_lshlrev_b64 v[22:23], 2, v[22:23]
	v_add_co_u32_e32 v28, vcc, s24, v22
	v_add_u32_e32 v22, s73, v87
	v_addc_co_u32_e32 v29, vcc, v92, v23, vcc
	v_ashrrev_i32_e32 v23, 31, v22
	v_lshlrev_b64 v[22:23], 2, v[22:23]
	;; [unrolled: 5-line block ×6, first 2 shown]
	v_add_co_u32_e32 v38, vcc, s24, v22
	v_addc_co_u32_e32 v39, vcc, v92, v23, vcc
	global_load_dword v22, v[24:25], off
	global_load_dword v23, v[26:27], off
	s_nop 0
	global_load_dword v24, v[28:29], off
	global_load_dword v25, v[30:31], off
	s_nop 0
	global_load_dword v28, v[32:33], off
	global_load_dword v29, v[34:35], off
	;; [unrolled: 1-line block ×4, first 2 shown]
	v_add_u32_e32 v30, s78, v87
	v_ashrrev_i32_e32 v31, 31, v30
	v_lshlrev_b64 v[30:31], 2, v[30:31]
	v_add_u32_e32 v32, s79, v87
	v_add_co_u32_e32 v30, vcc, s24, v30
	v_ashrrev_i32_e32 v33, 31, v32
	v_addc_co_u32_e32 v31, vcc, v92, v31, vcc
	v_lshlrev_b64 v[32:33], 2, v[32:33]
	v_add_u32_e32 v34, s80, v87
	v_add_co_u32_e32 v32, vcc, s24, v32
	v_ashrrev_i32_e32 v35, 31, v34
	v_addc_co_u32_e32 v33, vcc, v92, v33, vcc
	;; [unrolled: 5-line block ×4, first 2 shown]
	v_lshlrev_b64 v[38:39], 2, v[38:39]
	v_add_co_u32_e32 v38, vcc, s24, v38
	v_addc_co_u32_e32 v39, vcc, v92, v39, vcc
	v_add_co_u32_e32 v40, vcc, s24, v40
	v_addc_co_u32_e32 v41, vcc, v92, v41, vcc
	;; [unrolled: 2-line block ×4, first 2 shown]
	global_load_dword v30, v[30:31], off
	s_nop 0
	global_load_dword v31, v[32:33], off
	s_nop 0
	;; [unrolled: 2-line block ×6, first 2 shown]
	global_load_dword v40, v[42:43], off
	global_load_dword v41, v[44:45], off
	v_add_u32_e32 v32, s86, v87
	v_ashrrev_i32_e32 v33, 31, v32
	v_lshlrev_b64 v[32:33], 2, v[32:33]
	v_add_u32_e32 v36, s53, v87
	v_add_co_u32_e32 v32, vcc, s24, v32
	v_ashrrev_i32_e32 v37, 31, v36
	v_addc_co_u32_e32 v33, vcc, v92, v33, vcc
	v_lshlrev_b64 v[36:37], 2, v[36:37]
	v_add_u32_e32 v42, s87, v87
	v_add_co_u32_e32 v36, vcc, s24, v36
	v_ashrrev_i32_e32 v43, 31, v42
	v_addc_co_u32_e32 v37, vcc, v92, v37, vcc
	;; [unrolled: 5-line block ×3, first 2 shown]
	v_lshlrev_b64 v[44:45], 2, v[44:45]
	v_add_co_u32_e32 v44, vcc, s24, v44
	v_addc_co_u32_e32 v45, vcc, v92, v45, vcc
	v_add_co_u32_e32 v48, vcc, s24, v46
	v_add_u32_e32 v46, s90, v87
	v_addc_co_u32_e32 v49, vcc, v92, v47, vcc
	v_ashrrev_i32_e32 v47, 31, v46
	v_lshlrev_b64 v[46:47], 2, v[46:47]
	v_add_co_u32_e32 v54, vcc, s24, v46
	v_add_u32_e32 v46, s91, v87
	v_addc_co_u32_e32 v55, vcc, v92, v47, vcc
	v_ashrrev_i32_e32 v47, 31, v46
	v_lshlrev_b64 v[46:47], 2, v[46:47]
	;; [unrolled: 5-line block ×3, first 2 shown]
	v_add_co_u32_e32 v58, vcc, s24, v46
	v_addc_co_u32_e32 v59, vcc, v92, v47, vcc
	global_load_dword v46, v[32:33], off
	global_load_dword v47, v[36:37], off
	;; [unrolled: 1-line block ×6, first 2 shown]
	s_nop 0
	global_load_dword v44, v[56:57], off
	global_load_dword v45, v[58:59], off
	v_add_u32_e32 v32, s93, v87
	v_ashrrev_i32_e32 v33, 31, v32
	v_lshlrev_b64 v[32:33], 2, v[32:33]
	v_add_u32_e32 v36, s94, v87
	v_add_co_u32_e32 v32, vcc, s24, v32
	v_ashrrev_i32_e32 v37, 31, v36
	v_addc_co_u32_e32 v33, vcc, v92, v33, vcc
	v_lshlrev_b64 v[36:37], 2, v[36:37]
	v_add_u32_e32 v42, s95, v87
	v_add_co_u32_e32 v36, vcc, s24, v36
	v_ashrrev_i32_e32 v43, 31, v42
	v_addc_co_u32_e32 v37, vcc, v92, v37, vcc
	;; [unrolled: 5-line block ×6, first 2 shown]
	v_lshlrev_b64 v[58:59], 2, v[58:59]
	v_add_co_u32_e32 v58, vcc, s24, v58
	v_addc_co_u32_e32 v59, vcc, v92, v59, vcc
	v_add_co_u32_e32 v60, vcc, s24, v60
	v_addc_co_u32_e32 v61, vcc, v92, v61, vcc
	global_load_dword v62, v[32:33], off
	global_load_dword v63, v[36:37], off
	;; [unrolled: 1-line block ×8, first 2 shown]
	v_add_u32_e32 v32, s57, v87
	v_ashrrev_i32_e32 v33, 31, v32
	v_lshlrev_b64 v[32:33], 2, v[32:33]
	v_add_u32_e32 v36, s58, v87
	v_add_co_u32_e32 v32, vcc, s24, v32
	v_ashrrev_i32_e32 v37, 31, v36
	v_addc_co_u32_e32 v33, vcc, v92, v33, vcc
	v_lshlrev_b64 v[36:37], 2, v[36:37]
	v_add_u32_e32 v42, s59, v87
	v_add_co_u32_e32 v36, vcc, s24, v36
	v_ashrrev_i32_e32 v43, 31, v42
	v_addc_co_u32_e32 v37, vcc, v92, v37, vcc
	;; [unrolled: 5-line block ×7, first 2 shown]
	v_lshlrev_b64 v[60:61], 2, v[60:61]
	v_add_co_u32_e32 v60, vcc, s24, v60
	v_addc_co_u32_e32 v61, vcc, v92, v61, vcc
	global_load_dword v70, v[32:33], off
	global_load_dword v71, v[36:37], off
	;; [unrolled: 1-line block ×8, first 2 shown]
	v_add_u32_e32 v32, s5, v87
	v_ashrrev_i32_e32 v33, 31, v32
	v_lshlrev_b64 v[32:33], 2, v[32:33]
	v_add_u32_e32 v36, s2, v87
	v_add_co_u32_e32 v32, vcc, s24, v32
	v_ashrrev_i32_e32 v37, 31, v36
	v_addc_co_u32_e32 v33, vcc, v92, v33, vcc
	v_lshlrev_b64 v[36:37], 2, v[36:37]
	v_add_u32_e32 v42, s3, v87
	v_add_co_u32_e32 v36, vcc, s24, v36
	v_ashrrev_i32_e32 v43, 31, v42
	v_addc_co_u32_e32 v37, vcc, v92, v37, vcc
	;; [unrolled: 5-line block ×7, first 2 shown]
	v_lshlrev_b64 v[60:61], 2, v[60:61]
	v_add_co_u32_e32 v60, vcc, s24, v60
	v_addc_co_u32_e32 v61, vcc, v92, v61, vcc
	global_load_dword v78, v[32:33], off
	global_load_dword v79, v[36:37], off
	;; [unrolled: 1-line block ×8, first 2 shown]
	v_add_u32_e32 v32, s9, v87
	v_ashrrev_i32_e32 v33, 31, v32
	v_lshlrev_b64 v[32:33], 2, v[32:33]
	v_add_u32_e32 v36, s8, v87
	v_add_co_u32_e32 v32, vcc, s24, v32
	v_ashrrev_i32_e32 v37, 31, v36
	v_addc_co_u32_e32 v33, vcc, v92, v33, vcc
	v_lshlrev_b64 v[36:37], 2, v[36:37]
	v_add_u32_e32 v42, s29, v87
	v_add_co_u32_e32 v36, vcc, s24, v36
	v_ashrrev_i32_e32 v43, 31, v42
	v_addc_co_u32_e32 v37, vcc, v92, v37, vcc
	;; [unrolled: 5-line block ×5, first 2 shown]
	v_lshlrev_b64 v[56:57], 2, v[56:57]
	v_add_co_u32_e32 v56, vcc, s24, v56
	v_addc_co_u32_e32 v57, vcc, v92, v57, vcc
	global_load_dword v96, v[32:33], off
	global_load_dword v97, v[36:37], off
	;; [unrolled: 1-line block ×6, first 2 shown]
	s_waitcnt vmcnt(55)
	ds_write_b32 v89, v20 offset:2176
	s_waitcnt vmcnt(54)
	ds_write_b32 v89, v21 offset:2440
	s_waitcnt vmcnt(53)
	ds_write_b32 v89, v22 offset:2704
	s_waitcnt vmcnt(52)
	ds_write_b32 v89, v23 offset:2968
	s_waitcnt vmcnt(51)
	ds_write_b32 v89, v24 offset:3232
	s_waitcnt vmcnt(50)
	ds_write_b32 v89, v25 offset:3496
	s_waitcnt vmcnt(49)
	ds_write_b32 v89, v28 offset:3760
	s_waitcnt vmcnt(48)
	ds_write_b32 v89, v29 offset:4024
	ds_read_b64 v[48:49], v90 offset:64
	ds_read_b64 v[42:43], v90 offset:96
	ds_read_b64 v[36:37], v90 offset:128
	ds_read_b64 v[32:33], v90 offset:160
	ds_read_b64 v[28:29], v90 offset:192
	ds_read_b64 v[24:25], v90 offset:224
	ds_read_b64 v[22:23], v90 offset:256
	ds_read_b64 v[20:21], v90 offset:288
	s_waitcnt vmcnt(47)
	ds_write_b32 v89, v26 offset:64
	s_waitcnt vmcnt(46)
	ds_write_b32 v89, v27 offset:328
	s_waitcnt vmcnt(45)
	ds_write_b32 v89, v30 offset:592
	s_waitcnt vmcnt(44)
	ds_write_b32 v89, v31 offset:856
	s_waitcnt vmcnt(43)
	ds_write_b32 v89, v34 offset:1120
	s_waitcnt vmcnt(42)
	ds_write_b32 v89, v35 offset:1384
	s_waitcnt vmcnt(41)
	ds_write_b32 v89, v38 offset:1648
	s_waitcnt vmcnt(40)
	ds_write_b32 v89, v39 offset:1912
	s_waitcnt vmcnt(39)
	ds_write_b32 v89, v40 offset:2176
	s_waitcnt vmcnt(38)
	ds_write_b32 v89, v41 offset:2440
	s_waitcnt vmcnt(37)
	ds_write_b32 v89, v46 offset:2704
	s_waitcnt vmcnt(36)
	ds_write_b32 v89, v47 offset:2968
	s_waitcnt vmcnt(35)
	ds_write_b32 v89, v50 offset:3232
	s_waitcnt vmcnt(34)
	ds_write_b32 v89, v51 offset:3496
	s_waitcnt vmcnt(33)
	ds_write_b32 v89, v52 offset:3760
	s_waitcnt vmcnt(32)
	ds_write_b32 v89, v53 offset:4024
	ds_read_b64 v[60:61], v90 offset:64
	ds_read_b64 v[56:57], v90 offset:96
	ds_read_b64 v[52:53], v90 offset:128
	ds_read_b64 v[46:47], v90 offset:160
	ds_read_b64 v[40:41], v90 offset:192
	ds_read_b64 v[34:35], v90 offset:224
	ds_read_b64 v[30:31], v90 offset:256
	ds_read_b64 v[26:27], v90 offset:288
	s_waitcnt vmcnt(31)
	ds_write_b32 v89, v44 offset:64
	s_waitcnt vmcnt(30)
	ds_write_b32 v89, v45 offset:328
	s_waitcnt vmcnt(29)
	ds_write_b32 v89, v62 offset:592
	s_waitcnt vmcnt(28)
	ds_write_b32 v89, v63 offset:856
	s_waitcnt vmcnt(27)
	ds_write_b32 v89, v64 offset:1120
	s_waitcnt vmcnt(26)
	ds_write_b32 v89, v65 offset:1384
	s_waitcnt vmcnt(25)
	ds_write_b32 v89, v66 offset:1648
	s_waitcnt vmcnt(24)
	ds_write_b32 v89, v67 offset:1912
	;; [unrolled: 40-line block ×3, first 2 shown]
	s_waitcnt vmcnt(7)
	ds_write_b32 v89, v94 offset:2176
	s_waitcnt vmcnt(6)
	ds_write_b32 v89, v95 offset:2440
	;; [unrolled: 2-line block ×8, first 2 shown]
	ds_read_b64 v[82:83], v90 offset:64
	ds_read_b64 v[80:81], v90 offset:96
	;; [unrolled: 1-line block ×8, first 2 shown]
	s_andn2_b64 vcc, exec, s[6:7]
	v_mov_b32_e32 v94, 0
	s_cbranch_vccnz .LBB94_38
; %bb.35:                               ;   in Loop: Header=BB94_34 Depth=1
	ds_read_b32 v94, v88
	s_waitcnt lgkmcnt(0)
	v_cmp_gt_i32_e32 vcc, 0, v94
	s_cbranch_vccnz .LBB94_37
; %bb.36:                               ;   in Loop: Header=BB94_34 Depth=1
	v_mul_lo_u32 v94, v94, s25
	v_add_u32_e32 v94, v87, v94
	v_ashrrev_i32_e32 v95, 31, v94
	v_lshlrev_b64 v[94:95], 2, v[94:95]
	v_mov_b32_e32 v96, s33
	v_add_co_u32_e32 v94, vcc, s27, v94
	v_addc_co_u32_e32 v95, vcc, v96, v95, vcc
	global_load_dword v94, v[94:95], off
	s_branch .LBB94_38
.LBB94_37:                              ;   in Loop: Header=BB94_34 Depth=1
	v_mov_b32_e32 v94, 0
.LBB94_38:                              ;   in Loop: Header=BB94_34 Depth=1
	s_waitcnt vmcnt(0)
	ds_write_b32 v89, v94 offset:64
	s_andn2_b64 vcc, exec, s[12:13]
	v_mov_b32_e32 v94, 0
	v_mov_b32_e32 v95, 0
	s_cbranch_vccnz .LBB94_41
; %bb.39:                               ;   in Loop: Header=BB94_34 Depth=1
	ds_read_b32 v95, v88 offset:4
	s_waitcnt lgkmcnt(0)
	v_cmp_gt_i32_e32 vcc, 0, v95
	s_cbranch_vccnz .LBB94_44
; %bb.40:                               ;   in Loop: Header=BB94_34 Depth=1
	v_mul_lo_u32 v95, v95, s25
	v_add_u32_e32 v95, s20, v95
	v_add_u32_e32 v96, v95, v87
	v_ashrrev_i32_e32 v97, 31, v96
	v_lshlrev_b64 v[96:97], 2, v[96:97]
	v_mov_b32_e32 v95, s33
	v_add_co_u32_e32 v96, vcc, s27, v96
	v_addc_co_u32_e32 v97, vcc, v95, v97, vcc
	global_load_dword v95, v[96:97], off
.LBB94_41:                              ;   in Loop: Header=BB94_34 Depth=1
	s_andn2_b64 vcc, exec, s[22:23]
	s_waitcnt vmcnt(0)
	ds_write_b32 v89, v95 offset:328
	s_cbranch_vccnz .LBB94_46
.LBB94_42:                              ;   in Loop: Header=BB94_34 Depth=1
	ds_read_b32 v94, v88 offset:8
	s_waitcnt lgkmcnt(0)
	v_cmp_gt_i32_e32 vcc, 0, v94
	s_cbranch_vccnz .LBB94_45
; %bb.43:                               ;   in Loop: Header=BB94_34 Depth=1
	v_mul_lo_u32 v94, v94, s25
	v_readlane_b32 vcc_lo, v102, 14
	v_add_u32_e32 v94, vcc_lo, v94
	v_add_u32_e32 v94, v94, v87
	v_ashrrev_i32_e32 v95, 31, v94
	v_lshlrev_b64 v[94:95], 2, v[94:95]
	v_mov_b32_e32 v96, s33
	v_add_co_u32_e32 v94, vcc, s27, v94
	v_addc_co_u32_e32 v95, vcc, v96, v95, vcc
	global_load_dword v94, v[94:95], off
	s_branch .LBB94_46
.LBB94_44:                              ;   in Loop: Header=BB94_34 Depth=1
	v_mov_b32_e32 v95, 0
	s_andn2_b64 vcc, exec, s[22:23]
	ds_write_b32 v89, v95 offset:328
	s_cbranch_vccz .LBB94_42
	s_branch .LBB94_46
.LBB94_45:                              ;   in Loop: Header=BB94_34 Depth=1
	v_mov_b32_e32 v94, 0
.LBB94_46:                              ;   in Loop: Header=BB94_34 Depth=1
	s_waitcnt vmcnt(0)
	ds_write_b32 v89, v94 offset:592
	s_andn2_b64 vcc, exec, s[30:31]
	v_mov_b32_e32 v94, 0
	v_mov_b32_e32 v95, 0
	s_cbranch_vccnz .LBB94_49
; %bb.47:                               ;   in Loop: Header=BB94_34 Depth=1
	ds_read_b32 v95, v88 offset:12
	s_waitcnt lgkmcnt(0)
	v_cmp_gt_i32_e32 vcc, 0, v95
	s_cbranch_vccnz .LBB94_52
; %bb.48:                               ;   in Loop: Header=BB94_34 Depth=1
	v_mul_lo_u32 v95, v95, s25
	s_mul_i32 vcc_lo, s20, 3
	v_add_u32_e32 v95, vcc_lo, v95
	v_add_u32_e32 v96, v95, v87
	v_ashrrev_i32_e32 v97, 31, v96
	v_lshlrev_b64 v[96:97], 2, v[96:97]
	v_mov_b32_e32 v95, s33
	v_add_co_u32_e32 v96, vcc, s27, v96
	v_addc_co_u32_e32 v97, vcc, v95, v97, vcc
	global_load_dword v95, v[96:97], off
.LBB94_49:                              ;   in Loop: Header=BB94_34 Depth=1
	s_andn2_b64 vcc, exec, s[34:35]
	s_waitcnt vmcnt(0)
	ds_write_b32 v89, v95 offset:856
	s_cbranch_vccnz .LBB94_54
.LBB94_50:                              ;   in Loop: Header=BB94_34 Depth=1
	ds_read_b32 v94, v88 offset:16
	s_waitcnt lgkmcnt(0)
	v_cmp_gt_i32_e32 vcc, 0, v94
	s_cbranch_vccnz .LBB94_53
; %bb.51:                               ;   in Loop: Header=BB94_34 Depth=1
	v_mul_lo_u32 v94, v94, s25
	v_readlane_b32 vcc_lo, v102, 15
	v_add_u32_e32 v94, vcc_lo, v94
	v_add_u32_e32 v94, v94, v87
	v_ashrrev_i32_e32 v95, 31, v94
	v_lshlrev_b64 v[94:95], 2, v[94:95]
	v_mov_b32_e32 v96, s33
	v_add_co_u32_e32 v94, vcc, s27, v94
	v_addc_co_u32_e32 v95, vcc, v96, v95, vcc
	global_load_dword v94, v[94:95], off
	s_branch .LBB94_54
.LBB94_52:                              ;   in Loop: Header=BB94_34 Depth=1
	v_mov_b32_e32 v95, 0
	s_andn2_b64 vcc, exec, s[34:35]
	ds_write_b32 v89, v95 offset:856
	s_cbranch_vccz .LBB94_50
	s_branch .LBB94_54
.LBB94_53:                              ;   in Loop: Header=BB94_34 Depth=1
	v_mov_b32_e32 v94, 0
.LBB94_54:                              ;   in Loop: Header=BB94_34 Depth=1
	s_waitcnt vmcnt(0)
	ds_write_b32 v89, v94 offset:1120
	s_andn2_b64 vcc, exec, s[36:37]
	v_mov_b32_e32 v94, 0
	v_mov_b32_e32 v95, 0
	s_cbranch_vccnz .LBB94_57
; %bb.55:                               ;   in Loop: Header=BB94_34 Depth=1
	ds_read_b32 v95, v88 offset:20
	s_waitcnt lgkmcnt(0)
	v_cmp_gt_i32_e32 vcc, 0, v95
	s_cbranch_vccnz .LBB94_60
; %bb.56:                               ;   in Loop: Header=BB94_34 Depth=1
	v_mul_lo_u32 v95, v95, s25
	s_mul_i32 vcc_lo, s20, 5
	v_add_u32_e32 v95, vcc_lo, v95
	v_add_u32_e32 v96, v95, v87
	v_ashrrev_i32_e32 v97, 31, v96
	v_lshlrev_b64 v[96:97], 2, v[96:97]
	v_mov_b32_e32 v95, s33
	v_add_co_u32_e32 v96, vcc, s27, v96
	v_addc_co_u32_e32 v97, vcc, v95, v97, vcc
	global_load_dword v95, v[96:97], off
.LBB94_57:                              ;   in Loop: Header=BB94_34 Depth=1
	s_andn2_b64 vcc, exec, s[38:39]
	s_waitcnt vmcnt(0)
	ds_write_b32 v89, v95 offset:1384
	s_cbranch_vccnz .LBB94_62
.LBB94_58:                              ;   in Loop: Header=BB94_34 Depth=1
	ds_read_b32 v94, v88 offset:24
	s_waitcnt lgkmcnt(0)
	v_cmp_gt_i32_e32 vcc, 0, v94
	s_cbranch_vccnz .LBB94_61
; %bb.59:                               ;   in Loop: Header=BB94_34 Depth=1
	v_mul_lo_u32 v94, v94, s25
	s_mul_i32 vcc_lo, s20, 6
	v_add_u32_e32 v94, vcc_lo, v94
	v_add_u32_e32 v94, v94, v87
	v_ashrrev_i32_e32 v95, 31, v94
	v_lshlrev_b64 v[94:95], 2, v[94:95]
	v_mov_b32_e32 v96, s33
	v_add_co_u32_e32 v94, vcc, s27, v94
	v_addc_co_u32_e32 v95, vcc, v96, v95, vcc
	global_load_dword v94, v[94:95], off
	s_branch .LBB94_62
.LBB94_60:                              ;   in Loop: Header=BB94_34 Depth=1
	v_mov_b32_e32 v95, 0
	s_andn2_b64 vcc, exec, s[38:39]
	ds_write_b32 v89, v95 offset:1384
	s_cbranch_vccz .LBB94_58
	s_branch .LBB94_62
.LBB94_61:                              ;   in Loop: Header=BB94_34 Depth=1
	v_mov_b32_e32 v94, 0
.LBB94_62:                              ;   in Loop: Header=BB94_34 Depth=1
	s_waitcnt vmcnt(0)
	ds_write_b32 v89, v94 offset:1648
	s_andn2_b64 vcc, exec, s[40:41]
	v_mov_b32_e32 v94, 0
	v_mov_b32_e32 v95, 0
	s_cbranch_vccnz .LBB94_65
; %bb.63:                               ;   in Loop: Header=BB94_34 Depth=1
	ds_read_b32 v95, v88 offset:28
	s_waitcnt lgkmcnt(0)
	v_cmp_gt_i32_e32 vcc, 0, v95
	s_cbranch_vccnz .LBB94_68
; %bb.64:                               ;   in Loop: Header=BB94_34 Depth=1
	v_mul_lo_u32 v95, v95, s25
	s_mul_i32 vcc_lo, s20, 7
	v_add_u32_e32 v95, vcc_lo, v95
	v_add_u32_e32 v96, v95, v87
	v_ashrrev_i32_e32 v97, 31, v96
	v_lshlrev_b64 v[96:97], 2, v[96:97]
	v_mov_b32_e32 v95, s33
	v_add_co_u32_e32 v96, vcc, s27, v96
	v_addc_co_u32_e32 v97, vcc, v95, v97, vcc
	global_load_dword v95, v[96:97], off
.LBB94_65:                              ;   in Loop: Header=BB94_34 Depth=1
	s_andn2_b64 vcc, exec, s[42:43]
	s_waitcnt vmcnt(0)
	ds_write_b32 v89, v95 offset:1912
	s_cbranch_vccnz .LBB94_70
.LBB94_66:                              ;   in Loop: Header=BB94_34 Depth=1
	ds_read_b32 v94, v88 offset:32
	s_waitcnt lgkmcnt(0)
	v_cmp_gt_i32_e32 vcc, 0, v94
	s_cbranch_vccnz .LBB94_69
; %bb.67:                               ;   in Loop: Header=BB94_34 Depth=1
	v_mul_lo_u32 v94, v94, s25
	v_readlane_b32 vcc_lo, v102, 16
	v_add_u32_e32 v94, vcc_lo, v94
	v_add_u32_e32 v94, v94, v87
	v_ashrrev_i32_e32 v95, 31, v94
	v_lshlrev_b64 v[94:95], 2, v[94:95]
	v_mov_b32_e32 v96, s33
	v_add_co_u32_e32 v94, vcc, s27, v94
	v_addc_co_u32_e32 v95, vcc, v96, v95, vcc
	global_load_dword v94, v[94:95], off
	s_branch .LBB94_70
.LBB94_68:                              ;   in Loop: Header=BB94_34 Depth=1
	v_mov_b32_e32 v95, 0
	s_andn2_b64 vcc, exec, s[42:43]
	ds_write_b32 v89, v95 offset:1912
	s_cbranch_vccz .LBB94_66
	s_branch .LBB94_70
.LBB94_69:                              ;   in Loop: Header=BB94_34 Depth=1
	v_mov_b32_e32 v94, 0
.LBB94_70:                              ;   in Loop: Header=BB94_34 Depth=1
	s_waitcnt vmcnt(0)
	ds_write_b32 v89, v94 offset:2176
	s_andn2_b64 vcc, exec, s[44:45]
	v_mov_b32_e32 v94, 0
	v_mov_b32_e32 v95, 0
	s_cbranch_vccnz .LBB94_73
; %bb.71:                               ;   in Loop: Header=BB94_34 Depth=1
	ds_read_b32 v95, v88 offset:36
	s_waitcnt lgkmcnt(0)
	v_cmp_gt_i32_e32 vcc, 0, v95
	s_cbranch_vccnz .LBB94_76
; %bb.72:                               ;   in Loop: Header=BB94_34 Depth=1
	v_mul_lo_u32 v95, v95, s25
	s_mul_i32 vcc_lo, s20, 9
	v_add_u32_e32 v95, vcc_lo, v95
	v_add_u32_e32 v96, v95, v87
	v_ashrrev_i32_e32 v97, 31, v96
	v_lshlrev_b64 v[96:97], 2, v[96:97]
	v_mov_b32_e32 v95, s33
	v_add_co_u32_e32 v96, vcc, s27, v96
	v_addc_co_u32_e32 v97, vcc, v95, v97, vcc
	global_load_dword v95, v[96:97], off
.LBB94_73:                              ;   in Loop: Header=BB94_34 Depth=1
	s_andn2_b64 vcc, exec, s[46:47]
	s_waitcnt vmcnt(0)
	ds_write_b32 v89, v95 offset:2440
	s_cbranch_vccnz .LBB94_78
.LBB94_74:                              ;   in Loop: Header=BB94_34 Depth=1
	ds_read_b32 v94, v88 offset:40
	s_waitcnt lgkmcnt(0)
	v_cmp_gt_i32_e32 vcc, 0, v94
	s_cbranch_vccnz .LBB94_77
; %bb.75:                               ;   in Loop: Header=BB94_34 Depth=1
	v_mul_lo_u32 v94, v94, s25
	s_mul_i32 vcc_lo, s20, 10
	v_add_u32_e32 v94, vcc_lo, v94
	v_add_u32_e32 v94, v94, v87
	v_ashrrev_i32_e32 v95, 31, v94
	v_lshlrev_b64 v[94:95], 2, v[94:95]
	v_mov_b32_e32 v96, s33
	v_add_co_u32_e32 v94, vcc, s27, v94
	v_addc_co_u32_e32 v95, vcc, v96, v95, vcc
	global_load_dword v94, v[94:95], off
	s_branch .LBB94_78
.LBB94_76:                              ;   in Loop: Header=BB94_34 Depth=1
	v_mov_b32_e32 v95, 0
	s_andn2_b64 vcc, exec, s[46:47]
	ds_write_b32 v89, v95 offset:2440
	s_cbranch_vccz .LBB94_74
	s_branch .LBB94_78
.LBB94_77:                              ;   in Loop: Header=BB94_34 Depth=1
	v_mov_b32_e32 v94, 0
.LBB94_78:                              ;   in Loop: Header=BB94_34 Depth=1
	s_waitcnt vmcnt(0)
	ds_write_b32 v89, v94 offset:2704
	s_andn2_b64 vcc, exec, s[48:49]
	v_mov_b32_e32 v94, 0
	v_mov_b32_e32 v95, 0
	s_cbranch_vccnz .LBB94_81
; %bb.79:                               ;   in Loop: Header=BB94_34 Depth=1
	ds_read_b32 v95, v88 offset:44
	s_waitcnt lgkmcnt(0)
	v_cmp_gt_i32_e32 vcc, 0, v95
	s_cbranch_vccnz .LBB94_84
; %bb.80:                               ;   in Loop: Header=BB94_34 Depth=1
	v_mul_lo_u32 v95, v95, s25
	s_mul_i32 vcc_lo, s20, 11
	v_add_u32_e32 v95, vcc_lo, v95
	v_add_u32_e32 v96, v95, v87
	v_ashrrev_i32_e32 v97, 31, v96
	v_lshlrev_b64 v[96:97], 2, v[96:97]
	v_mov_b32_e32 v95, s33
	v_add_co_u32_e32 v96, vcc, s27, v96
	v_addc_co_u32_e32 v97, vcc, v95, v97, vcc
	global_load_dword v95, v[96:97], off
.LBB94_81:                              ;   in Loop: Header=BB94_34 Depth=1
	s_andn2_b64 vcc, exec, s[50:51]
	s_waitcnt vmcnt(0)
	ds_write_b32 v89, v95 offset:2968
	s_cbranch_vccnz .LBB94_33
.LBB94_82:                              ;   in Loop: Header=BB94_34 Depth=1
	ds_read_b32 v94, v88 offset:48
	s_waitcnt lgkmcnt(0)
	v_cmp_gt_i32_e32 vcc, 0, v94
	s_cbranch_vccz .LBB94_32
; %bb.83:                               ;   in Loop: Header=BB94_34 Depth=1
	v_mov_b32_e32 v94, 0
	s_branch .LBB94_33
.LBB94_84:                              ;   in Loop: Header=BB94_34 Depth=1
	v_mov_b32_e32 v95, 0
	s_andn2_b64 vcc, exec, s[50:51]
	ds_write_b32 v89, v95 offset:2968
	s_cbranch_vccnz .LBB94_33
	s_branch .LBB94_82
.LBB94_85:
	s_or_b64 exec, exec, s[18:19]
	v_readlane_b32 s40, v102, 6
	v_readlane_b32 s44, v102, 10
	;; [unrolled: 1-line block ×9, first 2 shown]
.LBB94_86:
	v_readlane_b32 s0, v102, 4
	v_readlane_b32 s1, v102, 5
	s_or_b64 exec, exec, s[0:1]
	v_mul_u32_u24_e32 v18, 0x708, v86
	s_movk_i32 s1, 0x100
	v_lshlrev_b32_e32 v19, 2, v85
	v_add3_u32 v18, s1, v18, v19
	v_and_b32_e32 v20, 0x3f0, v16
	v_add_u32_e32 v21, v18, v20
	s_barrier
	v_add_u32_e32 v19, 64, v18
	ds_write2_b32 v21, v8, v9 offset0:16 offset1:17
	v_or_b32_e32 v9, 12, v16
	v_add_u32_e32 v8, v19, v20
	v_and_b32_e32 v9, 0x3fc, v9
	ds_write_b32 v8, v10 offset:8
	v_add_u32_e32 v10, v18, v9
	ds_write_b32 v10, v11 offset:64
	ds_write2_b32 v8, v4, v5 offset0:16 offset1:17
	ds_write_b32 v8, v6 offset:72
	v_add_u32_e32 v4, v19, v9
	v_mov_b32_e32 v6, 0x100
	s_movk_i32 s0, 0x708
	ds_write_b32 v4, v7 offset:64
	ds_write2_b32 v8, v0, v1 offset0:32 offset1:33
	ds_write_b32 v8, v2 offset:136
	ds_write_b32 v4, v3 offset:128
	ds_write2_b32 v8, v12, v13 offset0:48 offset1:49
	ds_write_b32 v8, v14 offset:200
	ds_write_b32 v4, v15 offset:192
	v_lshl_add_u32 v7, v16, 2, v6
	v_mad_u32_u24 v8, v17, s0, v7
	v_add_u32_e32 v2, 64, v8
	s_waitcnt lgkmcnt(0)
	s_barrier
	ds_read2_b32 v[4:5], v8 offset0:16 offset1:80
	ds_read2_b32 v[0:1], v8 offset0:144 offset1:208
	ds_read2st64_b32 v[2:3], v2 offset0:4 offset1:5
	ds_read_b32 v8, v8 offset:1600
	v_cmp_gt_u32_e32 vcc, 13, v17
	v_mov_b32_e32 v9, -1
	s_and_saveexec_b64 s[4:5], vcc
	s_cbranch_execz .LBB94_88
; %bb.87:
	v_lshl_add_u32 v6, v17, 2, v6
	ds_read_b32 v9, v6
.LBB94_88:
	s_or_b64 exec, exec, s[4:5]
	s_mul_hi_i32 s1, s46, s8
	s_mul_i32 s0, s46, s8
	s_lshl_b64 s[0:1], s[0:1], 2
	v_readlane_b32 s4, v102, 2
	s_mul_hi_i32 s3, s50, s21
	s_mul_i32 s2, s50, s21
	v_readlane_b32 s5, v102, 3
	s_add_u32 s4, s4, s0
	s_addc_u32 s5, s5, s1
	s_lshl_b64 s[0:1], s[2:3], 2
	s_add_u32 s2, s4, s0
	s_waitcnt lgkmcnt(0)
	v_cmp_lt_i32_e32 vcc, -1, v9
	v_add_u32_e32 v6, s6, v16
	s_addc_u32 s3, s5, s1
	s_and_b64 s[4:5], vcc, s[40:41]
	s_and_saveexec_b64 s[0:1], s[4:5]
	s_cbranch_execz .LBB94_90
; %bb.89:
	v_add_f32_e32 v4, 0, v4
	v_add_f32_e32 v4, v4, v5
	;; [unrolled: 1-line block ×7, first 2 shown]
	v_mul_lo_u32 v0, v9, s26
	v_mul_lo_u32 v1, v17, s21
	v_add3_u32 v0, v6, v1, v0
	v_mov_b32_e32 v1, 0
	v_lshlrev_b64 v[0:1], 2, v[0:1]
	v_mov_b32_e32 v3, s3
	v_add_co_u32_e32 v0, vcc, s2, v0
	v_addc_co_u32_e32 v1, vcc, v3, v1, vcc
	global_store_dword v[0:1], v2, off
.LBB94_90:
	s_or_b64 exec, exec, s[0:1]
	v_cmp_gt_u32_e32 vcc, 6, v17
	s_and_saveexec_b64 s[0:1], vcc
	s_cbranch_execz .LBB94_93
; %bb.91:
	v_mov_b32_e32 v0, 0x100
	v_lshl_add_u32 v0, v17, 2, v0
	ds_read_b32 v0, v0 offset:28
	v_readlane_b32 s0, v102, 0
	v_readlane_b32 s1, v102, 1
	s_waitcnt lgkmcnt(0)
	v_cmp_lt_i32_e32 vcc, -1, v0
	s_and_b64 s[0:1], vcc, s[0:1]
	s_and_b64 exec, exec, s[0:1]
	s_cbranch_execz .LBB94_93
; %bb.92:
	v_mul_u32_u24_e32 v1, 0x708, v17
	v_add_u32_e32 v4, v1, v7
	v_add_u32_e32 v5, 0x78, v4
	ds_read2st64_b32 v[2:3], v5 offset0:49 offset1:50
	v_mul_lo_u32 v7, v0, s26
	ds_read2st64_b32 v[0:1], v5 offset0:51 offset1:52
	ds_read_b32 v8, v4 offset:14200
	ds_read2st64_b32 v[4:5], v5 offset0:53 offset1:54
	s_waitcnt lgkmcnt(3)
	v_add_f32_e32 v2, 0, v2
	v_add_f32_e32 v2, v2, v3
	s_waitcnt lgkmcnt(2)
	v_add_f32_e32 v0, v2, v0
	v_add_f32_e32 v0, v0, v1
	s_waitcnt lgkmcnt(0)
	v_add_f32_e32 v0, v0, v4
	v_add_f32_e32 v0, v0, v5
	v_add_f32_e32 v2, v0, v8
	v_mul_lo_u32 v0, v84, s21
	v_add3_u32 v0, v6, v0, v7
	v_mov_b32_e32 v1, 0
	v_lshlrev_b64 v[0:1], 2, v[0:1]
	v_mov_b32_e32 v3, s3
	v_add_co_u32_e32 v0, vcc, s2, v0
	v_addc_co_u32_e32 v1, vcc, v3, v1, vcc
	global_store_dword v[0:1], v2, off
.LBB94_93:
	s_endpgm
	.section	.rodata,"a",@progbits
	.p2align	6, 0x0
	.amdhsa_kernel _ZL9mul_mat_fIfLi64ELi13ELi7ELb1EEvPKT_PKfPKiPfiiiiiiiiiiiiiiii
		.amdhsa_group_segment_fixed_size 256
		.amdhsa_private_segment_fixed_size 0
		.amdhsa_kernarg_size 352
		.amdhsa_user_sgpr_count 6
		.amdhsa_user_sgpr_private_segment_buffer 1
		.amdhsa_user_sgpr_dispatch_ptr 0
		.amdhsa_user_sgpr_queue_ptr 0
		.amdhsa_user_sgpr_kernarg_segment_ptr 1
		.amdhsa_user_sgpr_dispatch_id 0
		.amdhsa_user_sgpr_flat_scratch_init 0
		.amdhsa_user_sgpr_kernarg_preload_length 0
		.amdhsa_user_sgpr_kernarg_preload_offset 0
		.amdhsa_user_sgpr_private_segment_size 0
		.amdhsa_uses_dynamic_stack 0
		.amdhsa_system_sgpr_private_segment_wavefront_offset 0
		.amdhsa_system_sgpr_workgroup_id_x 1
		.amdhsa_system_sgpr_workgroup_id_y 1
		.amdhsa_system_sgpr_workgroup_id_z 1
		.amdhsa_system_sgpr_workgroup_info 0
		.amdhsa_system_vgpr_workitem_id 2
		.amdhsa_next_free_vgpr 103
		.amdhsa_next_free_sgpr 96
		.amdhsa_accum_offset 104
		.amdhsa_reserve_vcc 1
		.amdhsa_reserve_flat_scratch 0
		.amdhsa_float_round_mode_32 0
		.amdhsa_float_round_mode_16_64 0
		.amdhsa_float_denorm_mode_32 3
		.amdhsa_float_denorm_mode_16_64 3
		.amdhsa_dx10_clamp 1
		.amdhsa_ieee_mode 1
		.amdhsa_fp16_overflow 0
		.amdhsa_tg_split 0
		.amdhsa_exception_fp_ieee_invalid_op 0
		.amdhsa_exception_fp_denorm_src 0
		.amdhsa_exception_fp_ieee_div_zero 0
		.amdhsa_exception_fp_ieee_overflow 0
		.amdhsa_exception_fp_ieee_underflow 0
		.amdhsa_exception_fp_ieee_inexact 0
		.amdhsa_exception_int_div_zero 0
	.end_amdhsa_kernel
	.section	.text._ZL9mul_mat_fIfLi64ELi13ELi7ELb1EEvPKT_PKfPKiPfiiiiiiiiiiiiiiii,"axG",@progbits,_ZL9mul_mat_fIfLi64ELi13ELi7ELb1EEvPKT_PKfPKiPfiiiiiiiiiiiiiiii,comdat
.Lfunc_end94:
	.size	_ZL9mul_mat_fIfLi64ELi13ELi7ELb1EEvPKT_PKfPKiPfiiiiiiiiiiiiiiii, .Lfunc_end94-_ZL9mul_mat_fIfLi64ELi13ELi7ELb1EEvPKT_PKfPKiPfiiiiiiiiiiiiiiii
                                        ; -- End function
	.section	.AMDGPU.csdata,"",@progbits
; Kernel info:
; codeLenInByte = 8300
; NumSgprs: 100
; NumVgprs: 103
; NumAgprs: 0
; TotalNumVgprs: 103
; ScratchSize: 0
; MemoryBound: 0
; FloatMode: 240
; IeeeMode: 1
; LDSByteSize: 256 bytes/workgroup (compile time only)
; SGPRBlocks: 12
; VGPRBlocks: 12
; NumSGPRsForWavesPerEU: 100
; NumVGPRsForWavesPerEU: 103
; AccumOffset: 104
; Occupancy: 4
; WaveLimiterHint : 0
; COMPUTE_PGM_RSRC2:SCRATCH_EN: 0
; COMPUTE_PGM_RSRC2:USER_SGPR: 6
; COMPUTE_PGM_RSRC2:TRAP_HANDLER: 0
; COMPUTE_PGM_RSRC2:TGID_X_EN: 1
; COMPUTE_PGM_RSRC2:TGID_Y_EN: 1
; COMPUTE_PGM_RSRC2:TGID_Z_EN: 1
; COMPUTE_PGM_RSRC2:TIDIG_COMP_CNT: 2
; COMPUTE_PGM_RSRC3_GFX90A:ACCUM_OFFSET: 25
; COMPUTE_PGM_RSRC3_GFX90A:TG_SPLIT: 0
	.section	.text._ZL9mul_mat_fIfLi64ELi13ELi7ELb0EEvPKT_PKfPKiPfiiiiiiiiiiiiiiii,"axG",@progbits,_ZL9mul_mat_fIfLi64ELi13ELi7ELb0EEvPKT_PKfPKiPfiiiiiiiiiiiiiiii,comdat
	.globl	_ZL9mul_mat_fIfLi64ELi13ELi7ELb0EEvPKT_PKfPKiPfiiiiiiiiiiiiiiii ; -- Begin function _ZL9mul_mat_fIfLi64ELi13ELi7ELb0EEvPKT_PKfPKiPfiiiiiiiiiiiiiiii
	.p2align	8
	.type	_ZL9mul_mat_fIfLi64ELi13ELi7ELb0EEvPKT_PKfPKiPfiiiiiiiiiiiiiiii,@function
_ZL9mul_mat_fIfLi64ELi13ELi7ELb0EEvPKT_PKfPKiPfiiiiiiiiiiiiiiii: ; @_ZL9mul_mat_fIfLi64ELi13ELi7ELb0EEvPKT_PKfPKiPfiiiiiiiiiiiiiiii
; %bb.0:
	s_load_dwordx8 s[12:19], s[4:5], 0x40
	s_load_dword s9, s[4:5], 0x20
	s_load_dwordx4 s[0:3], s[4:5], 0x2c
	v_bfe_u32 v25, v0, 10, 10
	v_lshlrev_b32_e32 v91, 6, v25
	v_and_b32_e32 v90, 0x3ff, v0
	s_waitcnt lgkmcnt(0)
	s_abs_i32 s27, s12
	s_abs_i32 s26, s16
	v_cvt_f32_u32_e32 v1, s27
	v_cvt_f32_u32_e32 v2, s26
	v_add_u32_e32 v93, v91, v90
	s_mov_b32 s22, 0
	v_rcp_iflag_f32_e32 v1, v1
	v_rcp_iflag_f32_e32 v2, v2
	s_ashr_i32 s28, s8, 31
	v_cmp_le_i32_e32 vcc, s9, v93
	v_mul_f32_e32 v1, 0x4f7ffffe, v1
	v_mul_f32_e32 v2, 0x4f7ffffe, v2
	v_cvt_u32_f32_e32 v1, v1
	v_cvt_u32_f32_e32 v2, v2
	v_and_b32_e32 v92, 15, v90
	v_readfirstlane_b32 s21, v1
	v_readfirstlane_b32 s20, v2
	s_and_saveexec_b64 s[10:11], vcc
	s_xor_b64 s[10:11], exec, s[10:11]
; %bb.1:
	v_and_b32_e32 v92, 15, v90
                                        ; implicit-def: $vgpr93
; %bb.2:
	s_or_saveexec_b64 s[24:25], s[10:11]
	s_load_dwordx2 s[10:11], s[4:5], 0x18
	s_lshl_b32 s3, s6, 6
	v_mov_b32_e32 v3, s22
	v_mov_b32_e32 v2, s22
	;; [unrolled: 1-line block ×16, first 2 shown]
	s_xor_b64 exec, exec, s[24:25]
	s_cbranch_execz .LBB95_6
; %bb.3:
	s_sub_i32 s6, 0, s27
	s_sub_i32 s22, 0, s26
	s_mul_i32 s6, s6, s21
	s_mul_i32 s22, s22, s20
	s_mul_hi_u32 s6, s21, s6
	s_mul_hi_u32 s22, s20, s22
	s_abs_i32 s29, s7
	s_add_i32 s6, s21, s6
	s_add_i32 s31, s20, s22
	s_load_dwordx4 s[20:23], s[4:5], 0x0
	s_mul_hi_u32 s4, s29, s6
	s_ashr_i32 s6, s7, 31
	s_ashr_i32 s12, s12, 31
	s_xor_b32 s6, s6, s12
	s_mul_i32 s12, s4, s27
	s_abs_i32 s30, s8
	s_sub_i32 s12, s29, s12
	s_mul_hi_u32 s5, s30, s31
	s_ashr_i32 s16, s16, 31
	s_add_i32 s29, s4, 1
	s_sub_i32 s31, s12, s27
	s_cmp_ge_u32 s12, s27
	s_cselect_b32 s4, s29, s4
	s_cselect_b32 s12, s31, s12
	s_add_i32 s29, s4, 1
	s_cmp_ge_u32 s12, s27
	s_cselect_b32 s4, s29, s4
	s_mul_i32 s12, s5, s26
	s_xor_b32 s4, s4, s6
	s_sub_i32 s12, s30, s12
	s_sub_i32 s6, s4, s6
	s_xor_b32 s4, s28, s16
	s_add_i32 s16, s5, 1
	s_sub_i32 s27, s12, s26
	s_cmp_ge_u32 s12, s26
	s_cselect_b32 s5, s16, s5
	s_cselect_b32 s12, s27, s12
	s_add_i32 s16, s5, 1
	s_cmp_ge_u32 s12, s26
	s_cselect_b32 s5, s16, s5
	s_xor_b32 s5, s5, s4
	s_sub_i32 s4, s5, s4
	s_mul_i32 s12, s6, s13
	s_mul_i32 s16, s3, s0
	s_mul_hi_i32 s5, s4, s17
	s_mul_i32 s4, s4, s17
	s_ashr_i32 s13, s12, 31
	s_ashr_i32 s17, s16, 31
	s_lshl_b64 s[30:31], s[4:5], 2
	s_lshl_b64 s[4:5], s[16:17], 2
	;; [unrolled: 1-line block ×3, first 2 shown]
	s_waitcnt lgkmcnt(0)
	s_add_u32 s6, s20, s12
	s_addc_u32 s12, s21, s13
	s_add_u32 s6, s6, s4
	s_mul_i32 s28, s7, s14
	s_addc_u32 s14, s12, s5
	s_add_u32 s4, s6, s30
	s_mul_hi_i32 s27, s18, s8
	s_mul_i32 s26, s18, s8
	s_addc_u32 s88, s14, s31
	s_ashr_i32 s29, s28, 31
	s_lshl_b64 s[12:13], s[26:27], 2
	s_lshl_b64 s[16:17], s[28:29], 2
	s_add_u32 s18, s22, s16
	s_addc_u32 s22, s23, s17
	s_add_u32 s5, s18, s12
	s_movk_i32 s16, 0x1080
	v_lshrrev_b32_e32 v2, 1, v90
	s_addc_u32 s89, s22, s13
	v_mad_u32_u24 v0, v25, s16, 0
	v_lshlrev_b32_e32 v16, 2, v90
	v_mul_u32_u24_e32 v1, 0x108, v92
	v_and_b32_e32 v2, 0x1f8, v2
	s_ashr_i32 s17, s0, 31
	s_mov_b32 s16, s0
	v_add_u32_e32 v94, v0, v16
	v_add3_u32 v95, v0, v1, v2
	s_ashr_i32 s21, s1, 31
	v_lshlrev_b32_e32 v0, 8, v25
	s_lshl_b64 s[16:17], s[16:17], 2
	v_mov_b32_e32 v1, s31
	v_add_co_u32_e32 v2, vcc, s30, v0
	s_add_u32 s16, s6, s16
	v_addc_co_u32_e32 v1, vcc, 0, v1, vcc
	s_addc_u32 s17, s14, s17
	v_mov_b32_e32 v3, s17
	v_add_co_u32_e32 v18, vcc, s16, v2
	v_addc_co_u32_e32 v17, vcc, v3, v1, vcc
	v_mov_b32_e32 v3, s14
	v_add_co_u32_e32 v20, vcc, s6, v2
	s_mov_b32 s20, s1
	v_addc_co_u32_e32 v19, vcc, v3, v1, vcc
	v_mov_b32_e32 v1, s13
	v_add_co_u32_e32 v0, vcc, s12, v0
	s_lshl_b64 s[12:13], s[20:21], 2
	s_add_u32 s6, s18, s12
	v_addc_co_u32_e32 v1, vcc, 0, v1, vcc
	s_addc_u32 s12, s22, s13
	v_mov_b32_e32 v2, s12
	v_add_co_u32_e32 v22, vcc, s6, v0
	v_addc_co_u32_e32 v21, vcc, v2, v1, vcc
	v_mov_b32_e32 v96, 0
	v_mov_b32_e32 v2, s22
	v_add_co_u32_e32 v24, vcc, s18, v0
	v_addc_co_u32_e32 v23, vcc, v2, v1, vcc
	s_lshl_b32 s6, s1, 1
	s_mul_i32 s12, s1, 3
	s_lshl_b32 s13, s1, 2
	s_mul_i32 s14, s1, 5
	s_mul_i32 s16, s1, 6
	;; [unrolled: 1-line block ×3, first 2 shown]
	s_lshl_b32 s18, s1, 3
	s_mul_i32 s20, s1, 9
	s_mul_i32 s21, s1, 10
	;; [unrolled: 1-line block ×4, first 2 shown]
	s_lshl_b32 s26, s0, 1
	s_mul_i32 s27, s0, 3
	s_lshl_b32 s28, s0, 2
	s_mul_i32 s29, s0, 5
	s_mul_i32 s30, s0, 6
	;; [unrolled: 1-line block ×3, first 2 shown]
	s_lshl_b32 s33, s0, 3
	s_mul_i32 s34, s0, 9
	s_mul_i32 s35, s0, 10
	;; [unrolled: 1-line block ×7, first 2 shown]
	s_lshl_b32 s41, s0, 4
	s_mul_i32 s42, s0, 17
	s_mul_i32 s43, s0, 18
	;; [unrolled: 1-line block ×15, first 2 shown]
	s_lshl_b32 s57, s0, 5
	s_mul_i32 s58, s0, 33
	s_mul_i32 s59, s0, 34
	;; [unrolled: 1-line block ×30, first 2 shown]
	v_mov_b32_e32 v97, s88
	s_mul_i32 s88, s0, 63
	v_mov_b32_e32 v98, s89
	v_mov_b32_e32 v4, 0
	;; [unrolled: 1-line block ×17, first 2 shown]
	s_mov_b64 s[0:1], 0
.LBB95_4:                               ; =>This Inner Loop Header: Depth=1
	v_add_co_u32_e32 v26, vcc, v20, v16
	v_addc_co_u32_e32 v27, vcc, 0, v19, vcc
	global_load_dword v26, v[26:27], off
	v_add_u32_e32 v42, s41, v93
	v_ashrrev_i32_e32 v43, 31, v42
	v_lshlrev_b64 v[42:43], 2, v[42:43]
	v_add_u32_e32 v58, s57, v93
	v_ashrrev_i32_e32 v59, 31, v58
	v_lshlrev_b64 v[58:59], 2, v[58:59]
	;; [unrolled: 3-line block ×3, first 2 shown]
	s_waitcnt vmcnt(0)
	ds_write_b32 v94, v26
	v_add_co_u32_e32 v26, vcc, v18, v16
	v_addc_co_u32_e32 v27, vcc, 0, v17, vcc
	global_load_dword v26, v[26:27], off
	s_waitcnt vmcnt(0)
	ds_write_b32 v94, v26 offset:264
	v_add_u32_e32 v26, s26, v93
	v_ashrrev_i32_e32 v27, 31, v26
	v_lshlrev_b64 v[26:27], 2, v[26:27]
	v_add_co_u32_e32 v26, vcc, s4, v26
	v_addc_co_u32_e32 v27, vcc, v97, v27, vcc
	global_load_dword v26, v[26:27], off
	s_waitcnt vmcnt(0)
	ds_write_b32 v94, v26 offset:528
	v_add_u32_e32 v26, s27, v93
	v_ashrrev_i32_e32 v27, 31, v26
	v_lshlrev_b64 v[26:27], 2, v[26:27]
	;; [unrolled: 8-line block ×14, first 2 shown]
	v_add_co_u32_e32 v26, vcc, s4, v26
	v_addc_co_u32_e32 v27, vcc, v97, v27, vcc
	global_load_dword v26, v[26:27], off
	v_add_co_u32_e32 v42, vcc, s4, v42
	v_addc_co_u32_e32 v43, vcc, v97, v43, vcc
	s_waitcnt vmcnt(0)
	ds_write_b32 v94, v26 offset:3960
	ds_read_b64 v[40:41], v95
	ds_read_b64 v[38:39], v95 offset:32
	ds_read_b64 v[36:37], v95 offset:64
	;; [unrolled: 1-line block ×7, first 2 shown]
	global_load_dword v42, v[42:43], off
	s_waitcnt vmcnt(0)
	ds_write_b32 v94, v42
	v_add_u32_e32 v42, s42, v93
	v_ashrrev_i32_e32 v43, 31, v42
	v_lshlrev_b64 v[42:43], 2, v[42:43]
	v_add_co_u32_e32 v42, vcc, s4, v42
	v_addc_co_u32_e32 v43, vcc, v97, v43, vcc
	global_load_dword v42, v[42:43], off
	s_waitcnt vmcnt(0)
	ds_write_b32 v94, v42 offset:264
	v_add_u32_e32 v42, s43, v93
	v_ashrrev_i32_e32 v43, 31, v42
	v_lshlrev_b64 v[42:43], 2, v[42:43]
	v_add_co_u32_e32 v42, vcc, s4, v42
	v_addc_co_u32_e32 v43, vcc, v97, v43, vcc
	global_load_dword v42, v[42:43], off
	s_waitcnt vmcnt(0)
	ds_write_b32 v94, v42 offset:528
	;; [unrolled: 8-line block ×14, first 2 shown]
	v_add_u32_e32 v42, s56, v93
	v_ashrrev_i32_e32 v43, 31, v42
	v_lshlrev_b64 v[42:43], 2, v[42:43]
	v_add_co_u32_e32 v42, vcc, s4, v42
	v_addc_co_u32_e32 v43, vcc, v97, v43, vcc
	global_load_dword v42, v[42:43], off
	v_add_co_u32_e32 v58, vcc, s4, v58
	v_addc_co_u32_e32 v59, vcc, v97, v59, vcc
	s_waitcnt vmcnt(0)
	ds_write_b32 v94, v42 offset:3960
	ds_read_b64 v[56:57], v95
	ds_read_b64 v[54:55], v95 offset:32
	ds_read_b64 v[52:53], v95 offset:64
	;; [unrolled: 1-line block ×7, first 2 shown]
	global_load_dword v58, v[58:59], off
	s_waitcnt vmcnt(0)
	ds_write_b32 v94, v58
	v_add_u32_e32 v58, s58, v93
	v_ashrrev_i32_e32 v59, 31, v58
	v_lshlrev_b64 v[58:59], 2, v[58:59]
	v_add_co_u32_e32 v58, vcc, s4, v58
	v_addc_co_u32_e32 v59, vcc, v97, v59, vcc
	global_load_dword v58, v[58:59], off
	s_waitcnt vmcnt(0)
	ds_write_b32 v94, v58 offset:264
	v_add_u32_e32 v58, s59, v93
	v_ashrrev_i32_e32 v59, 31, v58
	v_lshlrev_b64 v[58:59], 2, v[58:59]
	v_add_co_u32_e32 v58, vcc, s4, v58
	v_addc_co_u32_e32 v59, vcc, v97, v59, vcc
	global_load_dword v58, v[58:59], off
	s_waitcnt vmcnt(0)
	ds_write_b32 v94, v58 offset:528
	;; [unrolled: 8-line block ×14, first 2 shown]
	v_add_u32_e32 v58, s72, v93
	v_ashrrev_i32_e32 v59, 31, v58
	v_lshlrev_b64 v[58:59], 2, v[58:59]
	v_add_co_u32_e32 v58, vcc, s4, v58
	v_addc_co_u32_e32 v59, vcc, v97, v59, vcc
	global_load_dword v58, v[58:59], off
	v_add_co_u32_e32 v74, vcc, s4, v74
	v_addc_co_u32_e32 v75, vcc, v97, v75, vcc
	s_waitcnt vmcnt(0)
	ds_write_b32 v94, v58 offset:3960
	ds_read_b64 v[72:73], v95
	ds_read_b64 v[70:71], v95 offset:32
	ds_read_b64 v[68:69], v95 offset:64
	;; [unrolled: 1-line block ×7, first 2 shown]
	global_load_dword v74, v[74:75], off
	s_waitcnt vmcnt(0)
	ds_write_b32 v94, v74
	v_add_u32_e32 v74, s74, v93
	v_ashrrev_i32_e32 v75, 31, v74
	v_lshlrev_b64 v[74:75], 2, v[74:75]
	v_add_co_u32_e32 v74, vcc, s4, v74
	v_addc_co_u32_e32 v75, vcc, v97, v75, vcc
	global_load_dword v74, v[74:75], off
	s_waitcnt vmcnt(0)
	ds_write_b32 v94, v74 offset:264
	v_add_u32_e32 v74, s75, v93
	v_ashrrev_i32_e32 v75, 31, v74
	v_lshlrev_b64 v[74:75], 2, v[74:75]
	v_add_co_u32_e32 v74, vcc, s4, v74
	v_addc_co_u32_e32 v75, vcc, v97, v75, vcc
	global_load_dword v74, v[74:75], off
	s_waitcnt vmcnt(0)
	ds_write_b32 v94, v74 offset:528
	;; [unrolled: 8-line block ×14, first 2 shown]
	v_add_u32_e32 v74, s88, v93
	v_ashrrev_i32_e32 v75, 31, v74
	v_lshlrev_b64 v[74:75], 2, v[74:75]
	v_add_co_u32_e32 v74, vcc, s4, v74
	v_addc_co_u32_e32 v75, vcc, v97, v75, vcc
	global_load_dword v74, v[74:75], off
	v_add_co_u32_e32 v100, vcc, v24, v16
	v_addc_co_u32_e32 v101, vcc, 0, v23, vcc
	s_waitcnt vmcnt(0)
	ds_write_b32 v94, v74 offset:3960
	ds_read_b64 v[88:89], v95
	ds_read_b64 v[86:87], v95 offset:32
	ds_read_b64 v[84:85], v95 offset:64
	ds_read_b64 v[82:83], v95 offset:96
	ds_read_b64 v[80:81], v95 offset:128
	ds_read_b64 v[78:79], v95 offset:160
	ds_read_b64 v[76:77], v95 offset:192
	ds_read_b64 v[74:75], v95 offset:224
	global_load_dword v99, v[100:101], off
	v_add_co_u32_e32 v100, vcc, v22, v16
	v_addc_co_u32_e32 v101, vcc, 0, v21, vcc
	s_waitcnt vmcnt(0)
	ds_write_b32 v94, v99
	global_load_dword v99, v[100:101], off
	v_add_u32_e32 v100, s6, v93
	v_ashrrev_i32_e32 v101, 31, v100
	v_lshlrev_b64 v[100:101], 2, v[100:101]
	v_add_co_u32_e32 v100, vcc, s5, v100
	v_addc_co_u32_e32 v101, vcc, v98, v101, vcc
	s_waitcnt vmcnt(0)
	ds_write_b32 v94, v99 offset:264
	global_load_dword v99, v[100:101], off
	v_add_u32_e32 v100, s12, v93
	v_ashrrev_i32_e32 v101, 31, v100
	v_lshlrev_b64 v[100:101], 2, v[100:101]
	v_add_co_u32_e32 v100, vcc, s5, v100
	v_addc_co_u32_e32 v101, vcc, v98, v101, vcc
	s_waitcnt vmcnt(0)
	ds_write_b32 v94, v99 offset:528
	;; [unrolled: 8-line block ×10, first 2 shown]
	global_load_dword v99, v[100:101], off
	v_add_u32_e32 v100, s23, v93
	v_ashrrev_i32_e32 v101, 31, v100
	v_lshlrev_b64 v[100:101], 2, v[100:101]
	v_add_co_u32_e32 v100, vcc, s5, v100
	v_addc_co_u32_e32 v101, vcc, v98, v101, vcc
	v_add_co_u32_e32 v18, vcc, 0x700, v18
	v_addc_co_u32_e32 v17, vcc, 0, v17, vcc
	;; [unrolled: 2-line block ×4, first 2 shown]
	v_add_co_u32_e32 v24, vcc, 0x700, v24
	v_add_u32_e32 v93, 0x1c0, v93
	v_addc_co_u32_e32 v23, vcc, 0, v23, vcc
	v_cmp_le_i32_e32 vcc, s9, v93
	s_or_b64 s[0:1], vcc, s[0:1]
	s_waitcnt vmcnt(0)
	ds_write_b32 v94, v99 offset:2904
	global_load_dword v99, v[100:101], off
	s_waitcnt vmcnt(0)
	ds_write_b32 v94, v99 offset:3168
	ds_write_b32 v94, v96 offset:3432
	;; [unrolled: 1-line block ×4, first 2 shown]
	ds_read_b64 v[100:101], v95
	ds_read_b64 v[102:103], v95 offset:32
	s_waitcnt lgkmcnt(1)
	v_mfma_f32_16x16x4f32 v[0:3], v40, v100, v[0:3]
	v_mfma_f32_16x16x4f32 v[12:15], v56, v100, v[12:15]
	;; [unrolled: 1-line block ×8, first 2 shown]
	s_waitcnt lgkmcnt(0)
	v_mfma_f32_16x16x4f32 v[0:3], v38, v102, v[0:3]
	v_mfma_f32_16x16x4f32 v[12:15], v54, v102, v[12:15]
	v_mfma_f32_16x16x4f32 v[8:11], v70, v102, v[8:11]
	v_mfma_f32_16x16x4f32 v[4:7], v86, v102, v[4:7]
	v_mfma_f32_16x16x4f32 v[0:3], v39, v103, v[0:3]
	ds_read_b64 v[38:39], v95 offset:64
	v_mfma_f32_16x16x4f32 v[12:15], v55, v103, v[12:15]
	v_mfma_f32_16x16x4f32 v[8:11], v71, v103, v[8:11]
	v_mfma_f32_16x16x4f32 v[4:7], v87, v103, v[4:7]
	s_waitcnt lgkmcnt(0)
	v_mfma_f32_16x16x4f32 v[0:3], v36, v38, v[0:3]
	v_mfma_f32_16x16x4f32 v[12:15], v52, v38, v[12:15]
	v_mfma_f32_16x16x4f32 v[8:11], v68, v38, v[8:11]
	v_mfma_f32_16x16x4f32 v[4:7], v84, v38, v[4:7]
	v_mfma_f32_16x16x4f32 v[0:3], v37, v39, v[0:3]
	ds_read_b64 v[36:37], v95 offset:96
	v_mfma_f32_16x16x4f32 v[12:15], v53, v39, v[12:15]
	v_mfma_f32_16x16x4f32 v[8:11], v69, v39, v[8:11]
	v_mfma_f32_16x16x4f32 v[4:7], v85, v39, v[4:7]
	;; [unrolled: 10-line block ×6, first 2 shown]
	s_waitcnt lgkmcnt(0)
	v_mfma_f32_16x16x4f32 v[0:3], v26, v28, v[0:3]
	v_mfma_f32_16x16x4f32 v[12:15], v42, v28, v[12:15]
	;; [unrolled: 1-line block ×8, first 2 shown]
	s_andn2_b64 exec, exec, s[0:1]
	s_cbranch_execnz .LBB95_4
; %bb.5:
	s_or_b64 exec, exec, s[0:1]
.LBB95_6:
	s_or_b64 exec, exec, s[24:25]
	v_mul_u32_u24_e32 v16, 0x708, v92
	v_lshlrev_b32_e32 v17, 2, v91
	s_mul_hi_i32 s1, s19, s8
	s_mul_i32 s0, s19, s8
	v_add3_u32 v16, 0, v16, v17
	v_and_b32_e32 v17, 0x3f0, v90
	s_lshl_b64 s[0:1], s[0:1], 2
	v_add_u32_e32 v17, v16, v17
	s_mul_i32 s4, s7, s15
	s_waitcnt lgkmcnt(0)
	s_add_u32 s6, s10, s0
	s_barrier
	ds_write2_b32 v17, v0, v1 offset1:1
	ds_write_b32 v17, v2 offset:8
	v_or_b32_e32 v0, 12, v90
	s_addc_u32 s7, s11, s1
	s_ashr_i32 s5, s4, 31
	v_and_b32_e32 v0, 0x3fc, v0
	s_lshl_b64 s[0:1], s[4:5], 2
	s_movk_i32 s4, 0x708
	v_add_u32_e32 v0, v16, v0
	v_lshl_add_u32 v2, v90, 2, 0
	ds_write_b32 v0, v3
	ds_write2_b32 v17, v12, v13 offset0:16 offset1:17
	ds_write_b32 v17, v14 offset:72
	ds_write_b32 v0, v15 offset:64
	ds_write2_b32 v17, v8, v9 offset0:32 offset1:33
	ds_write_b32 v17, v10 offset:136
	ds_write_b32 v0, v11 offset:128
	ds_write2_b32 v17, v4, v5 offset0:48 offset1:49
	ds_write_b32 v17, v6 offset:200
	ds_write_b32 v0, v7 offset:192
	v_mad_u32_u24 v3, v25, s4, v2
	s_waitcnt lgkmcnt(0)
	s_barrier
	ds_read2st64_b32 v[0:1], v3 offset1:1
	ds_read2st64_b32 v[4:5], v3 offset0:2 offset1:3
	ds_read2st64_b32 v[6:7], v3 offset0:4 offset1:5
	ds_read_b32 v3, v3 offset:1536
	s_add_u32 s0, s6, s0
	s_addc_u32 s1, s7, s1
	s_waitcnt lgkmcnt(3)
	v_add_f32_e32 v0, 0, v0
	v_add_f32_e32 v0, v0, v1
	s_waitcnt lgkmcnt(2)
	v_add_f32_e32 v0, v0, v4
	v_add_f32_e32 v0, v0, v5
	;; [unrolled: 3-line block ×3, first 2 shown]
	s_waitcnt lgkmcnt(0)
	v_add_f32_e32 v3, v0, v3
	v_mul_lo_u32 v0, v25, s2
	v_add3_u32 v0, s3, v90, v0
	v_mov_b32_e32 v1, 0
	v_lshlrev_b64 v[4:5], 2, v[0:1]
	v_mov_b32_e32 v6, s1
	v_add_co_u32_e32 v4, vcc, s0, v4
	v_addc_co_u32_e32 v5, vcc, v6, v5, vcc
	v_cmp_gt_u32_e32 vcc, 6, v25
	global_store_dword v[4:5], v3, off
	s_and_saveexec_b64 s[4:5], vcc
	s_cbranch_execz .LBB95_8
; %bb.7:
	v_mul_u32_u24_e32 v3, 0x708, v25
	v_add_u32_e32 v6, v3, v2
	v_add_u32_e32 v7, 56, v6
	ds_read2st64_b32 v[2:3], v7 offset0:49 offset1:50
	ds_read2st64_b32 v[4:5], v7 offset0:51 offset1:52
	ds_read_b32 v8, v6 offset:14136
	ds_read2st64_b32 v[6:7], v7 offset0:53 offset1:54
	s_waitcnt lgkmcnt(3)
	v_add_f32_e32 v2, 0, v2
	v_add_f32_e32 v2, v2, v3
	s_waitcnt lgkmcnt(2)
	v_add_f32_e32 v2, v2, v4
	v_add_f32_e32 v2, v2, v5
	;; [unrolled: 3-line block ×3, first 2 shown]
	v_add_f32_e32 v4, v2, v8
	v_mad_u64_u32 v[2:3], s[2:3], s2, 7, v[0:1]
	v_mov_b32_e32 v3, v1
	v_lshlrev_b64 v[0:1], 2, v[2:3]
	v_mov_b32_e32 v2, s1
	v_add_co_u32_e32 v0, vcc, s0, v0
	v_addc_co_u32_e32 v1, vcc, v2, v1, vcc
	global_store_dword v[0:1], v4, off
.LBB95_8:
	s_endpgm
	.section	.rodata,"a",@progbits
	.p2align	6, 0x0
	.amdhsa_kernel _ZL9mul_mat_fIfLi64ELi13ELi7ELb0EEvPKT_PKfPKiPfiiiiiiiiiiiiiiii
		.amdhsa_group_segment_fixed_size 0
		.amdhsa_private_segment_fixed_size 0
		.amdhsa_kernarg_size 96
		.amdhsa_user_sgpr_count 6
		.amdhsa_user_sgpr_private_segment_buffer 1
		.amdhsa_user_sgpr_dispatch_ptr 0
		.amdhsa_user_sgpr_queue_ptr 0
		.amdhsa_user_sgpr_kernarg_segment_ptr 1
		.amdhsa_user_sgpr_dispatch_id 0
		.amdhsa_user_sgpr_flat_scratch_init 0
		.amdhsa_user_sgpr_kernarg_preload_length 0
		.amdhsa_user_sgpr_kernarg_preload_offset 0
		.amdhsa_user_sgpr_private_segment_size 0
		.amdhsa_uses_dynamic_stack 0
		.amdhsa_system_sgpr_private_segment_wavefront_offset 0
		.amdhsa_system_sgpr_workgroup_id_x 1
		.amdhsa_system_sgpr_workgroup_id_y 1
		.amdhsa_system_sgpr_workgroup_id_z 1
		.amdhsa_system_sgpr_workgroup_info 0
		.amdhsa_system_vgpr_workitem_id 1
		.amdhsa_next_free_vgpr 104
		.amdhsa_next_free_sgpr 90
		.amdhsa_accum_offset 104
		.amdhsa_reserve_vcc 1
		.amdhsa_reserve_flat_scratch 0
		.amdhsa_float_round_mode_32 0
		.amdhsa_float_round_mode_16_64 0
		.amdhsa_float_denorm_mode_32 3
		.amdhsa_float_denorm_mode_16_64 3
		.amdhsa_dx10_clamp 1
		.amdhsa_ieee_mode 1
		.amdhsa_fp16_overflow 0
		.amdhsa_tg_split 0
		.amdhsa_exception_fp_ieee_invalid_op 0
		.amdhsa_exception_fp_denorm_src 0
		.amdhsa_exception_fp_ieee_div_zero 0
		.amdhsa_exception_fp_ieee_overflow 0
		.amdhsa_exception_fp_ieee_underflow 0
		.amdhsa_exception_fp_ieee_inexact 0
		.amdhsa_exception_int_div_zero 0
	.end_amdhsa_kernel
	.section	.text._ZL9mul_mat_fIfLi64ELi13ELi7ELb0EEvPKT_PKfPKiPfiiiiiiiiiiiiiiii,"axG",@progbits,_ZL9mul_mat_fIfLi64ELi13ELi7ELb0EEvPKT_PKfPKiPfiiiiiiiiiiiiiiii,comdat
.Lfunc_end95:
	.size	_ZL9mul_mat_fIfLi64ELi13ELi7ELb0EEvPKT_PKfPKiPfiiiiiiiiiiiiiiii, .Lfunc_end95-_ZL9mul_mat_fIfLi64ELi13ELi7ELb0EEvPKT_PKfPKiPfiiiiiiiiiiiiiiii
                                        ; -- End function
	.section	.AMDGPU.csdata,"",@progbits
; Kernel info:
; codeLenInByte = 5816
; NumSgprs: 94
; NumVgprs: 104
; NumAgprs: 0
; TotalNumVgprs: 104
; ScratchSize: 0
; MemoryBound: 0
; FloatMode: 240
; IeeeMode: 1
; LDSByteSize: 0 bytes/workgroup (compile time only)
; SGPRBlocks: 11
; VGPRBlocks: 12
; NumSGPRsForWavesPerEU: 94
; NumVGPRsForWavesPerEU: 104
; AccumOffset: 104
; Occupancy: 4
; WaveLimiterHint : 0
; COMPUTE_PGM_RSRC2:SCRATCH_EN: 0
; COMPUTE_PGM_RSRC2:USER_SGPR: 6
; COMPUTE_PGM_RSRC2:TRAP_HANDLER: 0
; COMPUTE_PGM_RSRC2:TGID_X_EN: 1
; COMPUTE_PGM_RSRC2:TGID_Y_EN: 1
; COMPUTE_PGM_RSRC2:TGID_Z_EN: 1
; COMPUTE_PGM_RSRC2:TIDIG_COMP_CNT: 1
; COMPUTE_PGM_RSRC3_GFX90A:ACCUM_OFFSET: 25
; COMPUTE_PGM_RSRC3_GFX90A:TG_SPLIT: 0
	.section	.text._ZL13mul_mat_f_idsIfLi64ELi13ELi8EEvPKT_PKfPKiS6_S6_Pfiiiiiiiiiiiiii15HIP_vector_typeIjLj3EES9_,"axG",@progbits,_ZL13mul_mat_f_idsIfLi64ELi13ELi8EEvPKT_PKfPKiS6_S6_Pfiiiiiiiiiiiiii15HIP_vector_typeIjLj3EES9_,comdat
	.globl	_ZL13mul_mat_f_idsIfLi64ELi13ELi8EEvPKT_PKfPKiS6_S6_Pfiiiiiiiiiiiiii15HIP_vector_typeIjLj3EES9_ ; -- Begin function _ZL13mul_mat_f_idsIfLi64ELi13ELi8EEvPKT_PKfPKiS6_S6_Pfiiiiiiiiiiiiii15HIP_vector_typeIjLj3EES9_
	.p2align	8
	.type	_ZL13mul_mat_f_idsIfLi64ELi13ELi8EEvPKT_PKfPKiS6_S6_Pfiiiiiiiiiiiiii15HIP_vector_typeIjLj3EES9_,@function
_ZL13mul_mat_f_idsIfLi64ELi13ELi8EEvPKT_PKfPKiS6_S6_Pfiiiiiiiiiiiiii15HIP_vector_typeIjLj3EES9_: ; @_ZL13mul_mat_f_idsIfLi64ELi13ELi8EEvPKT_PKfPKiS6_S6_Pfiiiiiiiiiiiiii15HIP_vector_typeIjLj3EES9_
; %bb.0:
	s_load_dwordx2 s[0:1], s[4:5], 0x20
	s_mov_b32 s34, s7
	s_ashr_i32 s35, s7, 31
	s_lshl_b64 s[2:3], s[34:35], 2
	s_waitcnt lgkmcnt(0)
	s_add_u32 s0, s0, s2
	s_addc_u32 s1, s1, s3
	s_load_dwordx2 s[26:27], s[0:1], 0x0
	s_waitcnt lgkmcnt(0)
	s_sub_i32 s33, s27, s26
	s_add_i32 s0, s33, 12
	s_mul_hi_i32 s0, s0, 0x4ec4ec4f
	s_lshr_b32 s1, s0, 31
	s_ashr_i32 s0, s0, 2
	s_add_i32 s0, s0, s1
	s_cmp_ge_i32 s8, s0
	s_cbranch_scc1 .LBB96_53
; %bb.1:
	v_bfe_u32 v82, v0, 10, 10
	v_lshlrev_b32_e32 v84, 6, v82
	v_and_b32_e32 v83, 0x3ff, v0
	s_load_dwordx4 s[12:15], s[4:5], 0x30
	s_load_dwordx2 s[20:21], s[4:5], 0x40
	s_load_dwordx4 s[0:3], s[4:5], 0x4c
	s_load_dwordx4 s[16:19], s[4:5], 0x68
	s_load_dwordx2 s[24:25], s[4:5], 0x78
	v_add_u32_e32 v86, v84, v83
	s_ashr_i32 s27, s26, 31
	s_waitcnt lgkmcnt(0)
	v_cmp_le_i32_e32 vcc, s12, v86
	v_and_b32_e32 v85, 15, v83
                                        ; implicit-def: $sgpr3
	s_and_saveexec_b64 s[10:11], vcc
	s_xor_b64 s[10:11], exec, s[10:11]
; %bb.2:
	v_and_b32_e32 v85, 15, v83
	s_mov_b32 s3, 0
                                        ; implicit-def: $vgpr86
; %bb.3:
	s_or_saveexec_b64 s[22:23], s[10:11]
	s_load_dwordx2 s[10:11], s[4:5], 0x18
                                        ; implicit-def: $vgpr108 : SGPR spill to VGPR lane
	s_lshl_b32 s28, s6, 6
	s_mul_i32 s6, s8, 13
	v_mov_b32_e32 v15, s3
	v_mov_b32_e32 v14, s3
	s_waitcnt lgkmcnt(0)
	v_writelane_b32 v108, s10, 0
	v_writelane_b32 v108, s11, 1
	s_load_dwordx2 s[10:11], s[4:5], 0x28
	v_mov_b32_e32 v13, s3
	v_mov_b32_e32 v12, s3
	;; [unrolled: 1-line block ×4, first 2 shown]
	s_waitcnt lgkmcnt(0)
	v_writelane_b32 v108, s10, 2
	v_writelane_b32 v108, s11, 3
	v_mov_b32_e32 v5, s3
	v_mov_b32_e32 v4, s3
	;; [unrolled: 1-line block ×10, first 2 shown]
	v_writelane_b32 v108, s22, 4
	v_writelane_b32 v108, s23, 5
	s_xor_b64 exec, exec, s[22:23]
	s_cbranch_execz .LBB96_46
; %bb.4:
	v_writelane_b32 v108, s24, 6
	v_writelane_b32 v108, s25, 7
	s_load_dwordx4 s[8:11], s[4:5], 0x0
	s_load_dwordx2 s[22:23], s[4:5], 0x10
	s_mul_i32 s4, s34, s0
	s_mul_i32 s24, s28, s15
	s_ashr_i32 s5, s4, 31
	s_ashr_i32 s25, s24, 31
	s_lshl_b64 s[24:25], s[24:25], 2
	s_lshl_b64 s[4:5], s[4:5], 2
	s_add_u32 s3, s4, s24
	s_addc_u32 s24, s5, s25
	v_writelane_b32 v108, s28, 8
	s_waitcnt lgkmcnt(0)
	s_add_u32 s0, s3, s8
	s_addc_u32 s25, s24, s9
	v_writelane_b32 v108, s26, 9
	s_lshl_b64 s[4:5], s[26:27], 2
	v_writelane_b32 v108, s27, 10
	s_add_u32 s26, s22, s4
	s_addc_u32 s27, s23, s5
	s_movk_i32 s4, 0x1080
	s_cmp_lt_i32 s6, s33
	v_mad_u32_u24 v0, v82, s4, 0
	s_cselect_b64 s[4:5], -1, 0
	s_ashr_i32 s7, s6, 31
	s_lshl_b64 s[22:23], s[6:7], 2
	s_add_u32 s34, s26, s22
	s_addc_u32 s35, s27, s23
	s_add_i32 s7, s6, 1
	s_cmp_lt_i32 s7, s33
	s_cselect_b64 s[36:37], -1, 0
	s_add_i32 s7, s6, 2
	s_cmp_lt_i32 s7, s33
	s_cselect_b64 s[38:39], -1, 0
	;; [unrolled: 3-line block ×3, first 2 shown]
	s_add_i32 s7, s6, 4
	s_cmp_lt_i32 s7, s33
	v_lshrrev_b32_e32 v3, 1, v83
	s_cselect_b64 s[42:43], -1, 0
	s_add_i32 s7, s6, 5
	v_lshlrev_b32_e32 v1, 2, v83
	v_mul_u32_u24_e32 v2, 0x108, v85
	v_and_b32_e32 v3, 0x1f8, v3
	s_cmp_lt_i32 s7, s33
	v_add_u32_e32 v87, v0, v1
	v_add3_u32 v88, v0, v2, v3
	s_cselect_b64 s[44:45], -1, 0
	s_add_i32 s7, s6, 6
	v_lshlrev_b32_e32 v0, 8, v82
	s_cmp_lt_i32 s7, s33
	v_add_co_u32_e32 v0, vcc, s3, v0
	s_mul_i32 s3, s15, 3
	s_cselect_b64 s[46:47], -1, 0
	s_add_i32 s7, s6, 7
	v_writelane_b32 v108, s3, 11
	s_mul_i32 s3, s15, 5
	s_cmp_lt_i32 s7, s33
	v_writelane_b32 v108, s3, 12
	s_mul_i32 s3, s15, 6
	s_cselect_b64 s[48:49], -1, 0
	s_add_i32 s7, s6, 8
	v_writelane_b32 v108, s3, 13
	s_mul_i32 s3, s15, 7
	s_cmp_lt_i32 s7, s33
	v_writelane_b32 v108, s3, 14
	;; [unrolled: 7-line block ×4, first 2 shown]
	s_mul_i32 s3, s15, 13
	s_cselect_b64 s[54:55], -1, 0
	s_add_i32 s7, s6, 11
	v_writelane_b32 v108, s3, 19
	s_mul_i32 s3, s15, 14
	s_cmp_lt_i32 s7, s33
	v_mov_b32_e32 v2, s24
	v_writelane_b32 v108, s3, 20
	s_mul_i32 s3, s15, 15
	s_cselect_b64 s[56:57], -1, 0
	s_add_i32 s7, s6, 12
	v_addc_co_u32_e32 v2, vcc, 0, v2, vcc
	v_writelane_b32 v108, s3, 21
	s_mul_i32 s3, s15, 17
	s_cmp_lt_i32 s7, s33
	v_add_co_u32_e32 v0, vcc, v0, v1
	v_writelane_b32 v108, s3, 22
	s_mul_i32 s3, s15, 18
	s_cselect_b64 s[58:59], -1, 0
	s_ashr_i32 s23, s15, 31
	s_mov_b32 s22, s15
	v_addc_co_u32_e32 v1, vcc, 0, v2, vcc
	v_writelane_b32 v108, s3, 23
	s_mul_i32 s3, s15, 19
	s_lshl_b64 s[60:61], s[22:23], 2
	v_mov_b32_e32 v2, s9
	v_add_co_u32_e32 v16, vcc, s8, v0
	v_writelane_b32 v108, s3, 24
	s_mul_i32 s3, s15, 20
	v_mov_b32_e32 v0, 0
	v_addc_co_u32_e32 v17, vcc, v2, v1, vcc
	s_lshl_b32 s7, s15, 1
	s_lshl_b32 s63, s15, 2
	;; [unrolled: 1-line block ×4, first 2 shown]
	v_writelane_b32 v108, s3, 25
	s_mul_i32 s80, s15, 21
	s_mul_i32 s81, s15, 22
	;; [unrolled: 1-line block ×9, first 2 shown]
	v_mov_b32_e32 v89, s25
	s_mul_i32 s89, s15, 30
	v_mov_b32_e32 v90, s61
	v_mov_b32_e32 v91, 0
	;; [unrolled: 1-line block ×17, first 2 shown]
	s_mul_i32 s61, s15, 31
	s_lshl_b32 s90, s15, 5
	s_mul_i32 s91, s15, 33
	s_mul_i32 s92, s15, 34
	;; [unrolled: 1-line block ×31, first 2 shown]
	s_mov_b64 s[8:9], 0
	s_branch .LBB96_6
.LBB96_5:                               ;   in Loop: Header=BB96_6 Depth=1
	s_waitcnt vmcnt(0)
	ds_write2_b32 v87, v92, v94 offset1:66
	ds_write2_b32 v87, v93, v96 offset0:132 offset1:198
	v_add_u32_e32 v92, 0x400, v87
	ds_write2_b32 v92, v95, v98 offset0:8 offset1:74
	ds_write2_b32 v92, v97, v100 offset0:140 offset1:206
	v_add_u32_e32 v92, 0x800, v87
	ds_write2_b32 v92, v99, v102 offset0:16 offset1:82
	;; [unrolled: 3-line block ×3, first 2 shown]
	ds_write2_b32 v92, v91, v91 offset0:156 offset1:222
	ds_read2_b64 v[92:95], v88 offset1:4
	v_add_co_u32_e32 v16, vcc, 0x800, v16
	s_waitcnt lgkmcnt(0)
	v_mfma_f32_16x16x4f32 v[0:3], v46, v92, v[0:3]
	v_add_u32_e32 v86, 0x200, v86
	v_addc_co_u32_e32 v17, vcc, 0, v17, vcc
	v_cmp_le_i32_e32 vcc, s12, v86
	s_or_b64 s[8:9], vcc, s[8:9]
	v_mfma_f32_16x16x4f32 v[8:11], v58, v92, v[8:11]
	v_mfma_f32_16x16x4f32 v[4:7], v64, v92, v[4:7]
	;; [unrolled: 1-line block ×14, first 2 shown]
	ds_read2_b64 v[62:65], v88 offset0:8 offset1:12
	v_mfma_f32_16x16x4f32 v[12:15], v79, v95, v[12:15]
	s_waitcnt lgkmcnt(0)
	v_mfma_f32_16x16x4f32 v[0:3], v34, v62, v[0:3]
	v_mfma_f32_16x16x4f32 v[8:11], v50, v62, v[8:11]
	;; [unrolled: 1-line block ×14, first 2 shown]
	ds_read2_b64 v[44:47], v88 offset0:16 offset1:20
	v_mfma_f32_16x16x4f32 v[4:7], v57, v65, v[4:7]
	v_mfma_f32_16x16x4f32 v[12:15], v75, v65, v[12:15]
	s_waitcnt lgkmcnt(0)
	v_mfma_f32_16x16x4f32 v[0:3], v26, v44, v[0:3]
	v_mfma_f32_16x16x4f32 v[8:11], v38, v44, v[8:11]
	;; [unrolled: 1-line block ×14, first 2 shown]
	ds_read2_b64 v[30:33], v88 offset0:24 offset1:28
	v_mfma_f32_16x16x4f32 v[4:7], v49, v47, v[4:7]
	v_mfma_f32_16x16x4f32 v[12:15], v71, v47, v[12:15]
	s_waitcnt lgkmcnt(0)
	v_mfma_f32_16x16x4f32 v[0:3], v20, v30, v[0:3]
	v_mfma_f32_16x16x4f32 v[8:11], v28, v30, v[8:11]
	;; [unrolled: 1-line block ×16, first 2 shown]
	s_andn2_b64 exec, exec, s[8:9]
	s_cbranch_execz .LBB96_45
.LBB96_6:                               ; =>This Inner Loop Header: Depth=1
	v_add_co_u32_e32 v18, vcc, s60, v16
	v_addc_co_u32_e32 v19, vcc, v17, v90, vcc
	global_load_dword v30, v[16:17], off
	global_load_dword v31, v[18:19], off
	v_add_u32_e32 v18, s7, v86
	v_ashrrev_i32_e32 v19, 31, v18
	v_readlane_b32 s79, v108, 11
	v_lshlrev_b64 v[18:19], 2, v[18:19]
	v_add_u32_e32 v20, s79, v86
	v_add_co_u32_e32 v18, vcc, s0, v18
	v_ashrrev_i32_e32 v21, 31, v20
	v_addc_co_u32_e32 v19, vcc, v89, v19, vcc
	v_lshlrev_b64 v[20:21], 2, v[20:21]
	v_add_u32_e32 v22, s63, v86
	v_add_co_u32_e32 v20, vcc, s0, v20
	v_ashrrev_i32_e32 v23, 31, v22
	v_readlane_b32 s79, v108, 12
	v_addc_co_u32_e32 v21, vcc, v89, v21, vcc
	v_lshlrev_b64 v[22:23], 2, v[22:23]
	v_add_u32_e32 v24, s79, v86
	v_add_co_u32_e32 v22, vcc, s0, v22
	v_ashrrev_i32_e32 v25, 31, v24
	v_readlane_b32 s79, v108, 13
	;; [unrolled: 6-line block ×3, first 2 shown]
	v_addc_co_u32_e32 v25, vcc, v89, v25, vcc
	v_lshlrev_b64 v[26:27], 2, v[26:27]
	v_add_u32_e32 v28, s79, v86
	v_add_co_u32_e32 v26, vcc, s0, v26
	v_ashrrev_i32_e32 v29, 31, v28
	v_addc_co_u32_e32 v27, vcc, v89, v27, vcc
	v_lshlrev_b64 v[28:29], 2, v[28:29]
	v_add_co_u32_e32 v28, vcc, s0, v28
	v_addc_co_u32_e32 v29, vcc, v89, v29, vcc
	global_load_dword v32, v[18:19], off
	global_load_dword v33, v[20:21], off
	;; [unrolled: 1-line block ×3, first 2 shown]
	s_nop 0
	global_load_dword v24, v[24:25], off
	s_nop 0
	global_load_dword v25, v[26:27], off
	s_nop 0
	global_load_dword v26, v[28:29], off
	v_add_u32_e32 v18, s67, v86
	v_readlane_b32 s79, v108, 15
	v_ashrrev_i32_e32 v19, 31, v18
	v_add_u32_e32 v20, s79, v86
	v_lshlrev_b64 v[18:19], 2, v[18:19]
	v_readlane_b32 s79, v108, 16
	v_ashrrev_i32_e32 v21, 31, v20
	v_add_co_u32_e32 v18, vcc, s0, v18
	v_add_u32_e32 v22, s79, v86
	v_lshlrev_b64 v[20:21], 2, v[20:21]
	v_addc_co_u32_e32 v19, vcc, v89, v19, vcc
	v_ashrrev_i32_e32 v23, 31, v22
	v_add_co_u32_e32 v20, vcc, s0, v20
	v_readlane_b32 s79, v108, 17
	v_lshlrev_b64 v[22:23], 2, v[22:23]
	v_addc_co_u32_e32 v21, vcc, v89, v21, vcc
	global_load_dword v18, v[18:19], off
	s_nop 0
	global_load_dword v19, v[20:21], off
	v_add_u32_e32 v20, s79, v86
	v_add_co_u32_e32 v22, vcc, s0, v22
	v_ashrrev_i32_e32 v21, 31, v20
	v_addc_co_u32_e32 v23, vcc, v89, v23, vcc
	v_lshlrev_b64 v[20:21], 2, v[20:21]
	v_readlane_b32 s79, v108, 18
	v_add_u32_e32 v38, s82, v86
	v_ashrrev_i32_e32 v39, 31, v38
	v_lshlrev_b64 v[38:39], 2, v[38:39]
	v_add_u32_e32 v40, s83, v86
	v_ashrrev_i32_e32 v41, 31, v40
	v_lshlrev_b64 v[40:41], 2, v[40:41]
	;; [unrolled: 3-line block ×4, first 2 shown]
	v_add_u32_e32 v58, s23, v86
	v_ashrrev_i32_e32 v59, 31, v58
	s_waitcnt vmcnt(9)
	ds_write_b32 v87, v30
	s_waitcnt vmcnt(8)
	ds_write_b32 v87, v31 offset:264
	s_waitcnt vmcnt(7)
	ds_write_b32 v87, v32 offset:528
	;; [unrolled: 2-line block ×7, first 2 shown]
	v_add_co_u32_e32 v24, vcc, s0, v20
	v_add_u32_e32 v20, s79, v86
	v_addc_co_u32_e32 v25, vcc, v89, v21, vcc
	v_ashrrev_i32_e32 v21, 31, v20
	v_lshlrev_b64 v[20:21], 2, v[20:21]
	v_readlane_b32 s79, v108, 19
	v_add_co_u32_e32 v26, vcc, s0, v20
	v_add_u32_e32 v20, s79, v86
	v_addc_co_u32_e32 v27, vcc, v89, v21, vcc
	v_ashrrev_i32_e32 v21, 31, v20
	v_lshlrev_b64 v[20:21], 2, v[20:21]
	v_readlane_b32 s79, v108, 20
	;; [unrolled: 6-line block ×3, first 2 shown]
	v_add_co_u32_e32 v30, vcc, s0, v20
	v_add_u32_e32 v20, s79, v86
	v_addc_co_u32_e32 v31, vcc, v89, v21, vcc
	v_ashrrev_i32_e32 v21, 31, v20
	v_lshlrev_b64 v[20:21], 2, v[20:21]
	v_add_co_u32_e32 v32, vcc, s0, v20
	v_add_u32_e32 v20, s75, v86
	v_addc_co_u32_e32 v33, vcc, v89, v21, vcc
	v_ashrrev_i32_e32 v21, 31, v20
	v_lshlrev_b64 v[20:21], 2, v[20:21]
	v_readlane_b32 s79, v108, 22
	v_add_co_u32_e32 v34, vcc, s0, v20
	v_add_u32_e32 v20, s79, v86
	v_addc_co_u32_e32 v35, vcc, v89, v21, vcc
	v_ashrrev_i32_e32 v21, 31, v20
	v_lshlrev_b64 v[20:21], 2, v[20:21]
	v_add_co_u32_e32 v36, vcc, s0, v20
	v_readlane_b32 s79, v108, 23
	v_addc_co_u32_e32 v37, vcc, v89, v21, vcc
	global_load_dword v20, v[22:23], off
	global_load_dword v21, v[24:25], off
	s_nop 0
	global_load_dword v22, v[26:27], off
	global_load_dword v23, v[28:29], off
	s_nop 0
	global_load_dword v26, v[30:31], off
	global_load_dword v27, v[32:33], off
	;; [unrolled: 1-line block ×4, first 2 shown]
	v_add_u32_e32 v28, s79, v86
	v_ashrrev_i32_e32 v29, 31, v28
	v_readlane_b32 s79, v108, 24
	v_lshlrev_b64 v[28:29], 2, v[28:29]
	v_add_u32_e32 v30, s79, v86
	v_add_co_u32_e32 v28, vcc, s0, v28
	v_ashrrev_i32_e32 v31, 31, v30
	v_readlane_b32 s79, v108, 25
	v_addc_co_u32_e32 v29, vcc, v89, v29, vcc
	v_lshlrev_b64 v[30:31], 2, v[30:31]
	v_add_u32_e32 v32, s79, v86
	v_add_co_u32_e32 v30, vcc, s0, v30
	v_ashrrev_i32_e32 v33, 31, v32
	v_addc_co_u32_e32 v31, vcc, v89, v31, vcc
	v_lshlrev_b64 v[32:33], 2, v[32:33]
	v_add_u32_e32 v34, s80, v86
	v_add_co_u32_e32 v32, vcc, s0, v32
	v_ashrrev_i32_e32 v35, 31, v34
	;; [unrolled: 5-line block ×3, first 2 shown]
	v_addc_co_u32_e32 v35, vcc, v89, v35, vcc
	v_lshlrev_b64 v[36:37], 2, v[36:37]
	v_add_co_u32_e32 v36, vcc, s0, v36
	v_addc_co_u32_e32 v37, vcc, v89, v37, vcc
	v_add_co_u32_e32 v38, vcc, s0, v38
	v_addc_co_u32_e32 v39, vcc, v89, v39, vcc
	;; [unrolled: 2-line block ×4, first 2 shown]
	global_load_dword v28, v[28:29], off
	s_nop 0
	global_load_dword v29, v[30:31], off
	s_nop 0
	;; [unrolled: 2-line block ×6, first 2 shown]
	global_load_dword v38, v[40:41], off
	global_load_dword v39, v[42:43], off
	v_add_u32_e32 v30, s85, v86
	v_ashrrev_i32_e32 v31, 31, v30
	v_lshlrev_b64 v[30:31], 2, v[30:31]
	v_add_u32_e32 v34, s86, v86
	v_add_co_u32_e32 v30, vcc, s0, v30
	v_ashrrev_i32_e32 v35, 31, v34
	v_addc_co_u32_e32 v31, vcc, v89, v31, vcc
	v_lshlrev_b64 v[34:35], 2, v[34:35]
	v_add_u32_e32 v40, s87, v86
	v_add_co_u32_e32 v34, vcc, s0, v34
	v_ashrrev_i32_e32 v41, 31, v40
	v_addc_co_u32_e32 v35, vcc, v89, v35, vcc
	;; [unrolled: 5-line block ×3, first 2 shown]
	v_lshlrev_b64 v[42:43], 2, v[42:43]
	v_add_co_u32_e32 v42, vcc, s0, v42
	v_addc_co_u32_e32 v43, vcc, v89, v43, vcc
	v_add_co_u32_e32 v46, vcc, s0, v44
	v_add_u32_e32 v44, s61, v86
	v_addc_co_u32_e32 v47, vcc, v89, v45, vcc
	v_ashrrev_i32_e32 v45, 31, v44
	v_lshlrev_b64 v[44:45], 2, v[44:45]
	v_add_co_u32_e32 v52, vcc, s0, v44
	v_add_u32_e32 v44, s90, v86
	v_addc_co_u32_e32 v53, vcc, v89, v45, vcc
	v_ashrrev_i32_e32 v45, 31, v44
	v_lshlrev_b64 v[44:45], 2, v[44:45]
	;; [unrolled: 5-line block ×3, first 2 shown]
	v_add_co_u32_e32 v56, vcc, s0, v44
	v_addc_co_u32_e32 v57, vcc, v89, v45, vcc
	global_load_dword v44, v[30:31], off
	global_load_dword v45, v[34:35], off
	;; [unrolled: 1-line block ×6, first 2 shown]
	s_nop 0
	global_load_dword v42, v[54:55], off
	global_load_dword v43, v[56:57], off
	v_add_u32_e32 v30, s92, v86
	v_ashrrev_i32_e32 v31, 31, v30
	v_lshlrev_b64 v[30:31], 2, v[30:31]
	v_add_u32_e32 v34, s93, v86
	v_add_co_u32_e32 v30, vcc, s0, v30
	v_ashrrev_i32_e32 v35, 31, v34
	v_addc_co_u32_e32 v31, vcc, v89, v31, vcc
	v_lshlrev_b64 v[34:35], 2, v[34:35]
	v_add_u32_e32 v40, s94, v86
	v_add_co_u32_e32 v34, vcc, s0, v34
	v_ashrrev_i32_e32 v41, 31, v40
	v_addc_co_u32_e32 v35, vcc, v89, v35, vcc
	;; [unrolled: 5-line block ×6, first 2 shown]
	v_lshlrev_b64 v[56:57], 2, v[56:57]
	v_add_co_u32_e32 v56, vcc, s0, v56
	v_addc_co_u32_e32 v57, vcc, v89, v57, vcc
	v_lshlrev_b64 v[58:59], 2, v[58:59]
	v_add_co_u32_e32 v58, vcc, s0, v58
	v_addc_co_u32_e32 v59, vcc, v89, v59, vcc
	global_load_dword v60, v[30:31], off
	global_load_dword v61, v[34:35], off
	;; [unrolled: 1-line block ×8, first 2 shown]
	v_add_u32_e32 v30, s28, v86
	v_ashrrev_i32_e32 v31, 31, v30
	v_lshlrev_b64 v[30:31], 2, v[30:31]
	v_add_u32_e32 v34, s29, v86
	v_add_co_u32_e32 v30, vcc, s0, v30
	v_ashrrev_i32_e32 v35, 31, v34
	v_addc_co_u32_e32 v31, vcc, v89, v31, vcc
	v_lshlrev_b64 v[34:35], 2, v[34:35]
	v_add_u32_e32 v40, s3, v86
	v_add_co_u32_e32 v34, vcc, s0, v34
	v_ashrrev_i32_e32 v41, 31, v40
	v_addc_co_u32_e32 v35, vcc, v89, v35, vcc
	v_lshlrev_b64 v[40:41], 2, v[40:41]
	v_add_u32_e32 v46, s30, v86
	v_add_co_u32_e32 v40, vcc, s0, v40
	v_ashrrev_i32_e32 v47, 31, v46
	v_addc_co_u32_e32 v41, vcc, v89, v41, vcc
	v_lshlrev_b64 v[46:47], 2, v[46:47]
	v_add_u32_e32 v52, s31, v86
	v_add_co_u32_e32 v46, vcc, s0, v46
	v_ashrrev_i32_e32 v53, 31, v52
	v_addc_co_u32_e32 v47, vcc, v89, v47, vcc
	v_lshlrev_b64 v[52:53], 2, v[52:53]
	v_add_u32_e32 v54, s26, v86
	v_add_co_u32_e32 v52, vcc, s0, v52
	v_ashrrev_i32_e32 v55, 31, v54
	v_addc_co_u32_e32 v53, vcc, v89, v53, vcc
	v_lshlrev_b64 v[54:55], 2, v[54:55]
	v_add_u32_e32 v56, s27, v86
	v_add_co_u32_e32 v54, vcc, s0, v54
	v_ashrrev_i32_e32 v57, 31, v56
	v_addc_co_u32_e32 v55, vcc, v89, v55, vcc
	v_lshlrev_b64 v[56:57], 2, v[56:57]
	v_add_u32_e32 v58, s62, v86
	v_add_co_u32_e32 v56, vcc, s0, v56
	v_ashrrev_i32_e32 v59, 31, v58
	v_addc_co_u32_e32 v57, vcc, v89, v57, vcc
	v_lshlrev_b64 v[58:59], 2, v[58:59]
	v_add_co_u32_e32 v58, vcc, s0, v58
	v_addc_co_u32_e32 v59, vcc, v89, v59, vcc
	global_load_dword v68, v[30:31], off
	global_load_dword v69, v[34:35], off
	;; [unrolled: 1-line block ×8, first 2 shown]
	v_add_u32_e32 v30, s64, v86
	v_ashrrev_i32_e32 v31, 31, v30
	v_lshlrev_b64 v[30:31], 2, v[30:31]
	v_add_u32_e32 v34, s65, v86
	v_add_co_u32_e32 v30, vcc, s0, v30
	v_ashrrev_i32_e32 v35, 31, v34
	v_addc_co_u32_e32 v31, vcc, v89, v31, vcc
	v_lshlrev_b64 v[34:35], 2, v[34:35]
	v_add_u32_e32 v40, s66, v86
	v_add_co_u32_e32 v34, vcc, s0, v34
	v_ashrrev_i32_e32 v41, 31, v40
	v_addc_co_u32_e32 v35, vcc, v89, v35, vcc
	;; [unrolled: 5-line block ×7, first 2 shown]
	v_lshlrev_b64 v[58:59], 2, v[58:59]
	v_add_co_u32_e32 v58, vcc, s0, v58
	v_addc_co_u32_e32 v59, vcc, v89, v59, vcc
	global_load_dword v76, v[30:31], off
	global_load_dword v77, v[34:35], off
	;; [unrolled: 1-line block ×8, first 2 shown]
	v_add_u32_e32 v30, s73, v86
	v_ashrrev_i32_e32 v31, 31, v30
	v_lshlrev_b64 v[30:31], 2, v[30:31]
	v_add_u32_e32 v34, s74, v86
	v_add_co_u32_e32 v30, vcc, s0, v30
	v_ashrrev_i32_e32 v35, 31, v34
	v_addc_co_u32_e32 v31, vcc, v89, v31, vcc
	v_lshlrev_b64 v[34:35], 2, v[34:35]
	v_add_u32_e32 v40, s76, v86
	v_add_co_u32_e32 v34, vcc, s0, v34
	v_ashrrev_i32_e32 v41, 31, v40
	v_addc_co_u32_e32 v35, vcc, v89, v35, vcc
	;; [unrolled: 5-line block ×5, first 2 shown]
	v_lshlrev_b64 v[54:55], 2, v[54:55]
	v_add_co_u32_e32 v54, vcc, s0, v54
	v_addc_co_u32_e32 v55, vcc, v89, v55, vcc
	global_load_dword v94, v[30:31], off
	global_load_dword v95, v[34:35], off
	global_load_dword v96, v[40:41], off
	global_load_dword v97, v[46:47], off
	global_load_dword v98, v[52:53], off
	global_load_dword v99, v[54:55], off
	s_waitcnt vmcnt(55)
	ds_write_b32 v87, v18 offset:2112
	s_waitcnt vmcnt(54)
	ds_write_b32 v87, v19 offset:2376
	s_waitcnt vmcnt(53)
	ds_write_b32 v87, v20 offset:2640
	s_waitcnt vmcnt(52)
	ds_write_b32 v87, v21 offset:2904
	s_waitcnt vmcnt(51)
	ds_write_b32 v87, v22 offset:3168
	s_waitcnt vmcnt(50)
	ds_write_b32 v87, v23 offset:3432
	s_waitcnt vmcnt(49)
	ds_write_b32 v87, v26 offset:3696
	s_waitcnt vmcnt(48)
	ds_write_b32 v87, v27 offset:3960
	ds_read_b64 v[46:47], v88
	ds_read_b64 v[40:41], v88 offset:32
	ds_read_b64 v[34:35], v88 offset:64
	ds_read_b64 v[30:31], v88 offset:96
	ds_read_b64 v[26:27], v88 offset:128
	ds_read_b64 v[22:23], v88 offset:160
	ds_read_b64 v[20:21], v88 offset:192
	ds_read_b64 v[18:19], v88 offset:224
	s_waitcnt vmcnt(47)
	ds_write_b32 v87, v24
	s_waitcnt vmcnt(46)
	ds_write_b32 v87, v25 offset:264
	s_waitcnt vmcnt(45)
	ds_write_b32 v87, v28 offset:528
	s_waitcnt vmcnt(44)
	ds_write_b32 v87, v29 offset:792
	s_waitcnt vmcnt(43)
	ds_write_b32 v87, v32 offset:1056
	s_waitcnt vmcnt(42)
	ds_write_b32 v87, v33 offset:1320
	s_waitcnt vmcnt(41)
	ds_write_b32 v87, v36 offset:1584
	s_waitcnt vmcnt(40)
	ds_write_b32 v87, v37 offset:1848
	s_waitcnt vmcnt(39)
	ds_write_b32 v87, v38 offset:2112
	s_waitcnt vmcnt(38)
	ds_write_b32 v87, v39 offset:2376
	s_waitcnt vmcnt(37)
	ds_write_b32 v87, v44 offset:2640
	s_waitcnt vmcnt(36)
	ds_write_b32 v87, v45 offset:2904
	s_waitcnt vmcnt(35)
	ds_write_b32 v87, v48 offset:3168
	s_waitcnt vmcnt(34)
	ds_write_b32 v87, v49 offset:3432
	s_waitcnt vmcnt(33)
	ds_write_b32 v87, v50 offset:3696
	s_waitcnt vmcnt(32)
	ds_write_b32 v87, v51 offset:3960
	ds_read_b64 v[58:59], v88
	ds_read_b64 v[54:55], v88 offset:32
	ds_read_b64 v[50:51], v88 offset:64
	ds_read_b64 v[44:45], v88 offset:96
	ds_read_b64 v[38:39], v88 offset:128
	ds_read_b64 v[32:33], v88 offset:160
	ds_read_b64 v[28:29], v88 offset:192
	ds_read_b64 v[24:25], v88 offset:224
	s_waitcnt vmcnt(31)
	ds_write_b32 v87, v42
	s_waitcnt vmcnt(30)
	ds_write_b32 v87, v43 offset:264
	s_waitcnt vmcnt(29)
	ds_write_b32 v87, v60 offset:528
	s_waitcnt vmcnt(28)
	ds_write_b32 v87, v61 offset:792
	s_waitcnt vmcnt(27)
	ds_write_b32 v87, v62 offset:1056
	s_waitcnt vmcnt(26)
	ds_write_b32 v87, v63 offset:1320
	s_waitcnt vmcnt(25)
	ds_write_b32 v87, v64 offset:1584
	s_waitcnt vmcnt(24)
	ds_write_b32 v87, v65 offset:1848
	;; [unrolled: 40-line block ×3, first 2 shown]
	s_waitcnt vmcnt(7)
	ds_write_b32 v87, v92 offset:2112
	s_waitcnt vmcnt(6)
	ds_write_b32 v87, v93 offset:2376
	;; [unrolled: 2-line block ×8, first 2 shown]
	ds_read_b64 v[80:81], v88
	ds_read_b64 v[78:79], v88 offset:32
	ds_read_b64 v[76:77], v88 offset:64
	;; [unrolled: 1-line block ×7, first 2 shown]
	s_andn2_b64 vcc, exec, s[4:5]
	v_mov_b32_e32 v92, 0
	s_cbranch_vccnz .LBB96_9
; %bb.7:                                ;   in Loop: Header=BB96_6 Depth=1
	s_load_dword vcc_lo, s[34:35], 0x0
	v_mov_b32_e32 v92, 0
	s_waitcnt lgkmcnt(0)
	s_mul_hi_u32 vcc_hi, vcc_lo, s16
	s_add_i32 vcc_hi, vcc_lo, vcc_hi
	s_lshr_b32 s79, vcc_hi, s17
	s_cmp_ge_i32 s79, s13
	s_cbranch_scc1 .LBB96_9
; %bb.8:                                ;   in Loop: Header=BB96_6 Depth=1
	s_mul_i32 vcc_hi, s79, s18
	s_sub_i32 vcc_lo, vcc_lo, vcc_hi
	s_mul_i32 vcc_lo, vcc_lo, s1
	s_mul_i32 s79, s79, s20
	s_add_i32 s79, s79, vcc_lo
	v_add_u32_e32 v92, s79, v86
	v_ashrrev_i32_e32 v93, 31, v92
	v_lshlrev_b64 v[92:93], 2, v[92:93]
	v_mov_b32_e32 v94, s11
	v_add_co_u32_e32 v92, vcc, s10, v92
	v_addc_co_u32_e32 v93, vcc, v94, v93, vcc
	global_load_dword v92, v[92:93], off
.LBB96_9:                               ;   in Loop: Header=BB96_6 Depth=1
	s_andn2_b64 vcc, exec, s[36:37]
	v_mov_b32_e32 v93, 0
	v_mov_b32_e32 v94, 0
	s_cbranch_vccnz .LBB96_12
; %bb.10:                               ;   in Loop: Header=BB96_6 Depth=1
	s_load_dword vcc_lo, s[34:35], 0x4
	v_mov_b32_e32 v94, 0
	s_waitcnt lgkmcnt(0)
	s_mul_hi_u32 s79, vcc_lo, s16
	s_add_i32 s79, vcc_lo, s79
	s_lshr_b32 vcc_hi, s79, s17
	s_cmp_ge_i32 vcc_hi, s13
	s_cbranch_scc1 .LBB96_12
; %bb.11:                               ;   in Loop: Header=BB96_6 Depth=1
	s_mul_i32 s79, vcc_hi, s18
	s_sub_i32 s79, vcc_lo, s79
	s_mul_i32 s79, s79, s1
	s_mul_i32 vcc_lo, vcc_hi, s20
	s_add_i32 vcc_lo, vcc_lo, s79
	v_add_u32_e32 v94, vcc_lo, v86
	v_ashrrev_i32_e32 v95, 31, v94
	v_lshlrev_b64 v[94:95], 2, v[94:95]
	v_mov_b32_e32 v96, s11
	v_add_co_u32_e32 v94, vcc, s10, v94
	v_addc_co_u32_e32 v95, vcc, v96, v95, vcc
	global_load_dword v94, v[94:95], off
.LBB96_12:                              ;   in Loop: Header=BB96_6 Depth=1
	s_andn2_b64 vcc, exec, s[38:39]
	s_cbranch_vccnz .LBB96_15
; %bb.13:                               ;   in Loop: Header=BB96_6 Depth=1
	s_load_dword vcc_lo, s[34:35], 0x8
	v_mov_b32_e32 v93, 0
	s_waitcnt lgkmcnt(0)
	s_mul_hi_u32 s79, vcc_lo, s16
	s_add_i32 s79, vcc_lo, s79
	s_lshr_b32 vcc_hi, s79, s17
	s_cmp_ge_i32 vcc_hi, s13
	s_cbranch_scc1 .LBB96_15
; %bb.14:                               ;   in Loop: Header=BB96_6 Depth=1
	s_mul_i32 s79, vcc_hi, s18
	s_sub_i32 s79, vcc_lo, s79
	s_mul_i32 s79, s79, s1
	s_mul_i32 vcc_lo, vcc_hi, s20
	s_add_i32 vcc_lo, vcc_lo, s79
	v_add_u32_e32 v96, vcc_lo, v86
	v_ashrrev_i32_e32 v97, 31, v96
	v_lshlrev_b64 v[96:97], 2, v[96:97]
	v_mov_b32_e32 v93, s11
	v_add_co_u32_e32 v96, vcc, s10, v96
	v_addc_co_u32_e32 v97, vcc, v93, v97, vcc
	global_load_dword v93, v[96:97], off
.LBB96_15:                              ;   in Loop: Header=BB96_6 Depth=1
	s_andn2_b64 vcc, exec, s[40:41]
	v_mov_b32_e32 v95, 0
	v_mov_b32_e32 v96, 0
	s_cbranch_vccnz .LBB96_18
; %bb.16:                               ;   in Loop: Header=BB96_6 Depth=1
	s_load_dword vcc_lo, s[34:35], 0xc
	v_mov_b32_e32 v96, 0
	s_waitcnt lgkmcnt(0)
	s_mul_hi_u32 s79, vcc_lo, s16
	s_add_i32 s79, vcc_lo, s79
	s_lshr_b32 vcc_hi, s79, s17
	s_cmp_ge_i32 vcc_hi, s13
	s_cbranch_scc1 .LBB96_18
; %bb.17:                               ;   in Loop: Header=BB96_6 Depth=1
	s_mul_i32 s79, vcc_hi, s18
	s_sub_i32 s79, vcc_lo, s79
	s_mul_i32 s79, s79, s1
	s_mul_i32 vcc_lo, vcc_hi, s20
	s_add_i32 vcc_lo, vcc_lo, s79
	v_add_u32_e32 v96, vcc_lo, v86
	v_ashrrev_i32_e32 v97, 31, v96
	v_lshlrev_b64 v[96:97], 2, v[96:97]
	v_mov_b32_e32 v98, s11
	v_add_co_u32_e32 v96, vcc, s10, v96
	v_addc_co_u32_e32 v97, vcc, v98, v97, vcc
	global_load_dword v96, v[96:97], off
.LBB96_18:                              ;   in Loop: Header=BB96_6 Depth=1
	s_andn2_b64 vcc, exec, s[42:43]
	s_cbranch_vccnz .LBB96_21
; %bb.19:                               ;   in Loop: Header=BB96_6 Depth=1
	s_load_dword vcc_lo, s[34:35], 0x10
	v_mov_b32_e32 v95, 0
	s_waitcnt lgkmcnt(0)
	s_mul_hi_u32 s79, vcc_lo, s16
	s_add_i32 s79, vcc_lo, s79
	s_lshr_b32 vcc_hi, s79, s17
	s_cmp_ge_i32 vcc_hi, s13
	s_cbranch_scc1 .LBB96_21
; %bb.20:                               ;   in Loop: Header=BB96_6 Depth=1
	s_mul_i32 s79, vcc_hi, s18
	s_sub_i32 s79, vcc_lo, s79
	s_mul_i32 s79, s79, s1
	s_mul_i32 vcc_lo, vcc_hi, s20
	s_add_i32 vcc_lo, vcc_lo, s79
	v_add_u32_e32 v98, vcc_lo, v86
	v_ashrrev_i32_e32 v99, 31, v98
	v_lshlrev_b64 v[98:99], 2, v[98:99]
	v_mov_b32_e32 v95, s11
	v_add_co_u32_e32 v98, vcc, s10, v98
	v_addc_co_u32_e32 v99, vcc, v95, v99, vcc
	global_load_dword v95, v[98:99], off
.LBB96_21:                              ;   in Loop: Header=BB96_6 Depth=1
	;; [unrolled: 52-line block ×5, first 2 shown]
	s_andn2_b64 vcc, exec, s[56:57]
	v_mov_b32_e32 v103, 0
	v_mov_b32_e32 v104, 0
	s_cbranch_vccnz .LBB96_42
; %bb.40:                               ;   in Loop: Header=BB96_6 Depth=1
	s_load_dword vcc_lo, s[34:35], 0x2c
	v_mov_b32_e32 v104, 0
	s_waitcnt lgkmcnt(0)
	s_mul_hi_u32 s79, vcc_lo, s16
	s_add_i32 s79, vcc_lo, s79
	s_lshr_b32 vcc_hi, s79, s17
	s_cmp_ge_i32 vcc_hi, s13
	s_cbranch_scc1 .LBB96_42
; %bb.41:                               ;   in Loop: Header=BB96_6 Depth=1
	s_mul_i32 s79, vcc_hi, s18
	s_sub_i32 s79, vcc_lo, s79
	s_mul_i32 s79, s79, s1
	s_mul_i32 vcc_lo, vcc_hi, s20
	s_add_i32 vcc_lo, vcc_lo, s79
	v_add_u32_e32 v104, vcc_lo, v86
	v_ashrrev_i32_e32 v105, 31, v104
	v_lshlrev_b64 v[104:105], 2, v[104:105]
	v_mov_b32_e32 v106, s11
	v_add_co_u32_e32 v104, vcc, s10, v104
	v_addc_co_u32_e32 v105, vcc, v106, v105, vcc
	global_load_dword v104, v[104:105], off
.LBB96_42:                              ;   in Loop: Header=BB96_6 Depth=1
	s_andn2_b64 vcc, exec, s[58:59]
	s_cbranch_vccnz .LBB96_5
; %bb.43:                               ;   in Loop: Header=BB96_6 Depth=1
	s_load_dword vcc_lo, s[34:35], 0x30
	v_mov_b32_e32 v103, 0
	s_waitcnt lgkmcnt(0)
	s_mul_hi_u32 s79, vcc_lo, s16
	s_add_i32 s79, vcc_lo, s79
	s_lshr_b32 vcc_hi, s79, s17
	s_cmp_ge_i32 vcc_hi, s13
	s_cbranch_scc1 .LBB96_5
; %bb.44:                               ;   in Loop: Header=BB96_6 Depth=1
	s_mul_i32 s79, vcc_hi, s18
	s_sub_i32 s79, vcc_lo, s79
	s_mul_i32 s79, s79, s1
	s_mul_i32 vcc_lo, vcc_hi, s20
	s_add_i32 vcc_lo, vcc_lo, s79
	v_add_u32_e32 v106, vcc_lo, v86
	v_ashrrev_i32_e32 v107, 31, v106
	v_lshlrev_b64 v[106:107], 2, v[106:107]
	v_mov_b32_e32 v103, s11
	v_add_co_u32_e32 v106, vcc, s10, v106
	v_addc_co_u32_e32 v107, vcc, v103, v107, vcc
	global_load_dword v103, v[106:107], off
	s_branch .LBB96_5
.LBB96_45:
	s_or_b64 exec, exec, s[8:9]
	v_readlane_b32 s24, v108, 6
	v_readlane_b32 s26, v108, 9
	;; [unrolled: 1-line block ×5, first 2 shown]
.LBB96_46:
	v_readlane_b32 s0, v108, 4
	v_readlane_b32 s1, v108, 5
	s_or_b64 exec, exec, s[0:1]
	v_mul_u32_u24_e32 v16, 0x808, v85
	v_lshlrev_b32_e32 v17, 2, v84
	v_add3_u32 v16, 0, v16, v17
	v_and_b32_e32 v17, 0x3f0, v83
	v_add_u32_e32 v17, v16, v17
	s_lshl_b64 s[0:1], s[26:27], 2
	v_readlane_b32 s4, v108, 0
	s_barrier
	ds_write2_b32 v17, v0, v1 offset1:1
	ds_write_b32 v17, v2 offset:8
	v_or_b32_e32 v0, 12, v83
	v_readlane_b32 s5, v108, 1
	s_add_u32 s3, s4, s0
	v_and_b32_e32 v0, 0x3fc, v0
	s_addc_u32 s7, s5, s1
	v_add_u32_e32 v0, v16, v0
	ds_write_b32 v0, v3
	ds_write2_b32 v17, v8, v9 offset0:16 offset1:17
	ds_write_b32 v17, v10 offset:72
	ds_write_b32 v0, v11 offset:64
	ds_write2_b32 v17, v4, v5 offset0:32 offset1:33
	ds_write_b32 v17, v6 offset:136
	ds_write_b32 v0, v7 offset:128
	;; [unrolled: 3-line block ×3, first 2 shown]
	s_cmp_gt_i32 s14, 0
	v_add_u32_e32 v0, s6, v82
	s_cselect_b64 s[4:5], -1, 0
	v_cmp_gt_i32_e64 s[0:1], s33, v0
	v_cmp_gt_u32_e32 vcc, 13, v82
	s_and_b64 s[0:1], s[4:5], s[0:1]
	v_lshl_add_u32 v3, v83, 2, 0
	v_add_u32_e32 v2, s28, v83
	s_and_b64 s[8:9], vcc, s[0:1]
	s_waitcnt lgkmcnt(0)
	s_barrier
	s_and_saveexec_b64 s[0:1], s[8:9]
	s_cbranch_execz .LBB96_49
; %bb.47:
	v_ashrrev_i32_e32 v1, 31, v0
	v_lshlrev_b64 v[0:1], 2, v[0:1]
	v_mov_b32_e32 v4, s7
	v_add_co_u32_e32 v0, vcc, s3, v0
	v_addc_co_u32_e32 v1, vcc, v4, v1, vcc
	global_load_dword v0, v[0:1], off
	s_waitcnt vmcnt(0)
	v_mul_hi_u32 v1, v0, s19
	v_add_u32_e32 v1, v0, v1
	v_lshrrev_b32_e32 v1, s24, v1
	v_cmp_gt_i32_e32 vcc, s13, v1
	s_and_b64 exec, exec, vcc
	s_cbranch_execz .LBB96_49
; %bb.48:
	s_movk_i32 s8, 0x808
	v_mad_u32_u24 v10, v82, s8, v3
	ds_read2st64_b32 v[4:5], v10 offset1:1
	ds_read2st64_b32 v[6:7], v10 offset0:2 offset1:3
	ds_read2st64_b32 v[8:9], v10 offset0:4 offset1:5
	;; [unrolled: 1-line block ×3, first 2 shown]
	v_mul_lo_u32 v12, v1, s25
	v_sub_u32_e32 v0, v0, v12
	v_mul_lo_u32 v0, v0, s2
	s_waitcnt lgkmcnt(3)
	v_add_f32_e32 v4, 0, v4
	v_add_f32_e32 v4, v4, v5
	s_waitcnt lgkmcnt(2)
	v_add_f32_e32 v4, v4, v6
	v_add_f32_e32 v4, v4, v7
	v_mul_lo_u32 v1, v1, s21
	s_waitcnt lgkmcnt(1)
	v_add_f32_e32 v4, v4, v8
	v_add3_u32 v0, v2, v1, v0
	v_mov_b32_e32 v1, 0
	v_readlane_b32 s8, v108, 2
	v_add_f32_e32 v4, v4, v9
	v_lshlrev_b64 v[0:1], 2, v[0:1]
	v_readlane_b32 s9, v108, 3
	s_waitcnt lgkmcnt(0)
	v_add_f32_e32 v4, v4, v10
	v_mov_b32_e32 v5, s9
	v_add_co_u32_e32 v0, vcc, s8, v0
	v_add_f32_e32 v4, v4, v11
	v_addc_co_u32_e32 v1, vcc, v5, v1, vcc
	global_store_dword v[0:1], v4, off
.LBB96_49:
	s_or_b64 exec, exec, s[0:1]
	v_cmp_gt_u32_e32 vcc, 5, v82
	s_and_saveexec_b64 s[0:1], vcc
	s_cbranch_execz .LBB96_53
; %bb.50:
	v_or_b32_e32 v0, 8, v82
	v_add_u32_e32 v1, s6, v0
	v_cmp_gt_i32_e32 vcc, s33, v1
	s_and_b64 s[0:1], s[4:5], vcc
	s_and_b64 exec, exec, s[0:1]
	s_cbranch_execz .LBB96_53
; %bb.51:
	s_ashr_i32 s0, s6, 31
	v_mov_b32_e32 v1, s0
	v_add_co_u32_e32 v4, vcc, s6, v82
	v_addc_co_u32_e32 v5, vcc, 0, v1, vcc
	v_lshlrev_b64 v[4:5], 2, v[4:5]
	v_mov_b32_e32 v1, s7
	v_add_co_u32_e32 v4, vcc, s3, v4
	v_addc_co_u32_e32 v5, vcc, v1, v5, vcc
	global_load_dword v4, v[4:5], off offset:32
	v_mov_b32_e32 v1, 0
	s_waitcnt vmcnt(0)
	v_mul_hi_u32 v5, v4, s19
	v_add_u32_e32 v5, v4, v5
	v_lshrrev_b32_e32 v5, s24, v5
	v_cmp_gt_i32_e32 vcc, s13, v5
	s_and_b64 exec, exec, vcc
	s_cbranch_execz .LBB96_53
; %bb.52:
	s_movk_i32 s0, 0x808
	v_mad_u32_u24 v0, v0, s0, v3
	ds_read2st64_b32 v[6:7], v0 offset1:1
	ds_read2st64_b32 v[8:9], v0 offset0:2 offset1:3
	ds_read2st64_b32 v[10:11], v0 offset0:4 offset1:5
	;; [unrolled: 1-line block ×3, first 2 shown]
	v_mul_lo_u32 v3, v5, s25
	v_readlane_b32 s0, v108, 2
	v_readlane_b32 s1, v108, 3
	s_waitcnt lgkmcnt(3)
	v_add_f32_e32 v0, 0, v6
	v_add_f32_e32 v0, v0, v7
	s_waitcnt lgkmcnt(2)
	v_add_f32_e32 v0, v0, v8
	v_add_f32_e32 v0, v0, v9
	;; [unrolled: 3-line block ×4, first 2 shown]
	v_sub_u32_e32 v0, v4, v3
	v_mul_lo_u32 v0, v0, s2
	v_mul_lo_u32 v3, v5, s21
	v_add3_u32 v0, v2, v3, v0
	v_lshlrev_b64 v[0:1], 2, v[0:1]
	v_mov_b32_e32 v2, s1
	v_add_co_u32_e32 v0, vcc, s0, v0
	v_addc_co_u32_e32 v1, vcc, v2, v1, vcc
	global_store_dword v[0:1], v6, off
.LBB96_53:
	s_endpgm
	.section	.rodata,"a",@progbits
	.p2align	6, 0x0
	.amdhsa_kernel _ZL13mul_mat_f_idsIfLi64ELi13ELi8EEvPKT_PKfPKiS6_S6_Pfiiiiiiiiiiiiii15HIP_vector_typeIjLj3EES9_
		.amdhsa_group_segment_fixed_size 0
		.amdhsa_private_segment_fixed_size 0
		.amdhsa_kernarg_size 128
		.amdhsa_user_sgpr_count 6
		.amdhsa_user_sgpr_private_segment_buffer 1
		.amdhsa_user_sgpr_dispatch_ptr 0
		.amdhsa_user_sgpr_queue_ptr 0
		.amdhsa_user_sgpr_kernarg_segment_ptr 1
		.amdhsa_user_sgpr_dispatch_id 0
		.amdhsa_user_sgpr_flat_scratch_init 0
		.amdhsa_user_sgpr_kernarg_preload_length 0
		.amdhsa_user_sgpr_kernarg_preload_offset 0
		.amdhsa_user_sgpr_private_segment_size 0
		.amdhsa_uses_dynamic_stack 0
		.amdhsa_system_sgpr_private_segment_wavefront_offset 0
		.amdhsa_system_sgpr_workgroup_id_x 1
		.amdhsa_system_sgpr_workgroup_id_y 1
		.amdhsa_system_sgpr_workgroup_id_z 1
		.amdhsa_system_sgpr_workgroup_info 0
		.amdhsa_system_vgpr_workitem_id 1
		.amdhsa_next_free_vgpr 109
		.amdhsa_next_free_sgpr 96
		.amdhsa_accum_offset 112
		.amdhsa_reserve_vcc 1
		.amdhsa_reserve_flat_scratch 0
		.amdhsa_float_round_mode_32 0
		.amdhsa_float_round_mode_16_64 0
		.amdhsa_float_denorm_mode_32 3
		.amdhsa_float_denorm_mode_16_64 3
		.amdhsa_dx10_clamp 1
		.amdhsa_ieee_mode 1
		.amdhsa_fp16_overflow 0
		.amdhsa_tg_split 0
		.amdhsa_exception_fp_ieee_invalid_op 0
		.amdhsa_exception_fp_denorm_src 0
		.amdhsa_exception_fp_ieee_div_zero 0
		.amdhsa_exception_fp_ieee_overflow 0
		.amdhsa_exception_fp_ieee_underflow 0
		.amdhsa_exception_fp_ieee_inexact 0
		.amdhsa_exception_int_div_zero 0
	.end_amdhsa_kernel
	.section	.text._ZL13mul_mat_f_idsIfLi64ELi13ELi8EEvPKT_PKfPKiS6_S6_Pfiiiiiiiiiiiiii15HIP_vector_typeIjLj3EES9_,"axG",@progbits,_ZL13mul_mat_f_idsIfLi64ELi13ELi8EEvPKT_PKfPKiS6_S6_Pfiiiiiiiiiiiiii15HIP_vector_typeIjLj3EES9_,comdat
.Lfunc_end96:
	.size	_ZL13mul_mat_f_idsIfLi64ELi13ELi8EEvPKT_PKfPKiS6_S6_Pfiiiiiiiiiiiiii15HIP_vector_typeIjLj3EES9_, .Lfunc_end96-_ZL13mul_mat_f_idsIfLi64ELi13ELi8EEvPKT_PKfPKiS6_S6_Pfiiiiiiiiiiiiii15HIP_vector_typeIjLj3EES9_
                                        ; -- End function
	.section	.AMDGPU.csdata,"",@progbits
; Kernel info:
; codeLenInByte = 7244
; NumSgprs: 100
; NumVgprs: 109
; NumAgprs: 0
; TotalNumVgprs: 109
; ScratchSize: 0
; MemoryBound: 0
; FloatMode: 240
; IeeeMode: 1
; LDSByteSize: 0 bytes/workgroup (compile time only)
; SGPRBlocks: 12
; VGPRBlocks: 13
; NumSGPRsForWavesPerEU: 100
; NumVGPRsForWavesPerEU: 109
; AccumOffset: 112
; Occupancy: 4
; WaveLimiterHint : 1
; COMPUTE_PGM_RSRC2:SCRATCH_EN: 0
; COMPUTE_PGM_RSRC2:USER_SGPR: 6
; COMPUTE_PGM_RSRC2:TRAP_HANDLER: 0
; COMPUTE_PGM_RSRC2:TGID_X_EN: 1
; COMPUTE_PGM_RSRC2:TGID_Y_EN: 1
; COMPUTE_PGM_RSRC2:TGID_Z_EN: 1
; COMPUTE_PGM_RSRC2:TIDIG_COMP_CNT: 1
; COMPUTE_PGM_RSRC3_GFX90A:ACCUM_OFFSET: 27
; COMPUTE_PGM_RSRC3_GFX90A:TG_SPLIT: 0
	.section	.text._ZL9mul_mat_fIfLi64ELi13ELi8ELb1EEvPKT_PKfPKiPfiiiiiiiiiiiiiiii,"axG",@progbits,_ZL9mul_mat_fIfLi64ELi13ELi8ELb1EEvPKT_PKfPKiPfiiiiiiiiiiiiiiii,comdat
	.globl	_ZL9mul_mat_fIfLi64ELi13ELi8ELb1EEvPKT_PKfPKiPfiiiiiiiiiiiiiiii ; -- Begin function _ZL9mul_mat_fIfLi64ELi13ELi8ELb1EEvPKT_PKfPKiPfiiiiiiiiiiiiiiii
	.p2align	8
	.type	_ZL9mul_mat_fIfLi64ELi13ELi8ELb1EEvPKT_PKfPKiPfiiiiiiiiiiiiiiii,@function
_ZL9mul_mat_fIfLi64ELi13ELi8ELb1EEvPKT_PKfPKiPfiiiiiiiiiiiiiiii: ; @_ZL9mul_mat_fIfLi64ELi13ELi8ELb1EEvPKT_PKfPKiPfiiiiiiiiiiiiiiii
; %bb.0:
	s_load_dwordx8 s[16:23], s[4:5], 0x20
	v_and_b32_e32 v16, 0x3ff, v0
	v_bfe_u32 v17, v0, 10, 10
	v_cmp_eq_u32_e32 vcc, 0, v16
	s_waitcnt lgkmcnt(0)
	s_add_i32 s0, s17, 12
	s_mul_hi_i32 s0, s0, 0x4ec4ec4f
	s_lshr_b32 s1, s0, 31
	s_ashr_i32 s0, s0, 2
	s_add_i32 s0, s0, s1
	v_cvt_f32_u32_e32 v1, s0
	s_load_dwordx4 s[24:27], s[4:5], 0x44
	s_load_dword s1, s[4:5], 0x64
	s_add_u32 s34, s4, 0x60
	s_addc_u32 s35, s5, 0
	v_rcp_iflag_f32_e32 v1, v1
	s_sub_i32 s2, 0, s0
	v_mul_f32_e32 v1, 0x4f7ffffe, v1
	v_cvt_u32_f32_e32 v1, v1
	v_readfirstlane_b32 s3, v1
	s_mul_i32 s2, s2, s3
	s_mul_hi_u32 s2, s3, s2
	s_add_i32 s3, s3, s2
	s_waitcnt lgkmcnt(0)
	s_mul_hi_u32 s2, s1, s3
	s_mul_i32 s3, s2, s0
	s_sub_i32 s1, s1, s3
	s_add_i32 s9, s2, 1
	s_sub_i32 s3, s1, s0
	s_cmp_ge_u32 s1, s0
	s_cselect_b32 s2, s9, s2
	s_cselect_b32 s1, s3, s1
	s_add_i32 s3, s2, 1
	s_cmp_ge_u32 s1, s0
	s_cselect_b32 s10, s3, s2
	v_cvt_f32_u32_e32 v1, s10
	s_abs_i32 s39, s27
	v_cvt_f32_u32_e32 v2, s39
	s_load_dwordx2 s[0:1], s[4:5], 0x10
	v_rcp_iflag_f32_e32 v1, v1
	s_sub_i32 s2, 0, s10
	v_rcp_iflag_f32_e32 v2, v2
	s_sub_i32 s38, 0, s39
	v_mul_f32_e32 v1, 0x4f7ffffe, v1
	v_cvt_u32_f32_e32 v1, v1
	v_mul_f32_e32 v2, 0x4f7ffffe, v2
	v_cvt_u32_f32_e32 v2, v2
	v_readfirstlane_b32 s3, v1
	s_mul_i32 s2, s2, s3
	s_mul_hi_u32 s2, s3, s2
	s_add_i32 s3, s3, s2
	v_readfirstlane_b32 s9, v2
	s_mul_hi_u32 s11, s7, s3
	s_and_saveexec_b64 s[2:3], vcc
	s_cbranch_execz .LBB97_2
; %bb.1:
	v_mov_b32_e32 v1, 0x100
	v_lshl_add_u32 v1, v17, 2, v1
	v_mov_b32_e32 v2, -1
	ds_write_b32 v1, v2
.LBB97_2:
	s_or_b64 exec, exec, s[2:3]
	s_mul_i32 s2, s11, s10
	s_sub_i32 s2, s7, s2
	s_add_i32 s3, s11, 1
	s_sub_i32 s12, s2, s10
	s_cmp_ge_u32 s2, s10
	s_cselect_b32 s3, s3, s11
	s_cselect_b32 s2, s12, s2
	s_add_i32 s11, s3, 1
	s_cmp_ge_u32 s2, s10
	s_cselect_b32 s2, s11, s3
	s_mul_i32 s3, s2, s10
	s_mul_i32 s50, s2, 13
	s_sub_i32 s7, s7, s3
	s_mul_hi_i32 s3, s50, s23
	s_mul_i32 s2, s50, s23
	s_lshl_b64 s[2:3], s[2:3], 2
	s_waitcnt lgkmcnt(0)
	s_add_u32 s33, s0, s2
	v_add_u32_e32 v1, s50, v17
	s_mul_i32 s38, s38, s9
	s_addc_u32 s1, s1, s3
	v_cmp_gt_i32_e64 s[10:11], s18, v16
	v_cmp_gt_i32_e64 s[40:41], s17, v1
	v_mov_b32_e32 v1, 0
	s_and_saveexec_b64 s[14:15], s[40:41]
	s_cbranch_execz .LBB97_10
; %bb.3:
	v_mov_b32_e32 v1, 0
	s_and_saveexec_b64 s[28:29], s[10:11]
	s_cbranch_execz .LBB97_9
; %bb.4:
	v_mul_lo_u32 v2, v17, s23
	v_ashrrev_i32_e32 v3, 31, v2
	v_lshlrev_b64 v[2:3], 2, v[2:3]
	v_mov_b32_e32 v1, s1
	v_add_co_u32_e64 v4, s[2:3], s33, v2
	v_addc_co_u32_e64 v5, s[2:3], v1, v3, s[2:3]
	v_mov_b32_e32 v1, 0x100
	v_lshl_add_u32 v6, v17, 2, v1
	v_mul_lo_u32 v2, v16, s22
	s_lshl_b32 s0, s22, 6
	s_mov_b64 s[30:31], 0
	v_mov_b32_e32 v1, 0
	v_mov_b32_e32 v7, v16
	s_branch .LBB97_6
.LBB97_5:                               ;   in Loop: Header=BB97_6 Depth=1
	s_or_b64 exec, exec, s[36:37]
	v_add_u32_e32 v7, 64, v7
	v_cmp_le_i32_e64 s[12:13], s18, v7
	s_xor_b64 s[2:3], s[2:3], -1
	s_or_b64 s[2:3], s[2:3], s[12:13]
	s_and_b64 s[2:3], exec, s[2:3]
	s_or_b64 s[30:31], s[2:3], s[30:31]
	v_add_u32_e32 v2, s0, v2
	s_andn2_b64 exec, exec, s[30:31]
	s_cbranch_execz .LBB97_8
.LBB97_6:                               ; =>This Inner Loop Header: Depth=1
	v_ashrrev_i32_e32 v3, 31, v2
	v_lshlrev_b64 v[8:9], 2, v[2:3]
	v_add_co_u32_e64 v8, s[2:3], v4, v8
	v_addc_co_u32_e64 v9, s[2:3], v5, v9, s[2:3]
	global_load_dword v3, v[8:9], off
	s_waitcnt vmcnt(0)
	v_cmp_ne_u32_e64 s[2:3], s7, v3
	v_cmp_eq_u32_e64 s[12:13], s7, v3
	s_and_saveexec_b64 s[36:37], s[12:13]
	s_cbranch_execz .LBB97_5
; %bb.7:                                ;   in Loop: Header=BB97_6 Depth=1
	v_mov_b32_e32 v1, 1
	ds_write_b32 v6, v7
	s_branch .LBB97_5
.LBB97_8:
	s_or_b64 exec, exec, s[30:31]
.LBB97_9:
	s_or_b64 exec, exec, s[28:29]
.LBB97_10:
	s_or_b64 exec, exec, s[14:15]
	s_mul_hi_u32 s12, s9, s38
	s_and_saveexec_b64 s[2:3], vcc
	s_cbranch_execz .LBB97_12
; %bb.11:
	v_mov_b32_e32 v2, 0x100
	v_lshl_add_u32 v2, v17, 2, v2
	v_mov_b32_e32 v3, -1
	ds_write_b32 v2, v3 offset:32
.LBB97_12:
	s_or_b64 exec, exec, s[2:3]
	s_load_dwordx4 s[44:47], s[4:5], 0x54
	v_add_u32_e32 v84, 8, v17
	s_abs_i32 s0, s8
	s_add_i32 s9, s9, s12
	v_add_u32_e32 v2, s50, v84
	v_cmp_gt_i32_e64 s[2:3], s17, v2
	s_mov_b64 s[28:29], exec
                                        ; implicit-def: $vgpr102 : SGPR spill to VGPR lane
	v_writelane_b32 v102, s2, 0
	v_writelane_b32 v102, s3, 1
	s_and_b64 s[2:3], s[28:29], s[2:3]
	s_mov_b64 exec, s[2:3]
	s_cbranch_execz .LBB97_20
; %bb.13:
	s_and_saveexec_b64 s[30:31], s[10:11]
	s_cbranch_execz .LBB97_19
; %bb.14:
	v_mul_lo_u32 v2, v84, s23
	v_ashrrev_i32_e32 v3, 31, v2
	v_lshlrev_b64 v[2:3], 2, v[2:3]
	v_mov_b32_e32 v5, s1
	v_add_co_u32_e32 v4, vcc, s33, v2
	v_mov_b32_e32 v2, 0x100
	v_addc_co_u32_e32 v5, vcc, v5, v3, vcc
	v_lshl_add_u32 v6, v17, 2, v2
	v_mul_lo_u32 v2, v16, s22
	s_lshl_b32 s1, s22, 6
	s_mov_b64 s[22:23], 0
	v_mov_b32_e32 v7, v16
	s_branch .LBB97_16
.LBB97_15:                              ;   in Loop: Header=BB97_16 Depth=1
	s_or_b64 exec, exec, s[36:37]
	v_add_u32_e32 v7, 64, v7
	v_cmp_le_i32_e64 s[10:11], s18, v7
	s_xor_b64 s[2:3], vcc, -1
	s_or_b64 s[2:3], s[2:3], s[10:11]
	s_and_b64 s[2:3], exec, s[2:3]
	s_or_b64 s[22:23], s[2:3], s[22:23]
	v_add_u32_e32 v2, s1, v2
	s_andn2_b64 exec, exec, s[22:23]
	s_cbranch_execz .LBB97_18
.LBB97_16:                              ; =>This Inner Loop Header: Depth=1
	v_ashrrev_i32_e32 v3, 31, v2
	v_lshlrev_b64 v[8:9], 2, v[2:3]
	v_add_co_u32_e32 v8, vcc, v4, v8
	v_addc_co_u32_e32 v9, vcc, v5, v9, vcc
	global_load_dword v3, v[8:9], off
	s_waitcnt vmcnt(0)
	v_cmp_ne_u32_e32 vcc, s7, v3
	v_cmp_eq_u32_e64 s[10:11], s7, v3
	s_and_saveexec_b64 s[36:37], s[10:11]
	s_cbranch_execz .LBB97_15
; %bb.17:                               ;   in Loop: Header=BB97_16 Depth=1
	v_mov_b32_e32 v1, 1
	ds_write_b32 v6, v7 offset:32
	s_branch .LBB97_15
.LBB97_18:
	s_or_b64 exec, exec, s[22:23]
.LBB97_19:
	s_or_b64 exec, exec, s[30:31]
.LBB97_20:
	s_or_b64 exec, exec, s[28:29]
	s_load_dwordx2 s[2:3], s[34:35], 0xc
	s_load_dwordx4 s[28:31], s[4:5], 0x0
	s_load_dwordx2 s[10:11], s[4:5], 0x18
	v_cmp_ne_u32_e32 vcc, 0, v1
	v_cndmask_b32_e64 v1, 0, 1, vcc
                                        ; kill: killed $sgpr4 killed $sgpr5
	s_waitcnt lgkmcnt(0)
	s_and_b32 s5, s3, 0xffff
	s_lshr_b32 s4, s2, 16
	v_or_b32_dpp v1, v1, v1 row_shl:1 row_mask:0xf bank_mask:0xf bound_ctrl:1
	s_and_b32 s3, s2, 0xffff
	s_mul_i32 s2, s4, s3
	v_or_b32_dpp v1, v1, v1 row_shl:2 row_mask:0xf bank_mask:0xf bound_ctrl:1
	s_bfe_i32 s2, s2, 0x180000
	s_mul_i32 s2, s2, s5
	v_or_b32_dpp v1, v1, v1 row_shl:4 row_mask:0xf bank_mask:0xf bound_ctrl:1
	s_add_i32 s5, s2, 63
	s_bitcmp1_b32 exec_hi, 0
	v_or_b32_dpp v1, v1, v1 row_shl:8 row_mask:0xf bank_mask:0xf bound_ctrl:1
	s_mul_hi_u32 s1, s0, s9
	v_writelane_b32 v102, s10, 2
	v_mov_b32_dpp v2, v1 wave_shl:1 row_mask:0xf bank_mask:0xf bound_ctrl:1
	v_writelane_b32 v102, s11, 3
                                        ; kill: killed $sgpr34 killed $sgpr35
	s_nop 0
	v_or_b32_dpp v1, v2, v1 row_mirror row_mask:0xf bank_mask:0xf bound_ctrl:1
	v_readlane_b32 s2, v1, 32
	s_cselect_b32 s2, s2, 0
	v_readlane_b32 s9, v1, 0
	s_or_b32 s2, s2, s9
	s_andn2_b32 s5, s5, 63
	s_cmp_lg_u32 s5, 64
	v_mov_b32_e32 v1, s2
	s_cbranch_scc0 .LBB97_27
; %bb.21:
	v_bfe_u32 v0, v0, 20, 10
	v_mbcnt_lo_u32_b32 v1, -1, 0
	v_mad_u32_u24 v0, v0, s4, v17
	v_mbcnt_hi_u32_b32 v2, -1, v1
	v_mad_u64_u32 v[0:1], s[4:5], v0, s3, v[16:17]
	v_lshrrev_b32_e32 v1, 6, v0
	v_or_b32_e32 v1, v2, v1
	v_cmp_eq_u32_e32 vcc, 0, v1
	s_and_saveexec_b64 s[4:5], vcc
	s_cbranch_execz .LBB97_23
; %bb.22:
	v_mov_b32_e32 v1, 0
	v_mov_b32_e32 v3, s2
	ds_write_b32 v1, v3
.LBB97_23:
	s_or_b64 exec, exec, s[4:5]
	v_cmp_eq_u32_e32 vcc, 0, v2
	v_cmp_lt_u32_e64 s[4:5], 63, v0
	s_and_b64 s[10:11], s[4:5], vcc
	s_waitcnt lgkmcnt(0)
	s_barrier
	s_and_saveexec_b64 s[4:5], s[10:11]
	s_cbranch_execz .LBB97_26
; %bb.24:
	v_mbcnt_lo_u32_b32 v0, exec_lo, 0
	v_mbcnt_hi_u32_b32 v0, exec_hi, v0
	v_cmp_eq_u32_e32 vcc, 0, v0
	s_and_b64 exec, exec, vcc
	s_cbranch_execz .LBB97_26
; %bb.25:
	v_mov_b32_e32 v0, 0
	v_mov_b32_e32 v1, s2
	ds_or_b32 v0, v1
.LBB97_26:
	s_or_b64 exec, exec, s[4:5]
	v_mov_b32_e32 v0, 0
	s_waitcnt lgkmcnt(0)
	s_barrier
	ds_read_b32 v1, v0
	s_waitcnt lgkmcnt(0)
	s_barrier
.LBB97_27:
	v_cmp_ne_u32_e32 vcc, 0, v1
	s_ashr_i32 s2, s8, 31
	s_ashr_i32 s3, s27, 31
	s_cbranch_vccz .LBB97_93
; %bb.28:
	v_lshlrev_b32_e32 v85, 6, v17
	v_add_u32_e32 v87, v85, v16
	v_cmp_le_i32_e32 vcc, s16, v87
	v_and_b32_e32 v86, 15, v16
                                        ; implicit-def: $sgpr9
	s_and_saveexec_b64 s[4:5], vcc
	s_xor_b64 s[4:5], exec, s[4:5]
; %bb.29:
	v_and_b32_e32 v86, 15, v16
	s_mov_b32 s9, 0
                                        ; implicit-def: $vgpr87
; %bb.30:
	s_or_saveexec_b64 s[4:5], s[4:5]
	s_lshl_b32 s6, s6, 6
	v_mov_b32_e32 v11, s9
	v_mov_b32_e32 v10, s9
	v_mov_b32_e32 v9, s9
	v_mov_b32_e32 v8, s9
	v_mov_b32_e32 v7, s9
	v_mov_b32_e32 v6, s9
	v_mov_b32_e32 v5, s9
	v_mov_b32_e32 v4, s9
	v_mov_b32_e32 v3, s9
	v_mov_b32_e32 v2, s9
	v_mov_b32_e32 v1, s9
	v_mov_b32_e32 v0, s9
	v_mov_b32_e32 v15, s9
	v_mov_b32_e32 v14, s9
	v_mov_b32_e32 v13, s9
	v_mov_b32_e32 v12, s9
	v_writelane_b32 v102, s4, 4
	v_writelane_b32 v102, s5, 5
	s_xor_b64 exec, exec, s[4:5]
	s_cbranch_execz .LBB97_86
; %bb.31:
	s_xor_b32 s2, s2, s3
	s_mul_i32 s3, s1, s39
	s_sub_i32 s0, s0, s3
	s_add_i32 s3, s1, 1
	s_sub_i32 s4, s0, s39
	s_cmp_ge_u32 s0, s39
	s_cselect_b32 s1, s3, s1
	s_cselect_b32 s0, s4, s0
	s_add_i32 s3, s1, 1
	s_cmp_ge_u32 s0, s39
	s_cselect_b32 s0, s3, s1
	s_xor_b32 s0, s0, s2
	s_sub_i32 s0, s0, s2
	s_mul_hi_i32 s1, s0, s44
	s_mul_i32 s0, s0, s44
	s_mul_i32 s2, s7, s24
	v_writelane_b32 v102, s40, 6
	s_ashr_i32 s3, s2, 31
	s_lshl_b64 s[0:1], s[0:1], 2
	v_writelane_b32 v102, s41, 7
	s_add_u32 s5, s28, s0
	v_writelane_b32 v102, s6, 8
	s_mul_i32 s4, s6, s19
	s_addc_u32 s6, s29, s1
	s_lshl_b64 s[2:3], s[2:3], 2
	s_add_u32 s7, s5, s2
	s_addc_u32 s6, s6, s3
	s_ashr_i32 s5, s4, 31
	s_lshl_b64 s[4:5], s[4:5], 2
	s_add_u32 s24, s7, s4
	s_addc_u32 s10, s6, s5
	s_movk_i32 s6, 0x1080
	v_mov_b32_e32 v88, 0x100
	v_writelane_b32 v102, s8, 9
	v_mad_u32_u24 v0, v17, s6, v88
	s_mul_hi_i32 s7, s45, s8
	v_writelane_b32 v102, s44, 10
	s_mul_i32 s6, s45, s8
	s_lshl_b64 s[6:7], s[6:7], 2
	s_mul_hi_i32 s9, s50, s20
	s_mul_i32 s8, s50, s20
	s_add_u32 s11, s30, s6
	s_addc_u32 s12, s31, s7
	s_lshl_b64 s[6:7], s[8:9], 2
	s_add_u32 s27, s11, s6
	s_addc_u32 s33, s12, s7
	s_cmp_lt_i32 s50, s17
	s_cselect_b64 s[6:7], -1, 0
	s_add_i32 s8, s50, 1
	s_cmp_lt_i32 s8, s17
	v_writelane_b32 v102, s45, 11
	s_cselect_b64 s[12:13], -1, 0
	s_add_i32 s8, s50, 2
	v_writelane_b32 v102, s46, 12
	s_cmp_lt_i32 s8, s17
	v_writelane_b32 v102, s47, 13
	s_cselect_b64 s[22:23], -1, 0
	s_lshl_b32 s8, s20, 1
	v_writelane_b32 v102, s8, 14
	s_add_i32 s8, s50, 3
	s_cmp_lt_i32 s8, s17
	s_cselect_b64 s[30:31], -1, 0
	s_add_i32 s8, s50, 4
	s_cmp_lt_i32 s8, s17
	s_cselect_b64 s[34:35], -1, 0
	s_lshl_b32 s8, s20, 2
	v_writelane_b32 v102, s8, 15
	s_add_i32 s8, s50, 5
	s_cmp_lt_i32 s8, s17
	s_cselect_b64 s[36:37], -1, 0
	s_add_i32 s8, s50, 6
	s_cmp_lt_i32 s8, s17
	s_cselect_b64 s[38:39], -1, 0
	;; [unrolled: 3-line block ×4, first 2 shown]
	s_lshl_b32 s8, s20, 3
	v_writelane_b32 v102, s8, 16
	s_add_i32 s8, s50, 9
	s_cmp_lt_i32 s8, s17
	s_cselect_b64 s[44:45], -1, 0
	s_add_i32 s8, s50, 10
	s_cmp_lt_i32 s8, s17
	s_cselect_b64 s[46:47], -1, 0
	;; [unrolled: 3-line block ×3, first 2 shown]
	s_add_i32 s8, s50, 12
	s_cmp_lt_i32 s8, s17
	v_writelane_b32 v102, s50, 17
	s_cselect_b64 s[50:51], -1, 0
	s_ashr_i32 s9, s19, 31
	s_mov_b32 s8, s19
	s_lshl_b64 s[52:53], s[8:9], 2
	s_add_u32 s0, s0, s4
	s_addc_u32 s1, s1, s5
	v_lshrrev_b32_e32 v2, 1, v16
	s_add_u32 s0, s0, s2
	v_mul_u32_u24_e32 v1, 0x108, v86
	v_and_b32_e32 v2, 0x1f8, v2
	s_addc_u32 s1, s1, s3
	v_lshl_add_u32 v89, v16, 2, v0
	v_add3_u32 v90, v0, v1, v2
	v_lshlrev_b32_e32 v0, 2, v87
	s_add_u32 s0, s28, s0
	v_add_co_u32_e32 v18, vcc, s0, v0
	s_mul_i32 s0, s19, 3
	v_writelane_b32 v102, s0, 18
	s_mul_i32 s0, s19, 5
	s_addc_u32 s1, s29, s1
	v_writelane_b32 v102, s0, 19
	s_mul_i32 s0, s19, 6
	v_mov_b32_e32 v1, s1
	v_writelane_b32 v102, s0, 20
	s_mul_i32 s0, s19, 7
	v_mov_b32_e32 v12, 0
	v_mov_b32_e32 v91, 0
	v_addc_co_u32_e32 v19, vcc, 0, v1, vcc
	s_lshl_b32 s28, s19, 1
	s_lshl_b32 s64, s19, 2
	v_writelane_b32 v102, s0, 21
	s_lshl_b32 s68, s19, 3
	s_mul_i32 s69, s19, 9
	s_mul_i32 s70, s19, 10
	s_mul_i32 s71, s19, 11
	s_mul_i32 s72, s19, 12
	s_mul_i32 s73, s19, 13
	s_mul_i32 s74, s19, 14
	s_mul_i32 s75, s19, 15
	s_lshl_b32 s76, s19, 4
	s_mul_i32 s77, s19, 17
	v_mov_b32_e32 v92, s10
	s_mul_i32 s78, s19, 18
	v_mov_b32_e32 v93, s53
	v_mov_b32_e32 v13, v12
	v_mov_b32_e32 v14, v12
	v_mov_b32_e32 v15, v12
	v_mov_b32_e32 v0, v12
	v_mov_b32_e32 v1, v12
	v_mov_b32_e32 v2, v12
	v_mov_b32_e32 v3, v12
	v_mov_b32_e32 v4, v12
	v_mov_b32_e32 v5, v12
	v_mov_b32_e32 v6, v12
	v_mov_b32_e32 v7, v12
	v_mov_b32_e32 v8, v12
	v_mov_b32_e32 v9, v12
	v_mov_b32_e32 v10, v12
	v_mov_b32_e32 v11, v12
	s_mul_i32 s53, s19, 19
	s_mul_i32 s79, s19, 20
	;; [unrolled: 1-line block ×13, first 2 shown]
	s_lshl_b32 s91, s19, 5
	s_mul_i32 s92, s19, 33
	s_mul_i32 s93, s19, 34
	;; [unrolled: 1-line block ×31, first 2 shown]
	s_mov_b64 s[18:19], 0
	s_branch .LBB97_34
.LBB97_32:                              ;   in Loop: Header=BB97_34 Depth=1
	v_mul_lo_u32 v94, v94, s25
	s_mul_i32 vcc_lo, s20, 12
	v_add_u32_e32 v94, vcc_lo, v94
	v_add_u32_e32 v94, v94, v87
	v_ashrrev_i32_e32 v95, 31, v94
	v_lshlrev_b64 v[94:95], 2, v[94:95]
	v_mov_b32_e32 v96, s33
	v_add_co_u32_e32 v94, vcc, s27, v94
	v_addc_co_u32_e32 v95, vcc, v96, v95, vcc
	global_load_dword v94, v[94:95], off
.LBB97_33:                              ;   in Loop: Header=BB97_34 Depth=1
	v_add_u32_e32 v95, 0xc00, v89
	s_waitcnt vmcnt(0)
	ds_write2_b32 v95, v94, v91 offset0:40 offset1:106
	ds_write2_b32 v95, v91, v91 offset0:172 offset1:238
	ds_read2_b64 v[94:97], v90 offset0:8 offset1:12
	v_add_co_u32_e32 v18, vcc, 0x800, v18
	v_add_u32_e32 v87, 0x200, v87
	v_addc_co_u32_e32 v19, vcc, 0, v19, vcc
	s_waitcnt lgkmcnt(0)
	v_mfma_f32_16x16x4f32 v[8:11], v48, v94, v[8:11]
	v_cmp_le_i32_e32 vcc, s16, v87
	s_or_b64 s[18:19], vcc, s[18:19]
	v_mfma_f32_16x16x4f32 v[4:7], v60, v94, v[4:7]
	v_mfma_f32_16x16x4f32 v[0:3], v66, v94, v[0:3]
	;; [unrolled: 1-line block ×14, first 2 shown]
	ds_read2_b64 v[64:67], v90 offset0:16 offset1:20
	v_mfma_f32_16x16x4f32 v[12:15], v81, v97, v[12:15]
	s_waitcnt lgkmcnt(0)
	v_mfma_f32_16x16x4f32 v[8:11], v36, v64, v[8:11]
	v_mfma_f32_16x16x4f32 v[4:7], v52, v64, v[4:7]
	;; [unrolled: 1-line block ×14, first 2 shown]
	ds_read2_b64 v[46:49], v90 offset0:24 offset1:28
	v_mfma_f32_16x16x4f32 v[0:3], v59, v67, v[0:3]
	v_mfma_f32_16x16x4f32 v[12:15], v77, v67, v[12:15]
	s_waitcnt lgkmcnt(0)
	v_mfma_f32_16x16x4f32 v[8:11], v28, v46, v[8:11]
	v_mfma_f32_16x16x4f32 v[4:7], v40, v46, v[4:7]
	;; [unrolled: 1-line block ×14, first 2 shown]
	ds_read2_b64 v[32:35], v90 offset0:32 offset1:36
	v_mfma_f32_16x16x4f32 v[0:3], v51, v49, v[0:3]
	v_mfma_f32_16x16x4f32 v[12:15], v73, v49, v[12:15]
	s_waitcnt lgkmcnt(0)
	v_mfma_f32_16x16x4f32 v[8:11], v22, v32, v[8:11]
	v_mfma_f32_16x16x4f32 v[4:7], v30, v32, v[4:7]
	;; [unrolled: 1-line block ×16, first 2 shown]
	s_andn2_b64 exec, exec, s[18:19]
	s_cbranch_execz .LBB97_85
.LBB97_34:                              ; =>This Inner Loop Header: Depth=1
	v_add_co_u32_e32 v20, vcc, s52, v18
	v_addc_co_u32_e32 v21, vcc, v19, v93, vcc
	global_load_dword v32, v[18:19], off
	global_load_dword v33, v[20:21], off
	v_add_u32_e32 v20, s28, v87
	v_ashrrev_i32_e32 v21, 31, v20
	v_lshlrev_b64 v[20:21], 2, v[20:21]
	v_add_co_u32_e32 v20, vcc, s24, v20
	v_addc_co_u32_e32 v21, vcc, v92, v21, vcc
	v_readlane_b32 vcc_lo, v102, 18
	v_add_u32_e32 v22, vcc_lo, v87
	v_ashrrev_i32_e32 v23, 31, v22
	v_lshlrev_b64 v[22:23], 2, v[22:23]
	v_add_u32_e32 v24, s64, v87
	v_add_co_u32_e32 v22, vcc, s24, v22
	v_ashrrev_i32_e32 v25, 31, v24
	v_addc_co_u32_e32 v23, vcc, v92, v23, vcc
	v_lshlrev_b64 v[24:25], 2, v[24:25]
	v_add_co_u32_e32 v24, vcc, s24, v24
	v_addc_co_u32_e32 v25, vcc, v92, v25, vcc
	v_readlane_b32 vcc_lo, v102, 19
	v_add_u32_e32 v26, vcc_lo, v87
	v_ashrrev_i32_e32 v27, 31, v26
	v_lshlrev_b64 v[26:27], 2, v[26:27]
	v_add_co_u32_e32 v26, vcc, s24, v26
	v_addc_co_u32_e32 v27, vcc, v92, v27, vcc
	v_readlane_b32 vcc_lo, v102, 20
	v_add_u32_e32 v28, vcc_lo, v87
	v_ashrrev_i32_e32 v29, 31, v28
	;; [unrolled: 6-line block ×3, first 2 shown]
	v_lshlrev_b64 v[30:31], 2, v[30:31]
	v_add_co_u32_e32 v30, vcc, s24, v30
	v_addc_co_u32_e32 v31, vcc, v92, v31, vcc
	global_load_dword v34, v[20:21], off
	global_load_dword v35, v[22:23], off
	;; [unrolled: 1-line block ×3, first 2 shown]
	s_nop 0
	global_load_dword v26, v[26:27], off
	s_nop 0
	global_load_dword v27, v[28:29], off
	;; [unrolled: 2-line block ×3, first 2 shown]
	v_add_u32_e32 v20, s68, v87
	v_ashrrev_i32_e32 v21, 31, v20
	v_add_u32_e32 v22, s69, v87
	v_lshlrev_b64 v[20:21], 2, v[20:21]
	v_ashrrev_i32_e32 v23, 31, v22
	v_add_co_u32_e32 v20, vcc, s24, v20
	v_add_u32_e32 v24, s70, v87
	v_lshlrev_b64 v[22:23], 2, v[22:23]
	v_addc_co_u32_e32 v21, vcc, v92, v21, vcc
	v_ashrrev_i32_e32 v25, 31, v24
	v_add_co_u32_e32 v22, vcc, s24, v22
	v_lshlrev_b64 v[24:25], 2, v[24:25]
	v_addc_co_u32_e32 v23, vcc, v92, v23, vcc
	global_load_dword v20, v[20:21], off
	s_nop 0
	global_load_dword v21, v[22:23], off
	v_add_u32_e32 v22, s71, v87
	v_add_co_u32_e32 v24, vcc, s24, v24
	v_ashrrev_i32_e32 v23, 31, v22
	v_addc_co_u32_e32 v25, vcc, v92, v25, vcc
	v_lshlrev_b64 v[22:23], 2, v[22:23]
	v_add_u32_e32 v40, s82, v87
	v_ashrrev_i32_e32 v41, 31, v40
	v_lshlrev_b64 v[40:41], 2, v[40:41]
	v_add_u32_e32 v42, s83, v87
	v_ashrrev_i32_e32 v43, 31, v42
	;; [unrolled: 3-line block ×5, first 2 shown]
	v_lshlrev_b64 v[60:61], 2, v[60:61]
	s_waitcnt vmcnt(9)
	ds_write_b32 v89, v32 offset:64
	s_waitcnt vmcnt(8)
	ds_write_b32 v89, v33 offset:328
	;; [unrolled: 2-line block ×8, first 2 shown]
	v_add_co_u32_e32 v26, vcc, s24, v22
	v_add_u32_e32 v22, s72, v87
	v_addc_co_u32_e32 v27, vcc, v92, v23, vcc
	v_ashrrev_i32_e32 v23, 31, v22
	v_lshlrev_b64 v[22:23], 2, v[22:23]
	v_add_co_u32_e32 v28, vcc, s24, v22
	v_add_u32_e32 v22, s73, v87
	v_addc_co_u32_e32 v29, vcc, v92, v23, vcc
	v_ashrrev_i32_e32 v23, 31, v22
	v_lshlrev_b64 v[22:23], 2, v[22:23]
	;; [unrolled: 5-line block ×6, first 2 shown]
	v_add_co_u32_e32 v38, vcc, s24, v22
	v_addc_co_u32_e32 v39, vcc, v92, v23, vcc
	global_load_dword v22, v[24:25], off
	global_load_dword v23, v[26:27], off
	s_nop 0
	global_load_dword v24, v[28:29], off
	global_load_dword v25, v[30:31], off
	s_nop 0
	global_load_dword v28, v[32:33], off
	global_load_dword v29, v[34:35], off
	;; [unrolled: 1-line block ×4, first 2 shown]
	v_add_u32_e32 v30, s78, v87
	v_ashrrev_i32_e32 v31, 31, v30
	v_lshlrev_b64 v[30:31], 2, v[30:31]
	v_add_u32_e32 v32, s53, v87
	v_add_co_u32_e32 v30, vcc, s24, v30
	v_ashrrev_i32_e32 v33, 31, v32
	v_addc_co_u32_e32 v31, vcc, v92, v31, vcc
	v_lshlrev_b64 v[32:33], 2, v[32:33]
	v_add_u32_e32 v34, s79, v87
	v_add_co_u32_e32 v32, vcc, s24, v32
	v_ashrrev_i32_e32 v35, 31, v34
	v_addc_co_u32_e32 v33, vcc, v92, v33, vcc
	;; [unrolled: 5-line block ×4, first 2 shown]
	v_lshlrev_b64 v[38:39], 2, v[38:39]
	v_add_co_u32_e32 v38, vcc, s24, v38
	v_addc_co_u32_e32 v39, vcc, v92, v39, vcc
	v_add_co_u32_e32 v40, vcc, s24, v40
	v_addc_co_u32_e32 v41, vcc, v92, v41, vcc
	;; [unrolled: 2-line block ×4, first 2 shown]
	global_load_dword v30, v[30:31], off
	s_nop 0
	global_load_dword v31, v[32:33], off
	s_nop 0
	;; [unrolled: 2-line block ×6, first 2 shown]
	global_load_dword v40, v[42:43], off
	global_load_dword v41, v[44:45], off
	v_add_u32_e32 v32, s85, v87
	v_ashrrev_i32_e32 v33, 31, v32
	v_lshlrev_b64 v[32:33], 2, v[32:33]
	v_add_u32_e32 v36, s86, v87
	v_add_co_u32_e32 v32, vcc, s24, v32
	v_ashrrev_i32_e32 v37, 31, v36
	v_addc_co_u32_e32 v33, vcc, v92, v33, vcc
	v_lshlrev_b64 v[36:37], 2, v[36:37]
	v_add_u32_e32 v42, s87, v87
	v_add_co_u32_e32 v36, vcc, s24, v36
	v_ashrrev_i32_e32 v43, 31, v42
	v_addc_co_u32_e32 v37, vcc, v92, v37, vcc
	v_lshlrev_b64 v[42:43], 2, v[42:43]
	v_add_u32_e32 v44, s88, v87
	v_add_co_u32_e32 v42, vcc, s24, v42
	v_ashrrev_i32_e32 v45, 31, v44
	v_addc_co_u32_e32 v43, vcc, v92, v43, vcc
	v_lshlrev_b64 v[44:45], 2, v[44:45]
	v_add_co_u32_e32 v44, vcc, s24, v44
	v_addc_co_u32_e32 v45, vcc, v92, v45, vcc
	v_add_co_u32_e32 v48, vcc, s24, v46
	v_add_u32_e32 v46, s90, v87
	v_addc_co_u32_e32 v49, vcc, v92, v47, vcc
	v_ashrrev_i32_e32 v47, 31, v46
	v_lshlrev_b64 v[46:47], 2, v[46:47]
	v_add_co_u32_e32 v54, vcc, s24, v46
	v_add_u32_e32 v46, s91, v87
	v_addc_co_u32_e32 v55, vcc, v92, v47, vcc
	v_ashrrev_i32_e32 v47, 31, v46
	v_lshlrev_b64 v[46:47], 2, v[46:47]
	;; [unrolled: 5-line block ×3, first 2 shown]
	v_add_co_u32_e32 v58, vcc, s24, v46
	v_addc_co_u32_e32 v59, vcc, v92, v47, vcc
	global_load_dword v46, v[32:33], off
	global_load_dword v47, v[36:37], off
	;; [unrolled: 1-line block ×6, first 2 shown]
	s_nop 0
	global_load_dword v44, v[56:57], off
	global_load_dword v45, v[58:59], off
	v_add_u32_e32 v32, s93, v87
	v_ashrrev_i32_e32 v33, 31, v32
	v_lshlrev_b64 v[32:33], 2, v[32:33]
	v_add_u32_e32 v36, s94, v87
	v_add_co_u32_e32 v32, vcc, s24, v32
	v_ashrrev_i32_e32 v37, 31, v36
	v_addc_co_u32_e32 v33, vcc, v92, v33, vcc
	v_lshlrev_b64 v[36:37], 2, v[36:37]
	v_add_u32_e32 v42, s95, v87
	v_add_co_u32_e32 v36, vcc, s24, v36
	v_ashrrev_i32_e32 v43, 31, v42
	v_addc_co_u32_e32 v37, vcc, v92, v37, vcc
	;; [unrolled: 5-line block ×6, first 2 shown]
	v_lshlrev_b64 v[58:59], 2, v[58:59]
	v_add_co_u32_e32 v58, vcc, s24, v58
	v_addc_co_u32_e32 v59, vcc, v92, v59, vcc
	v_add_co_u32_e32 v60, vcc, s24, v60
	v_addc_co_u32_e32 v61, vcc, v92, v61, vcc
	global_load_dword v62, v[32:33], off
	global_load_dword v63, v[36:37], off
	;; [unrolled: 1-line block ×8, first 2 shown]
	v_add_u32_e32 v32, s57, v87
	v_ashrrev_i32_e32 v33, 31, v32
	v_lshlrev_b64 v[32:33], 2, v[32:33]
	v_add_u32_e32 v36, s58, v87
	v_add_co_u32_e32 v32, vcc, s24, v32
	v_ashrrev_i32_e32 v37, 31, v36
	v_addc_co_u32_e32 v33, vcc, v92, v33, vcc
	v_lshlrev_b64 v[36:37], 2, v[36:37]
	v_add_u32_e32 v42, s59, v87
	v_add_co_u32_e32 v36, vcc, s24, v36
	v_ashrrev_i32_e32 v43, 31, v42
	v_addc_co_u32_e32 v37, vcc, v92, v37, vcc
	;; [unrolled: 5-line block ×7, first 2 shown]
	v_lshlrev_b64 v[60:61], 2, v[60:61]
	v_add_co_u32_e32 v60, vcc, s24, v60
	v_addc_co_u32_e32 v61, vcc, v92, v61, vcc
	global_load_dword v70, v[32:33], off
	global_load_dword v71, v[36:37], off
	;; [unrolled: 1-line block ×8, first 2 shown]
	v_add_u32_e32 v32, s5, v87
	v_ashrrev_i32_e32 v33, 31, v32
	v_lshlrev_b64 v[32:33], 2, v[32:33]
	v_add_u32_e32 v36, s2, v87
	v_add_co_u32_e32 v32, vcc, s24, v32
	v_ashrrev_i32_e32 v37, 31, v36
	v_addc_co_u32_e32 v33, vcc, v92, v33, vcc
	v_lshlrev_b64 v[36:37], 2, v[36:37]
	v_add_u32_e32 v42, s3, v87
	v_add_co_u32_e32 v36, vcc, s24, v36
	v_ashrrev_i32_e32 v43, 31, v42
	v_addc_co_u32_e32 v37, vcc, v92, v37, vcc
	;; [unrolled: 5-line block ×7, first 2 shown]
	v_lshlrev_b64 v[60:61], 2, v[60:61]
	v_add_co_u32_e32 v60, vcc, s24, v60
	v_addc_co_u32_e32 v61, vcc, v92, v61, vcc
	global_load_dword v78, v[32:33], off
	global_load_dword v79, v[36:37], off
	;; [unrolled: 1-line block ×8, first 2 shown]
	v_add_u32_e32 v32, s9, v87
	v_ashrrev_i32_e32 v33, 31, v32
	v_lshlrev_b64 v[32:33], 2, v[32:33]
	v_add_u32_e32 v36, s8, v87
	v_add_co_u32_e32 v32, vcc, s24, v32
	v_ashrrev_i32_e32 v37, 31, v36
	v_addc_co_u32_e32 v33, vcc, v92, v33, vcc
	v_lshlrev_b64 v[36:37], 2, v[36:37]
	v_add_u32_e32 v42, s29, v87
	v_add_co_u32_e32 v36, vcc, s24, v36
	v_ashrrev_i32_e32 v43, 31, v42
	v_addc_co_u32_e32 v37, vcc, v92, v37, vcc
	;; [unrolled: 5-line block ×5, first 2 shown]
	v_lshlrev_b64 v[56:57], 2, v[56:57]
	v_add_co_u32_e32 v56, vcc, s24, v56
	v_addc_co_u32_e32 v57, vcc, v92, v57, vcc
	global_load_dword v96, v[32:33], off
	global_load_dword v97, v[36:37], off
	;; [unrolled: 1-line block ×6, first 2 shown]
	s_waitcnt vmcnt(55)
	ds_write_b32 v89, v20 offset:2176
	s_waitcnt vmcnt(54)
	ds_write_b32 v89, v21 offset:2440
	s_waitcnt vmcnt(53)
	ds_write_b32 v89, v22 offset:2704
	s_waitcnt vmcnt(52)
	ds_write_b32 v89, v23 offset:2968
	s_waitcnt vmcnt(51)
	ds_write_b32 v89, v24 offset:3232
	s_waitcnt vmcnt(50)
	ds_write_b32 v89, v25 offset:3496
	s_waitcnt vmcnt(49)
	ds_write_b32 v89, v28 offset:3760
	s_waitcnt vmcnt(48)
	ds_write_b32 v89, v29 offset:4024
	ds_read_b64 v[48:49], v90 offset:64
	ds_read_b64 v[42:43], v90 offset:96
	ds_read_b64 v[36:37], v90 offset:128
	ds_read_b64 v[32:33], v90 offset:160
	ds_read_b64 v[28:29], v90 offset:192
	ds_read_b64 v[24:25], v90 offset:224
	ds_read_b64 v[22:23], v90 offset:256
	ds_read_b64 v[20:21], v90 offset:288
	s_waitcnt vmcnt(47)
	ds_write_b32 v89, v26 offset:64
	s_waitcnt vmcnt(46)
	ds_write_b32 v89, v27 offset:328
	s_waitcnt vmcnt(45)
	ds_write_b32 v89, v30 offset:592
	s_waitcnt vmcnt(44)
	ds_write_b32 v89, v31 offset:856
	s_waitcnt vmcnt(43)
	ds_write_b32 v89, v34 offset:1120
	s_waitcnt vmcnt(42)
	ds_write_b32 v89, v35 offset:1384
	s_waitcnt vmcnt(41)
	ds_write_b32 v89, v38 offset:1648
	s_waitcnt vmcnt(40)
	ds_write_b32 v89, v39 offset:1912
	s_waitcnt vmcnt(39)
	ds_write_b32 v89, v40 offset:2176
	s_waitcnt vmcnt(38)
	ds_write_b32 v89, v41 offset:2440
	s_waitcnt vmcnt(37)
	ds_write_b32 v89, v46 offset:2704
	s_waitcnt vmcnt(36)
	ds_write_b32 v89, v47 offset:2968
	s_waitcnt vmcnt(35)
	ds_write_b32 v89, v50 offset:3232
	s_waitcnt vmcnt(34)
	ds_write_b32 v89, v51 offset:3496
	s_waitcnt vmcnt(33)
	ds_write_b32 v89, v52 offset:3760
	s_waitcnt vmcnt(32)
	ds_write_b32 v89, v53 offset:4024
	ds_read_b64 v[60:61], v90 offset:64
	ds_read_b64 v[56:57], v90 offset:96
	ds_read_b64 v[52:53], v90 offset:128
	ds_read_b64 v[46:47], v90 offset:160
	ds_read_b64 v[40:41], v90 offset:192
	ds_read_b64 v[34:35], v90 offset:224
	ds_read_b64 v[30:31], v90 offset:256
	ds_read_b64 v[26:27], v90 offset:288
	s_waitcnt vmcnt(31)
	ds_write_b32 v89, v44 offset:64
	s_waitcnt vmcnt(30)
	ds_write_b32 v89, v45 offset:328
	s_waitcnt vmcnt(29)
	ds_write_b32 v89, v62 offset:592
	s_waitcnt vmcnt(28)
	ds_write_b32 v89, v63 offset:856
	s_waitcnt vmcnt(27)
	ds_write_b32 v89, v64 offset:1120
	s_waitcnt vmcnt(26)
	ds_write_b32 v89, v65 offset:1384
	s_waitcnt vmcnt(25)
	ds_write_b32 v89, v66 offset:1648
	s_waitcnt vmcnt(24)
	ds_write_b32 v89, v67 offset:1912
	;; [unrolled: 40-line block ×3, first 2 shown]
	s_waitcnt vmcnt(7)
	ds_write_b32 v89, v94 offset:2176
	s_waitcnt vmcnt(6)
	ds_write_b32 v89, v95 offset:2440
	;; [unrolled: 2-line block ×8, first 2 shown]
	ds_read_b64 v[82:83], v90 offset:64
	ds_read_b64 v[80:81], v90 offset:96
	;; [unrolled: 1-line block ×8, first 2 shown]
	s_andn2_b64 vcc, exec, s[6:7]
	v_mov_b32_e32 v94, 0
	s_cbranch_vccnz .LBB97_38
; %bb.35:                               ;   in Loop: Header=BB97_34 Depth=1
	ds_read_b32 v94, v88
	s_waitcnt lgkmcnt(0)
	v_cmp_gt_i32_e32 vcc, 0, v94
	s_cbranch_vccnz .LBB97_37
; %bb.36:                               ;   in Loop: Header=BB97_34 Depth=1
	v_mul_lo_u32 v94, v94, s25
	v_add_u32_e32 v94, v87, v94
	v_ashrrev_i32_e32 v95, 31, v94
	v_lshlrev_b64 v[94:95], 2, v[94:95]
	v_mov_b32_e32 v96, s33
	v_add_co_u32_e32 v94, vcc, s27, v94
	v_addc_co_u32_e32 v95, vcc, v96, v95, vcc
	global_load_dword v94, v[94:95], off
	s_branch .LBB97_38
.LBB97_37:                              ;   in Loop: Header=BB97_34 Depth=1
	v_mov_b32_e32 v94, 0
.LBB97_38:                              ;   in Loop: Header=BB97_34 Depth=1
	s_waitcnt vmcnt(0)
	ds_write_b32 v89, v94 offset:64
	s_andn2_b64 vcc, exec, s[12:13]
	v_mov_b32_e32 v94, 0
	v_mov_b32_e32 v95, 0
	s_cbranch_vccnz .LBB97_41
; %bb.39:                               ;   in Loop: Header=BB97_34 Depth=1
	ds_read_b32 v95, v88 offset:4
	s_waitcnt lgkmcnt(0)
	v_cmp_gt_i32_e32 vcc, 0, v95
	s_cbranch_vccnz .LBB97_44
; %bb.40:                               ;   in Loop: Header=BB97_34 Depth=1
	v_mul_lo_u32 v95, v95, s25
	v_add_u32_e32 v95, s20, v95
	v_add_u32_e32 v96, v95, v87
	v_ashrrev_i32_e32 v97, 31, v96
	v_lshlrev_b64 v[96:97], 2, v[96:97]
	v_mov_b32_e32 v95, s33
	v_add_co_u32_e32 v96, vcc, s27, v96
	v_addc_co_u32_e32 v97, vcc, v95, v97, vcc
	global_load_dword v95, v[96:97], off
.LBB97_41:                              ;   in Loop: Header=BB97_34 Depth=1
	s_andn2_b64 vcc, exec, s[22:23]
	s_waitcnt vmcnt(0)
	ds_write_b32 v89, v95 offset:328
	s_cbranch_vccnz .LBB97_46
.LBB97_42:                              ;   in Loop: Header=BB97_34 Depth=1
	ds_read_b32 v94, v88 offset:8
	s_waitcnt lgkmcnt(0)
	v_cmp_gt_i32_e32 vcc, 0, v94
	s_cbranch_vccnz .LBB97_45
; %bb.43:                               ;   in Loop: Header=BB97_34 Depth=1
	v_mul_lo_u32 v94, v94, s25
	v_readlane_b32 vcc_lo, v102, 14
	v_add_u32_e32 v94, vcc_lo, v94
	v_add_u32_e32 v94, v94, v87
	v_ashrrev_i32_e32 v95, 31, v94
	v_lshlrev_b64 v[94:95], 2, v[94:95]
	v_mov_b32_e32 v96, s33
	v_add_co_u32_e32 v94, vcc, s27, v94
	v_addc_co_u32_e32 v95, vcc, v96, v95, vcc
	global_load_dword v94, v[94:95], off
	s_branch .LBB97_46
.LBB97_44:                              ;   in Loop: Header=BB97_34 Depth=1
	v_mov_b32_e32 v95, 0
	s_andn2_b64 vcc, exec, s[22:23]
	ds_write_b32 v89, v95 offset:328
	s_cbranch_vccz .LBB97_42
	s_branch .LBB97_46
.LBB97_45:                              ;   in Loop: Header=BB97_34 Depth=1
	v_mov_b32_e32 v94, 0
.LBB97_46:                              ;   in Loop: Header=BB97_34 Depth=1
	s_waitcnt vmcnt(0)
	ds_write_b32 v89, v94 offset:592
	s_andn2_b64 vcc, exec, s[30:31]
	v_mov_b32_e32 v94, 0
	v_mov_b32_e32 v95, 0
	s_cbranch_vccnz .LBB97_49
; %bb.47:                               ;   in Loop: Header=BB97_34 Depth=1
	ds_read_b32 v95, v88 offset:12
	s_waitcnt lgkmcnt(0)
	v_cmp_gt_i32_e32 vcc, 0, v95
	s_cbranch_vccnz .LBB97_52
; %bb.48:                               ;   in Loop: Header=BB97_34 Depth=1
	v_mul_lo_u32 v95, v95, s25
	s_mul_i32 vcc_lo, s20, 3
	v_add_u32_e32 v95, vcc_lo, v95
	v_add_u32_e32 v96, v95, v87
	v_ashrrev_i32_e32 v97, 31, v96
	v_lshlrev_b64 v[96:97], 2, v[96:97]
	v_mov_b32_e32 v95, s33
	v_add_co_u32_e32 v96, vcc, s27, v96
	v_addc_co_u32_e32 v97, vcc, v95, v97, vcc
	global_load_dword v95, v[96:97], off
.LBB97_49:                              ;   in Loop: Header=BB97_34 Depth=1
	s_andn2_b64 vcc, exec, s[34:35]
	s_waitcnt vmcnt(0)
	ds_write_b32 v89, v95 offset:856
	s_cbranch_vccnz .LBB97_54
.LBB97_50:                              ;   in Loop: Header=BB97_34 Depth=1
	ds_read_b32 v94, v88 offset:16
	s_waitcnt lgkmcnt(0)
	v_cmp_gt_i32_e32 vcc, 0, v94
	s_cbranch_vccnz .LBB97_53
; %bb.51:                               ;   in Loop: Header=BB97_34 Depth=1
	v_mul_lo_u32 v94, v94, s25
	v_readlane_b32 vcc_lo, v102, 15
	v_add_u32_e32 v94, vcc_lo, v94
	v_add_u32_e32 v94, v94, v87
	v_ashrrev_i32_e32 v95, 31, v94
	v_lshlrev_b64 v[94:95], 2, v[94:95]
	v_mov_b32_e32 v96, s33
	v_add_co_u32_e32 v94, vcc, s27, v94
	v_addc_co_u32_e32 v95, vcc, v96, v95, vcc
	global_load_dword v94, v[94:95], off
	s_branch .LBB97_54
.LBB97_52:                              ;   in Loop: Header=BB97_34 Depth=1
	v_mov_b32_e32 v95, 0
	s_andn2_b64 vcc, exec, s[34:35]
	ds_write_b32 v89, v95 offset:856
	s_cbranch_vccz .LBB97_50
	s_branch .LBB97_54
.LBB97_53:                              ;   in Loop: Header=BB97_34 Depth=1
	v_mov_b32_e32 v94, 0
.LBB97_54:                              ;   in Loop: Header=BB97_34 Depth=1
	s_waitcnt vmcnt(0)
	ds_write_b32 v89, v94 offset:1120
	s_andn2_b64 vcc, exec, s[36:37]
	v_mov_b32_e32 v94, 0
	v_mov_b32_e32 v95, 0
	s_cbranch_vccnz .LBB97_57
; %bb.55:                               ;   in Loop: Header=BB97_34 Depth=1
	ds_read_b32 v95, v88 offset:20
	s_waitcnt lgkmcnt(0)
	v_cmp_gt_i32_e32 vcc, 0, v95
	s_cbranch_vccnz .LBB97_60
; %bb.56:                               ;   in Loop: Header=BB97_34 Depth=1
	v_mul_lo_u32 v95, v95, s25
	s_mul_i32 vcc_lo, s20, 5
	v_add_u32_e32 v95, vcc_lo, v95
	v_add_u32_e32 v96, v95, v87
	v_ashrrev_i32_e32 v97, 31, v96
	v_lshlrev_b64 v[96:97], 2, v[96:97]
	v_mov_b32_e32 v95, s33
	v_add_co_u32_e32 v96, vcc, s27, v96
	v_addc_co_u32_e32 v97, vcc, v95, v97, vcc
	global_load_dword v95, v[96:97], off
.LBB97_57:                              ;   in Loop: Header=BB97_34 Depth=1
	s_andn2_b64 vcc, exec, s[38:39]
	s_waitcnt vmcnt(0)
	ds_write_b32 v89, v95 offset:1384
	s_cbranch_vccnz .LBB97_62
.LBB97_58:                              ;   in Loop: Header=BB97_34 Depth=1
	ds_read_b32 v94, v88 offset:24
	s_waitcnt lgkmcnt(0)
	v_cmp_gt_i32_e32 vcc, 0, v94
	s_cbranch_vccnz .LBB97_61
; %bb.59:                               ;   in Loop: Header=BB97_34 Depth=1
	v_mul_lo_u32 v94, v94, s25
	s_mul_i32 vcc_lo, s20, 6
	v_add_u32_e32 v94, vcc_lo, v94
	v_add_u32_e32 v94, v94, v87
	v_ashrrev_i32_e32 v95, 31, v94
	v_lshlrev_b64 v[94:95], 2, v[94:95]
	v_mov_b32_e32 v96, s33
	v_add_co_u32_e32 v94, vcc, s27, v94
	v_addc_co_u32_e32 v95, vcc, v96, v95, vcc
	global_load_dword v94, v[94:95], off
	s_branch .LBB97_62
.LBB97_60:                              ;   in Loop: Header=BB97_34 Depth=1
	v_mov_b32_e32 v95, 0
	s_andn2_b64 vcc, exec, s[38:39]
	ds_write_b32 v89, v95 offset:1384
	s_cbranch_vccz .LBB97_58
	s_branch .LBB97_62
.LBB97_61:                              ;   in Loop: Header=BB97_34 Depth=1
	v_mov_b32_e32 v94, 0
.LBB97_62:                              ;   in Loop: Header=BB97_34 Depth=1
	s_waitcnt vmcnt(0)
	ds_write_b32 v89, v94 offset:1648
	s_andn2_b64 vcc, exec, s[40:41]
	v_mov_b32_e32 v94, 0
	v_mov_b32_e32 v95, 0
	s_cbranch_vccnz .LBB97_65
; %bb.63:                               ;   in Loop: Header=BB97_34 Depth=1
	ds_read_b32 v95, v88 offset:28
	s_waitcnt lgkmcnt(0)
	v_cmp_gt_i32_e32 vcc, 0, v95
	s_cbranch_vccnz .LBB97_68
; %bb.64:                               ;   in Loop: Header=BB97_34 Depth=1
	v_mul_lo_u32 v95, v95, s25
	s_mul_i32 vcc_lo, s20, 7
	v_add_u32_e32 v95, vcc_lo, v95
	v_add_u32_e32 v96, v95, v87
	v_ashrrev_i32_e32 v97, 31, v96
	v_lshlrev_b64 v[96:97], 2, v[96:97]
	v_mov_b32_e32 v95, s33
	v_add_co_u32_e32 v96, vcc, s27, v96
	v_addc_co_u32_e32 v97, vcc, v95, v97, vcc
	global_load_dword v95, v[96:97], off
.LBB97_65:                              ;   in Loop: Header=BB97_34 Depth=1
	s_andn2_b64 vcc, exec, s[42:43]
	s_waitcnt vmcnt(0)
	ds_write_b32 v89, v95 offset:1912
	s_cbranch_vccnz .LBB97_70
.LBB97_66:                              ;   in Loop: Header=BB97_34 Depth=1
	ds_read_b32 v94, v88 offset:32
	s_waitcnt lgkmcnt(0)
	v_cmp_gt_i32_e32 vcc, 0, v94
	s_cbranch_vccnz .LBB97_69
; %bb.67:                               ;   in Loop: Header=BB97_34 Depth=1
	v_mul_lo_u32 v94, v94, s25
	v_readlane_b32 vcc_lo, v102, 16
	v_add_u32_e32 v94, vcc_lo, v94
	v_add_u32_e32 v94, v94, v87
	v_ashrrev_i32_e32 v95, 31, v94
	v_lshlrev_b64 v[94:95], 2, v[94:95]
	v_mov_b32_e32 v96, s33
	v_add_co_u32_e32 v94, vcc, s27, v94
	v_addc_co_u32_e32 v95, vcc, v96, v95, vcc
	global_load_dword v94, v[94:95], off
	s_branch .LBB97_70
.LBB97_68:                              ;   in Loop: Header=BB97_34 Depth=1
	v_mov_b32_e32 v95, 0
	s_andn2_b64 vcc, exec, s[42:43]
	ds_write_b32 v89, v95 offset:1912
	s_cbranch_vccz .LBB97_66
	s_branch .LBB97_70
.LBB97_69:                              ;   in Loop: Header=BB97_34 Depth=1
	v_mov_b32_e32 v94, 0
.LBB97_70:                              ;   in Loop: Header=BB97_34 Depth=1
	s_waitcnt vmcnt(0)
	ds_write_b32 v89, v94 offset:2176
	s_andn2_b64 vcc, exec, s[44:45]
	v_mov_b32_e32 v94, 0
	v_mov_b32_e32 v95, 0
	s_cbranch_vccnz .LBB97_73
; %bb.71:                               ;   in Loop: Header=BB97_34 Depth=1
	ds_read_b32 v95, v88 offset:36
	s_waitcnt lgkmcnt(0)
	v_cmp_gt_i32_e32 vcc, 0, v95
	s_cbranch_vccnz .LBB97_76
; %bb.72:                               ;   in Loop: Header=BB97_34 Depth=1
	v_mul_lo_u32 v95, v95, s25
	s_mul_i32 vcc_lo, s20, 9
	v_add_u32_e32 v95, vcc_lo, v95
	v_add_u32_e32 v96, v95, v87
	v_ashrrev_i32_e32 v97, 31, v96
	v_lshlrev_b64 v[96:97], 2, v[96:97]
	v_mov_b32_e32 v95, s33
	v_add_co_u32_e32 v96, vcc, s27, v96
	v_addc_co_u32_e32 v97, vcc, v95, v97, vcc
	global_load_dword v95, v[96:97], off
.LBB97_73:                              ;   in Loop: Header=BB97_34 Depth=1
	s_andn2_b64 vcc, exec, s[46:47]
	s_waitcnt vmcnt(0)
	ds_write_b32 v89, v95 offset:2440
	s_cbranch_vccnz .LBB97_78
.LBB97_74:                              ;   in Loop: Header=BB97_34 Depth=1
	ds_read_b32 v94, v88 offset:40
	s_waitcnt lgkmcnt(0)
	v_cmp_gt_i32_e32 vcc, 0, v94
	s_cbranch_vccnz .LBB97_77
; %bb.75:                               ;   in Loop: Header=BB97_34 Depth=1
	v_mul_lo_u32 v94, v94, s25
	s_mul_i32 vcc_lo, s20, 10
	v_add_u32_e32 v94, vcc_lo, v94
	v_add_u32_e32 v94, v94, v87
	v_ashrrev_i32_e32 v95, 31, v94
	v_lshlrev_b64 v[94:95], 2, v[94:95]
	v_mov_b32_e32 v96, s33
	v_add_co_u32_e32 v94, vcc, s27, v94
	v_addc_co_u32_e32 v95, vcc, v96, v95, vcc
	global_load_dword v94, v[94:95], off
	s_branch .LBB97_78
.LBB97_76:                              ;   in Loop: Header=BB97_34 Depth=1
	v_mov_b32_e32 v95, 0
	s_andn2_b64 vcc, exec, s[46:47]
	ds_write_b32 v89, v95 offset:2440
	s_cbranch_vccz .LBB97_74
	s_branch .LBB97_78
.LBB97_77:                              ;   in Loop: Header=BB97_34 Depth=1
	v_mov_b32_e32 v94, 0
.LBB97_78:                              ;   in Loop: Header=BB97_34 Depth=1
	s_waitcnt vmcnt(0)
	ds_write_b32 v89, v94 offset:2704
	s_andn2_b64 vcc, exec, s[48:49]
	v_mov_b32_e32 v94, 0
	v_mov_b32_e32 v95, 0
	s_cbranch_vccnz .LBB97_81
; %bb.79:                               ;   in Loop: Header=BB97_34 Depth=1
	ds_read_b32 v95, v88 offset:44
	s_waitcnt lgkmcnt(0)
	v_cmp_gt_i32_e32 vcc, 0, v95
	s_cbranch_vccnz .LBB97_84
; %bb.80:                               ;   in Loop: Header=BB97_34 Depth=1
	v_mul_lo_u32 v95, v95, s25
	s_mul_i32 vcc_lo, s20, 11
	v_add_u32_e32 v95, vcc_lo, v95
	v_add_u32_e32 v96, v95, v87
	v_ashrrev_i32_e32 v97, 31, v96
	v_lshlrev_b64 v[96:97], 2, v[96:97]
	v_mov_b32_e32 v95, s33
	v_add_co_u32_e32 v96, vcc, s27, v96
	v_addc_co_u32_e32 v97, vcc, v95, v97, vcc
	global_load_dword v95, v[96:97], off
.LBB97_81:                              ;   in Loop: Header=BB97_34 Depth=1
	s_andn2_b64 vcc, exec, s[50:51]
	s_waitcnt vmcnt(0)
	ds_write_b32 v89, v95 offset:2968
	s_cbranch_vccnz .LBB97_33
.LBB97_82:                              ;   in Loop: Header=BB97_34 Depth=1
	ds_read_b32 v94, v88 offset:48
	s_waitcnt lgkmcnt(0)
	v_cmp_gt_i32_e32 vcc, 0, v94
	s_cbranch_vccz .LBB97_32
; %bb.83:                               ;   in Loop: Header=BB97_34 Depth=1
	v_mov_b32_e32 v94, 0
	s_branch .LBB97_33
.LBB97_84:                              ;   in Loop: Header=BB97_34 Depth=1
	v_mov_b32_e32 v95, 0
	s_andn2_b64 vcc, exec, s[50:51]
	ds_write_b32 v89, v95 offset:2968
	s_cbranch_vccnz .LBB97_33
	s_branch .LBB97_82
.LBB97_85:
	s_or_b64 exec, exec, s[18:19]
	v_readlane_b32 s40, v102, 6
	v_readlane_b32 s44, v102, 10
	;; [unrolled: 1-line block ×9, first 2 shown]
.LBB97_86:
	v_readlane_b32 s0, v102, 4
	v_readlane_b32 s1, v102, 5
	s_or_b64 exec, exec, s[0:1]
	v_mul_u32_u24_e32 v18, 0x808, v86
	s_movk_i32 s1, 0x100
	v_lshlrev_b32_e32 v19, 2, v85
	v_add3_u32 v18, s1, v18, v19
	v_and_b32_e32 v20, 0x3f0, v16
	v_add_u32_e32 v21, v18, v20
	s_barrier
	v_add_u32_e32 v19, 64, v18
	ds_write2_b32 v21, v8, v9 offset0:16 offset1:17
	v_or_b32_e32 v9, 12, v16
	v_add_u32_e32 v8, v19, v20
	v_and_b32_e32 v9, 0x3fc, v9
	ds_write_b32 v8, v10 offset:8
	v_add_u32_e32 v10, v18, v9
	ds_write_b32 v10, v11 offset:64
	ds_write2_b32 v8, v4, v5 offset0:16 offset1:17
	ds_write_b32 v8, v6 offset:72
	v_add_u32_e32 v4, v19, v9
	ds_write_b32 v4, v7 offset:64
	ds_write2_b32 v8, v0, v1 offset0:32 offset1:33
	ds_write_b32 v8, v2 offset:136
	ds_write_b32 v4, v3 offset:128
	ds_write2_b32 v8, v12, v13 offset0:48 offset1:49
	ds_write_b32 v8, v14 offset:200
	ds_write_b32 v4, v15 offset:192
	v_mov_b32_e32 v8, 0x100
	s_movk_i32 s0, 0x808
	v_lshl_add_u32 v9, v16, 2, v8
	v_mad_u32_u24 v0, v17, s0, v9
	s_waitcnt lgkmcnt(0)
	s_barrier
	ds_read2_b32 v[6:7], v0 offset0:16 offset1:80
	ds_read2_b32 v[2:3], v0 offset0:144 offset1:208
	v_add_u32_e32 v0, 64, v0
	ds_read2st64_b32 v[4:5], v0 offset0:4 offset1:5
	ds_read2st64_b32 v[0:1], v0 offset0:6 offset1:7
	v_cmp_gt_u32_e32 vcc, 13, v17
	v_mov_b32_e32 v10, -1
	s_and_saveexec_b64 s[4:5], vcc
	s_cbranch_execz .LBB97_88
; %bb.87:
	v_lshl_add_u32 v8, v17, 2, v8
	ds_read_b32 v10, v8
.LBB97_88:
	s_or_b64 exec, exec, s[4:5]
	s_mul_hi_i32 s1, s46, s8
	s_mul_i32 s0, s46, s8
	s_lshl_b64 s[0:1], s[0:1], 2
	v_readlane_b32 s4, v102, 2
	s_mul_hi_i32 s3, s50, s21
	s_mul_i32 s2, s50, s21
	v_readlane_b32 s5, v102, 3
	s_add_u32 s4, s4, s0
	s_addc_u32 s5, s5, s1
	s_lshl_b64 s[0:1], s[2:3], 2
	s_add_u32 s2, s4, s0
	s_waitcnt lgkmcnt(0)
	v_cmp_lt_i32_e32 vcc, -1, v10
	v_add_u32_e32 v8, s6, v16
	s_addc_u32 s3, s5, s1
	s_and_b64 s[4:5], vcc, s[40:41]
	s_and_saveexec_b64 s[0:1], s[4:5]
	s_cbranch_execz .LBB97_90
; %bb.89:
	v_add_f32_e32 v6, 0, v6
	v_add_f32_e32 v6, v6, v7
	;; [unrolled: 1-line block ×8, first 2 shown]
	v_mul_lo_u32 v0, v10, s26
	v_mul_lo_u32 v1, v17, s21
	v_add3_u32 v0, v8, v1, v0
	v_mov_b32_e32 v1, 0
	v_lshlrev_b64 v[0:1], 2, v[0:1]
	v_mov_b32_e32 v3, s3
	v_add_co_u32_e32 v0, vcc, s2, v0
	v_addc_co_u32_e32 v1, vcc, v3, v1, vcc
	global_store_dword v[0:1], v2, off
.LBB97_90:
	s_or_b64 exec, exec, s[0:1]
	v_cmp_gt_u32_e32 vcc, 5, v17
	s_and_saveexec_b64 s[0:1], vcc
	s_cbranch_execz .LBB97_93
; %bb.91:
	v_mov_b32_e32 v0, 0x100
	v_lshl_add_u32 v0, v17, 2, v0
	ds_read_b32 v0, v0 offset:32
	v_readlane_b32 s0, v102, 0
	v_readlane_b32 s1, v102, 1
	s_waitcnt lgkmcnt(0)
	v_cmp_lt_i32_e32 vcc, -1, v0
	s_and_b64 s[0:1], vcc, s[0:1]
	s_and_b64 exec, exec, s[0:1]
	s_cbranch_execz .LBB97_93
; %bb.92:
	v_mul_u32_u24_e32 v1, 0x808, v17
	v_add_u32_e32 v1, v1, v9
	v_add_u32_e32 v6, 0x80, v1
	ds_read2st64_b32 v[2:3], v6 offset0:64 offset1:65
	v_mul_lo_u32 v9, v0, s26
	ds_read2st64_b32 v[0:1], v6 offset0:66 offset1:67
	ds_read2st64_b32 v[4:5], v6 offset0:68 offset1:69
	ds_read2st64_b32 v[6:7], v6 offset0:70 offset1:71
	s_waitcnt lgkmcnt(3)
	v_add_f32_e32 v2, 0, v2
	v_add_f32_e32 v2, v2, v3
	s_waitcnt lgkmcnt(2)
	v_add_f32_e32 v0, v2, v0
	v_add_f32_e32 v0, v0, v1
	;; [unrolled: 3-line block ×4, first 2 shown]
	v_mul_lo_u32 v0, v84, s21
	v_add3_u32 v0, v8, v0, v9
	v_mov_b32_e32 v1, 0
	v_lshlrev_b64 v[0:1], 2, v[0:1]
	v_mov_b32_e32 v3, s3
	v_add_co_u32_e32 v0, vcc, s2, v0
	v_addc_co_u32_e32 v1, vcc, v3, v1, vcc
	global_store_dword v[0:1], v2, off
.LBB97_93:
	s_endpgm
	.section	.rodata,"a",@progbits
	.p2align	6, 0x0
	.amdhsa_kernel _ZL9mul_mat_fIfLi64ELi13ELi8ELb1EEvPKT_PKfPKiPfiiiiiiiiiiiiiiii
		.amdhsa_group_segment_fixed_size 256
		.amdhsa_private_segment_fixed_size 0
		.amdhsa_kernarg_size 352
		.amdhsa_user_sgpr_count 6
		.amdhsa_user_sgpr_private_segment_buffer 1
		.amdhsa_user_sgpr_dispatch_ptr 0
		.amdhsa_user_sgpr_queue_ptr 0
		.amdhsa_user_sgpr_kernarg_segment_ptr 1
		.amdhsa_user_sgpr_dispatch_id 0
		.amdhsa_user_sgpr_flat_scratch_init 0
		.amdhsa_user_sgpr_kernarg_preload_length 0
		.amdhsa_user_sgpr_kernarg_preload_offset 0
		.amdhsa_user_sgpr_private_segment_size 0
		.amdhsa_uses_dynamic_stack 0
		.amdhsa_system_sgpr_private_segment_wavefront_offset 0
		.amdhsa_system_sgpr_workgroup_id_x 1
		.amdhsa_system_sgpr_workgroup_id_y 1
		.amdhsa_system_sgpr_workgroup_id_z 1
		.amdhsa_system_sgpr_workgroup_info 0
		.amdhsa_system_vgpr_workitem_id 2
		.amdhsa_next_free_vgpr 103
		.amdhsa_next_free_sgpr 96
		.amdhsa_accum_offset 104
		.amdhsa_reserve_vcc 1
		.amdhsa_reserve_flat_scratch 0
		.amdhsa_float_round_mode_32 0
		.amdhsa_float_round_mode_16_64 0
		.amdhsa_float_denorm_mode_32 3
		.amdhsa_float_denorm_mode_16_64 3
		.amdhsa_dx10_clamp 1
		.amdhsa_ieee_mode 1
		.amdhsa_fp16_overflow 0
		.amdhsa_tg_split 0
		.amdhsa_exception_fp_ieee_invalid_op 0
		.amdhsa_exception_fp_denorm_src 0
		.amdhsa_exception_fp_ieee_div_zero 0
		.amdhsa_exception_fp_ieee_overflow 0
		.amdhsa_exception_fp_ieee_underflow 0
		.amdhsa_exception_fp_ieee_inexact 0
		.amdhsa_exception_int_div_zero 0
	.end_amdhsa_kernel
	.section	.text._ZL9mul_mat_fIfLi64ELi13ELi8ELb1EEvPKT_PKfPKiPfiiiiiiiiiiiiiiii,"axG",@progbits,_ZL9mul_mat_fIfLi64ELi13ELi8ELb1EEvPKT_PKfPKiPfiiiiiiiiiiiiiiii,comdat
.Lfunc_end97:
	.size	_ZL9mul_mat_fIfLi64ELi13ELi8ELb1EEvPKT_PKfPKiPfiiiiiiiiiiiiiiii, .Lfunc_end97-_ZL9mul_mat_fIfLi64ELi13ELi8ELb1EEvPKT_PKfPKiPfiiiiiiiiiiiiiiii
                                        ; -- End function
	.section	.AMDGPU.csdata,"",@progbits
; Kernel info:
; codeLenInByte = 8312
; NumSgprs: 100
; NumVgprs: 103
; NumAgprs: 0
; TotalNumVgprs: 103
; ScratchSize: 0
; MemoryBound: 0
; FloatMode: 240
; IeeeMode: 1
; LDSByteSize: 256 bytes/workgroup (compile time only)
; SGPRBlocks: 12
; VGPRBlocks: 12
; NumSGPRsForWavesPerEU: 100
; NumVGPRsForWavesPerEU: 103
; AccumOffset: 104
; Occupancy: 4
; WaveLimiterHint : 0
; COMPUTE_PGM_RSRC2:SCRATCH_EN: 0
; COMPUTE_PGM_RSRC2:USER_SGPR: 6
; COMPUTE_PGM_RSRC2:TRAP_HANDLER: 0
; COMPUTE_PGM_RSRC2:TGID_X_EN: 1
; COMPUTE_PGM_RSRC2:TGID_Y_EN: 1
; COMPUTE_PGM_RSRC2:TGID_Z_EN: 1
; COMPUTE_PGM_RSRC2:TIDIG_COMP_CNT: 2
; COMPUTE_PGM_RSRC3_GFX90A:ACCUM_OFFSET: 25
; COMPUTE_PGM_RSRC3_GFX90A:TG_SPLIT: 0
	.section	.text._ZL9mul_mat_fIfLi64ELi13ELi8ELb0EEvPKT_PKfPKiPfiiiiiiiiiiiiiiii,"axG",@progbits,_ZL9mul_mat_fIfLi64ELi13ELi8ELb0EEvPKT_PKfPKiPfiiiiiiiiiiiiiiii,comdat
	.globl	_ZL9mul_mat_fIfLi64ELi13ELi8ELb0EEvPKT_PKfPKiPfiiiiiiiiiiiiiiii ; -- Begin function _ZL9mul_mat_fIfLi64ELi13ELi8ELb0EEvPKT_PKfPKiPfiiiiiiiiiiiiiiii
	.p2align	8
	.type	_ZL9mul_mat_fIfLi64ELi13ELi8ELb0EEvPKT_PKfPKiPfiiiiiiiiiiiiiiii,@function
_ZL9mul_mat_fIfLi64ELi13ELi8ELb0EEvPKT_PKfPKiPfiiiiiiiiiiiiiiii: ; @_ZL9mul_mat_fIfLi64ELi13ELi8ELb0EEvPKT_PKfPKiPfiiiiiiiiiiiiiiii
; %bb.0:
	s_load_dwordx8 s[12:19], s[4:5], 0x40
	s_load_dword s9, s[4:5], 0x20
	s_load_dwordx4 s[0:3], s[4:5], 0x2c
	v_bfe_u32 v25, v0, 10, 10
	v_lshlrev_b32_e32 v91, 6, v25
	v_and_b32_e32 v90, 0x3ff, v0
	s_waitcnt lgkmcnt(0)
	s_abs_i32 s27, s12
	s_abs_i32 s26, s16
	v_cvt_f32_u32_e32 v1, s27
	v_cvt_f32_u32_e32 v2, s26
	v_add_u32_e32 v93, v91, v90
	s_mov_b32 s22, 0
	v_rcp_iflag_f32_e32 v1, v1
	v_rcp_iflag_f32_e32 v2, v2
	s_ashr_i32 s28, s8, 31
	v_cmp_le_i32_e32 vcc, s9, v93
	v_mul_f32_e32 v1, 0x4f7ffffe, v1
	v_mul_f32_e32 v2, 0x4f7ffffe, v2
	v_cvt_u32_f32_e32 v1, v1
	v_cvt_u32_f32_e32 v2, v2
	v_and_b32_e32 v92, 15, v90
	v_readfirstlane_b32 s21, v1
	v_readfirstlane_b32 s20, v2
	s_and_saveexec_b64 s[10:11], vcc
	s_xor_b64 s[10:11], exec, s[10:11]
; %bb.1:
	v_and_b32_e32 v92, 15, v90
                                        ; implicit-def: $vgpr93
; %bb.2:
	s_or_saveexec_b64 s[24:25], s[10:11]
	s_load_dwordx2 s[10:11], s[4:5], 0x18
	s_lshl_b32 s3, s6, 6
	v_mov_b32_e32 v3, s22
	v_mov_b32_e32 v2, s22
	v_mov_b32_e32 v1, s22
	v_mov_b32_e32 v0, s22
	v_mov_b32_e32 v15, s22
	v_mov_b32_e32 v14, s22
	v_mov_b32_e32 v13, s22
	v_mov_b32_e32 v12, s22
	v_mov_b32_e32 v11, s22
	v_mov_b32_e32 v10, s22
	v_mov_b32_e32 v9, s22
	v_mov_b32_e32 v8, s22
	v_mov_b32_e32 v7, s22
	v_mov_b32_e32 v6, s22
	v_mov_b32_e32 v5, s22
	v_mov_b32_e32 v4, s22
	s_xor_b64 exec, exec, s[24:25]
	s_cbranch_execz .LBB98_6
; %bb.3:
	s_sub_i32 s6, 0, s27
	s_sub_i32 s22, 0, s26
	s_mul_i32 s6, s6, s21
	s_mul_i32 s22, s22, s20
	s_mul_hi_u32 s6, s21, s6
	s_mul_hi_u32 s22, s20, s22
	s_abs_i32 s29, s7
	s_add_i32 s6, s21, s6
	s_add_i32 s31, s20, s22
	s_load_dwordx4 s[20:23], s[4:5], 0x0
	s_mul_hi_u32 s4, s29, s6
	s_ashr_i32 s6, s7, 31
	s_ashr_i32 s12, s12, 31
	s_xor_b32 s6, s6, s12
	s_mul_i32 s12, s4, s27
	s_abs_i32 s30, s8
	s_sub_i32 s12, s29, s12
	s_mul_hi_u32 s5, s30, s31
	s_ashr_i32 s16, s16, 31
	s_add_i32 s29, s4, 1
	s_sub_i32 s31, s12, s27
	s_cmp_ge_u32 s12, s27
	s_cselect_b32 s4, s29, s4
	s_cselect_b32 s12, s31, s12
	s_add_i32 s29, s4, 1
	s_cmp_ge_u32 s12, s27
	s_cselect_b32 s4, s29, s4
	s_mul_i32 s12, s5, s26
	s_xor_b32 s4, s4, s6
	s_sub_i32 s12, s30, s12
	s_sub_i32 s6, s4, s6
	s_xor_b32 s4, s28, s16
	s_add_i32 s16, s5, 1
	s_sub_i32 s27, s12, s26
	s_cmp_ge_u32 s12, s26
	s_cselect_b32 s5, s16, s5
	s_cselect_b32 s12, s27, s12
	s_add_i32 s16, s5, 1
	s_cmp_ge_u32 s12, s26
	s_cselect_b32 s5, s16, s5
	s_xor_b32 s5, s5, s4
	s_sub_i32 s4, s5, s4
	s_mul_i32 s12, s6, s13
	s_mul_i32 s16, s3, s0
	s_mul_hi_i32 s5, s4, s17
	s_mul_i32 s4, s4, s17
	s_ashr_i32 s13, s12, 31
	s_ashr_i32 s17, s16, 31
	s_lshl_b64 s[30:31], s[4:5], 2
	s_lshl_b64 s[4:5], s[16:17], 2
	;; [unrolled: 1-line block ×3, first 2 shown]
	s_waitcnt lgkmcnt(0)
	s_add_u32 s6, s20, s12
	s_addc_u32 s12, s21, s13
	s_add_u32 s6, s6, s4
	s_mul_i32 s28, s7, s14
	s_addc_u32 s14, s12, s5
	s_add_u32 s4, s6, s30
	s_mul_hi_i32 s27, s18, s8
	s_mul_i32 s26, s18, s8
	s_addc_u32 s73, s14, s31
	s_ashr_i32 s29, s28, 31
	s_lshl_b64 s[12:13], s[26:27], 2
	s_lshl_b64 s[16:17], s[28:29], 2
	s_add_u32 s18, s22, s16
	s_addc_u32 s22, s23, s17
	s_add_u32 s5, s18, s12
	s_movk_i32 s16, 0x1080
	v_lshrrev_b32_e32 v2, 1, v90
	s_addc_u32 s74, s22, s13
	v_mad_u32_u24 v0, v25, s16, 0
	v_lshlrev_b32_e32 v16, 2, v90
	v_mul_u32_u24_e32 v1, 0x108, v92
	v_and_b32_e32 v2, 0x1f8, v2
	s_ashr_i32 s17, s0, 31
	s_mov_b32 s16, s0
	v_add_u32_e32 v94, v0, v16
	v_add3_u32 v95, v0, v1, v2
	s_ashr_i32 s21, s1, 31
	v_lshlrev_b32_e32 v0, 8, v25
	s_lshl_b64 s[16:17], s[16:17], 2
	v_mov_b32_e32 v1, s31
	v_add_co_u32_e32 v2, vcc, s30, v0
	s_add_u32 s16, s6, s16
	v_addc_co_u32_e32 v1, vcc, 0, v1, vcc
	s_addc_u32 s17, s14, s17
	v_mov_b32_e32 v3, s17
	v_add_co_u32_e32 v18, vcc, s16, v2
	v_addc_co_u32_e32 v17, vcc, v3, v1, vcc
	v_mov_b32_e32 v3, s14
	v_add_co_u32_e32 v20, vcc, s6, v2
	s_mov_b32 s20, s1
	v_addc_co_u32_e32 v19, vcc, v3, v1, vcc
	v_mov_b32_e32 v1, s13
	v_add_co_u32_e32 v0, vcc, s12, v0
	s_lshl_b64 s[12:13], s[20:21], 2
	s_add_u32 s6, s18, s12
	v_addc_co_u32_e32 v1, vcc, 0, v1, vcc
	s_addc_u32 s12, s22, s13
	v_mov_b32_e32 v2, s12
	v_add_co_u32_e32 v22, vcc, s6, v0
	v_addc_co_u32_e32 v21, vcc, v2, v1, vcc
	v_mov_b32_e32 v96, 0
	v_mov_b32_e32 v2, s22
	v_add_co_u32_e32 v24, vcc, s18, v0
	v_addc_co_u32_e32 v23, vcc, v2, v1, vcc
	s_lshl_b32 s6, s1, 1
	s_mul_i32 s12, s1, 3
	s_lshl_b32 s13, s1, 2
	s_mul_i32 s14, s1, 5
	s_mul_i32 s16, s1, 6
	;; [unrolled: 1-line block ×3, first 2 shown]
	s_lshl_b32 s18, s1, 3
	s_mul_i32 s20, s1, 9
	s_mul_i32 s21, s1, 10
	;; [unrolled: 1-line block ×4, first 2 shown]
	s_lshl_b32 s26, s0, 1
	s_mul_i32 s27, s0, 3
	s_lshl_b32 s28, s0, 2
	s_mul_i32 s29, s0, 5
	s_mul_i32 s30, s0, 6
	;; [unrolled: 1-line block ×3, first 2 shown]
	s_lshl_b32 s33, s0, 3
	s_mul_i32 s34, s0, 9
	s_mul_i32 s35, s0, 10
	;; [unrolled: 1-line block ×7, first 2 shown]
	s_lshl_b32 s41, s0, 4
	s_mul_i32 s42, s0, 17
	s_mul_i32 s43, s0, 18
	;; [unrolled: 1-line block ×15, first 2 shown]
	s_lshl_b32 s57, s0, 5
	s_mul_i32 s58, s0, 33
	s_mul_i32 s59, s0, 34
	;; [unrolled: 1-line block ×15, first 2 shown]
	v_mov_b32_e32 v97, s73
	s_mul_i32 s73, s0, 48
	v_mov_b32_e32 v98, s74
	s_mul_i32 s74, s0, 49
	v_mov_b32_e32 v4, 0
	v_mov_b32_e32 v5, v96
	;; [unrolled: 1-line block ×16, first 2 shown]
	s_mul_i32 s75, s0, 50
	s_mul_i32 s76, s0, 51
	;; [unrolled: 1-line block ×14, first 2 shown]
	s_movk_i32 s89, 0x800
	s_mov_b64 s[0:1], 0
.LBB98_4:                               ; =>This Inner Loop Header: Depth=1
	v_add_co_u32_e32 v26, vcc, v20, v16
	v_addc_co_u32_e32 v27, vcc, 0, v19, vcc
	global_load_dword v26, v[26:27], off
	v_add_u32_e32 v42, s41, v93
	v_ashrrev_i32_e32 v43, 31, v42
	v_lshlrev_b64 v[42:43], 2, v[42:43]
	v_add_u32_e32 v58, s57, v93
	v_ashrrev_i32_e32 v59, 31, v58
	v_lshlrev_b64 v[58:59], 2, v[58:59]
	;; [unrolled: 3-line block ×3, first 2 shown]
	s_waitcnt vmcnt(0)
	ds_write_b32 v94, v26
	v_add_co_u32_e32 v26, vcc, v18, v16
	v_addc_co_u32_e32 v27, vcc, 0, v17, vcc
	global_load_dword v26, v[26:27], off
	s_waitcnt vmcnt(0)
	ds_write_b32 v94, v26 offset:264
	v_add_u32_e32 v26, s26, v93
	v_ashrrev_i32_e32 v27, 31, v26
	v_lshlrev_b64 v[26:27], 2, v[26:27]
	v_add_co_u32_e32 v26, vcc, s4, v26
	v_addc_co_u32_e32 v27, vcc, v97, v27, vcc
	global_load_dword v26, v[26:27], off
	s_waitcnt vmcnt(0)
	ds_write_b32 v94, v26 offset:528
	v_add_u32_e32 v26, s27, v93
	v_ashrrev_i32_e32 v27, 31, v26
	v_lshlrev_b64 v[26:27], 2, v[26:27]
	;; [unrolled: 8-line block ×14, first 2 shown]
	v_add_co_u32_e32 v26, vcc, s4, v26
	v_addc_co_u32_e32 v27, vcc, v97, v27, vcc
	global_load_dword v26, v[26:27], off
	v_add_co_u32_e32 v42, vcc, s4, v42
	v_addc_co_u32_e32 v43, vcc, v97, v43, vcc
	s_waitcnt vmcnt(0)
	ds_write_b32 v94, v26 offset:3960
	ds_read_b64 v[40:41], v95
	ds_read_b64 v[38:39], v95 offset:32
	ds_read_b64 v[36:37], v95 offset:64
	ds_read_b64 v[34:35], v95 offset:96
	ds_read_b64 v[32:33], v95 offset:128
	ds_read_b64 v[30:31], v95 offset:160
	ds_read_b64 v[28:29], v95 offset:192
	ds_read_b64 v[26:27], v95 offset:224
	global_load_dword v42, v[42:43], off
	s_waitcnt vmcnt(0)
	ds_write_b32 v94, v42
	v_add_u32_e32 v42, s42, v93
	v_ashrrev_i32_e32 v43, 31, v42
	v_lshlrev_b64 v[42:43], 2, v[42:43]
	v_add_co_u32_e32 v42, vcc, s4, v42
	v_addc_co_u32_e32 v43, vcc, v97, v43, vcc
	global_load_dword v42, v[42:43], off
	s_waitcnt vmcnt(0)
	ds_write_b32 v94, v42 offset:264
	v_add_u32_e32 v42, s43, v93
	v_ashrrev_i32_e32 v43, 31, v42
	v_lshlrev_b64 v[42:43], 2, v[42:43]
	v_add_co_u32_e32 v42, vcc, s4, v42
	v_addc_co_u32_e32 v43, vcc, v97, v43, vcc
	global_load_dword v42, v[42:43], off
	s_waitcnt vmcnt(0)
	ds_write_b32 v94, v42 offset:528
	;; [unrolled: 8-line block ×14, first 2 shown]
	v_add_u32_e32 v42, s56, v93
	v_ashrrev_i32_e32 v43, 31, v42
	v_lshlrev_b64 v[42:43], 2, v[42:43]
	v_add_co_u32_e32 v42, vcc, s4, v42
	v_addc_co_u32_e32 v43, vcc, v97, v43, vcc
	global_load_dword v42, v[42:43], off
	v_add_co_u32_e32 v58, vcc, s4, v58
	v_addc_co_u32_e32 v59, vcc, v97, v59, vcc
	s_waitcnt vmcnt(0)
	ds_write_b32 v94, v42 offset:3960
	ds_read_b64 v[56:57], v95
	ds_read_b64 v[54:55], v95 offset:32
	ds_read_b64 v[52:53], v95 offset:64
	;; [unrolled: 1-line block ×7, first 2 shown]
	global_load_dword v58, v[58:59], off
	s_waitcnt vmcnt(0)
	ds_write_b32 v94, v58
	v_add_u32_e32 v58, s58, v93
	v_ashrrev_i32_e32 v59, 31, v58
	v_lshlrev_b64 v[58:59], 2, v[58:59]
	v_add_co_u32_e32 v58, vcc, s4, v58
	v_addc_co_u32_e32 v59, vcc, v97, v59, vcc
	global_load_dword v58, v[58:59], off
	s_waitcnt vmcnt(0)
	ds_write_b32 v94, v58 offset:264
	v_add_u32_e32 v58, s59, v93
	v_ashrrev_i32_e32 v59, 31, v58
	v_lshlrev_b64 v[58:59], 2, v[58:59]
	v_add_co_u32_e32 v58, vcc, s4, v58
	v_addc_co_u32_e32 v59, vcc, v97, v59, vcc
	global_load_dword v58, v[58:59], off
	s_waitcnt vmcnt(0)
	ds_write_b32 v94, v58 offset:528
	v_add_u32_e32 v58, s60, v93
	v_ashrrev_i32_e32 v59, 31, v58
	v_lshlrev_b64 v[58:59], 2, v[58:59]
	v_add_co_u32_e32 v58, vcc, s4, v58
	v_addc_co_u32_e32 v59, vcc, v97, v59, vcc
	global_load_dword v58, v[58:59], off
	s_waitcnt vmcnt(0)
	ds_write_b32 v94, v58 offset:792
	v_add_u32_e32 v58, s61, v93
	v_ashrrev_i32_e32 v59, 31, v58
	v_lshlrev_b64 v[58:59], 2, v[58:59]
	v_add_co_u32_e32 v58, vcc, s4, v58
	v_addc_co_u32_e32 v59, vcc, v97, v59, vcc
	global_load_dword v58, v[58:59], off
	s_waitcnt vmcnt(0)
	ds_write_b32 v94, v58 offset:1056
	v_add_u32_e32 v58, s62, v93
	v_ashrrev_i32_e32 v59, 31, v58
	v_lshlrev_b64 v[58:59], 2, v[58:59]
	v_add_co_u32_e32 v58, vcc, s4, v58
	v_addc_co_u32_e32 v59, vcc, v97, v59, vcc
	global_load_dword v58, v[58:59], off
	s_waitcnt vmcnt(0)
	ds_write_b32 v94, v58 offset:1320
	v_add_u32_e32 v58, s63, v93
	v_ashrrev_i32_e32 v59, 31, v58
	v_lshlrev_b64 v[58:59], 2, v[58:59]
	v_add_co_u32_e32 v58, vcc, s4, v58
	v_addc_co_u32_e32 v59, vcc, v97, v59, vcc
	global_load_dword v58, v[58:59], off
	s_waitcnt vmcnt(0)
	ds_write_b32 v94, v58 offset:1584
	v_add_u32_e32 v58, s64, v93
	v_ashrrev_i32_e32 v59, 31, v58
	v_lshlrev_b64 v[58:59], 2, v[58:59]
	v_add_co_u32_e32 v58, vcc, s4, v58
	v_addc_co_u32_e32 v59, vcc, v97, v59, vcc
	global_load_dword v58, v[58:59], off
	s_waitcnt vmcnt(0)
	ds_write_b32 v94, v58 offset:1848
	v_add_u32_e32 v58, s65, v93
	v_ashrrev_i32_e32 v59, 31, v58
	v_lshlrev_b64 v[58:59], 2, v[58:59]
	v_add_co_u32_e32 v58, vcc, s4, v58
	v_addc_co_u32_e32 v59, vcc, v97, v59, vcc
	global_load_dword v58, v[58:59], off
	s_waitcnt vmcnt(0)
	ds_write_b32 v94, v58 offset:2112
	v_add_u32_e32 v58, s66, v93
	v_ashrrev_i32_e32 v59, 31, v58
	v_lshlrev_b64 v[58:59], 2, v[58:59]
	v_add_co_u32_e32 v58, vcc, s4, v58
	v_addc_co_u32_e32 v59, vcc, v97, v59, vcc
	global_load_dword v58, v[58:59], off
	s_waitcnt vmcnt(0)
	ds_write_b32 v94, v58 offset:2376
	v_add_u32_e32 v58, s67, v93
	v_ashrrev_i32_e32 v59, 31, v58
	v_lshlrev_b64 v[58:59], 2, v[58:59]
	v_add_co_u32_e32 v58, vcc, s4, v58
	v_addc_co_u32_e32 v59, vcc, v97, v59, vcc
	global_load_dword v58, v[58:59], off
	s_waitcnt vmcnt(0)
	ds_write_b32 v94, v58 offset:2640
	v_add_u32_e32 v58, s68, v93
	v_ashrrev_i32_e32 v59, 31, v58
	v_lshlrev_b64 v[58:59], 2, v[58:59]
	v_add_co_u32_e32 v58, vcc, s4, v58
	v_addc_co_u32_e32 v59, vcc, v97, v59, vcc
	global_load_dword v58, v[58:59], off
	s_waitcnt vmcnt(0)
	ds_write_b32 v94, v58 offset:2904
	v_add_u32_e32 v58, s69, v93
	v_ashrrev_i32_e32 v59, 31, v58
	v_lshlrev_b64 v[58:59], 2, v[58:59]
	v_add_co_u32_e32 v58, vcc, s4, v58
	v_addc_co_u32_e32 v59, vcc, v97, v59, vcc
	global_load_dword v58, v[58:59], off
	s_waitcnt vmcnt(0)
	ds_write_b32 v94, v58 offset:3168
	v_add_u32_e32 v58, s70, v93
	v_ashrrev_i32_e32 v59, 31, v58
	v_lshlrev_b64 v[58:59], 2, v[58:59]
	v_add_co_u32_e32 v58, vcc, s4, v58
	v_addc_co_u32_e32 v59, vcc, v97, v59, vcc
	global_load_dword v58, v[58:59], off
	s_waitcnt vmcnt(0)
	ds_write_b32 v94, v58 offset:3432
	v_add_u32_e32 v58, s71, v93
	v_ashrrev_i32_e32 v59, 31, v58
	v_lshlrev_b64 v[58:59], 2, v[58:59]
	v_add_co_u32_e32 v58, vcc, s4, v58
	v_addc_co_u32_e32 v59, vcc, v97, v59, vcc
	global_load_dword v58, v[58:59], off
	s_waitcnt vmcnt(0)
	ds_write_b32 v94, v58 offset:3696
	v_add_u32_e32 v58, s72, v93
	v_ashrrev_i32_e32 v59, 31, v58
	v_lshlrev_b64 v[58:59], 2, v[58:59]
	v_add_co_u32_e32 v58, vcc, s4, v58
	v_addc_co_u32_e32 v59, vcc, v97, v59, vcc
	global_load_dword v58, v[58:59], off
	v_add_co_u32_e32 v74, vcc, s4, v74
	v_addc_co_u32_e32 v75, vcc, v97, v75, vcc
	s_waitcnt vmcnt(0)
	ds_write_b32 v94, v58 offset:3960
	ds_read_b64 v[72:73], v95
	ds_read_b64 v[70:71], v95 offset:32
	ds_read_b64 v[68:69], v95 offset:64
	;; [unrolled: 1-line block ×7, first 2 shown]
	global_load_dword v74, v[74:75], off
	s_waitcnt vmcnt(0)
	ds_write_b32 v94, v74
	v_add_u32_e32 v74, s74, v93
	v_ashrrev_i32_e32 v75, 31, v74
	v_lshlrev_b64 v[74:75], 2, v[74:75]
	v_add_co_u32_e32 v74, vcc, s4, v74
	v_addc_co_u32_e32 v75, vcc, v97, v75, vcc
	global_load_dword v74, v[74:75], off
	s_waitcnt vmcnt(0)
	ds_write_b32 v94, v74 offset:264
	v_add_u32_e32 v74, s75, v93
	v_ashrrev_i32_e32 v75, 31, v74
	v_lshlrev_b64 v[74:75], 2, v[74:75]
	v_add_co_u32_e32 v74, vcc, s4, v74
	v_addc_co_u32_e32 v75, vcc, v97, v75, vcc
	global_load_dword v74, v[74:75], off
	s_waitcnt vmcnt(0)
	ds_write_b32 v94, v74 offset:528
	;; [unrolled: 8-line block ×14, first 2 shown]
	v_add_u32_e32 v74, s88, v93
	v_ashrrev_i32_e32 v75, 31, v74
	v_lshlrev_b64 v[74:75], 2, v[74:75]
	v_add_co_u32_e32 v74, vcc, s4, v74
	v_addc_co_u32_e32 v75, vcc, v97, v75, vcc
	global_load_dword v74, v[74:75], off
	v_add_co_u32_e32 v100, vcc, v24, v16
	v_addc_co_u32_e32 v101, vcc, 0, v23, vcc
	s_waitcnt vmcnt(0)
	ds_write_b32 v94, v74 offset:3960
	ds_read_b64 v[88:89], v95
	ds_read_b64 v[86:87], v95 offset:32
	ds_read_b64 v[84:85], v95 offset:64
	;; [unrolled: 1-line block ×7, first 2 shown]
	global_load_dword v99, v[100:101], off
	v_add_co_u32_e32 v100, vcc, v22, v16
	v_addc_co_u32_e32 v101, vcc, 0, v21, vcc
	s_waitcnt vmcnt(0)
	ds_write_b32 v94, v99
	global_load_dword v99, v[100:101], off
	v_add_u32_e32 v100, s6, v93
	v_ashrrev_i32_e32 v101, 31, v100
	v_lshlrev_b64 v[100:101], 2, v[100:101]
	v_add_co_u32_e32 v100, vcc, s5, v100
	v_addc_co_u32_e32 v101, vcc, v98, v101, vcc
	s_waitcnt vmcnt(0)
	ds_write_b32 v94, v99 offset:264
	global_load_dword v99, v[100:101], off
	v_add_u32_e32 v100, s12, v93
	v_ashrrev_i32_e32 v101, 31, v100
	v_lshlrev_b64 v[100:101], 2, v[100:101]
	v_add_co_u32_e32 v100, vcc, s5, v100
	v_addc_co_u32_e32 v101, vcc, v98, v101, vcc
	s_waitcnt vmcnt(0)
	ds_write_b32 v94, v99 offset:528
	;; [unrolled: 8-line block ×10, first 2 shown]
	global_load_dword v99, v[100:101], off
	v_add_u32_e32 v100, s23, v93
	v_ashrrev_i32_e32 v101, 31, v100
	v_lshlrev_b64 v[100:101], 2, v[100:101]
	v_add_co_u32_e32 v100, vcc, s5, v100
	v_addc_co_u32_e32 v101, vcc, v98, v101, vcc
	v_add_co_u32_e32 v18, vcc, s89, v18
	v_addc_co_u32_e32 v17, vcc, 0, v17, vcc
	;; [unrolled: 2-line block ×4, first 2 shown]
	v_add_co_u32_e32 v24, vcc, 0x800, v24
	v_add_u32_e32 v93, 0x200, v93
	v_addc_co_u32_e32 v23, vcc, 0, v23, vcc
	v_cmp_le_i32_e32 vcc, s9, v93
	s_or_b64 s[0:1], vcc, s[0:1]
	s_waitcnt vmcnt(0)
	ds_write_b32 v94, v99 offset:2904
	global_load_dword v99, v[100:101], off
	s_waitcnt vmcnt(0)
	ds_write_b32 v94, v99 offset:3168
	ds_write_b32 v94, v96 offset:3432
	;; [unrolled: 1-line block ×4, first 2 shown]
	ds_read_b64 v[100:101], v95
	ds_read_b64 v[102:103], v95 offset:32
	s_waitcnt lgkmcnt(1)
	v_mfma_f32_16x16x4f32 v[0:3], v40, v100, v[0:3]
	v_mfma_f32_16x16x4f32 v[12:15], v56, v100, v[12:15]
	;; [unrolled: 1-line block ×8, first 2 shown]
	s_waitcnt lgkmcnt(0)
	v_mfma_f32_16x16x4f32 v[0:3], v38, v102, v[0:3]
	v_mfma_f32_16x16x4f32 v[12:15], v54, v102, v[12:15]
	v_mfma_f32_16x16x4f32 v[8:11], v70, v102, v[8:11]
	v_mfma_f32_16x16x4f32 v[4:7], v86, v102, v[4:7]
	v_mfma_f32_16x16x4f32 v[0:3], v39, v103, v[0:3]
	ds_read_b64 v[38:39], v95 offset:64
	v_mfma_f32_16x16x4f32 v[12:15], v55, v103, v[12:15]
	v_mfma_f32_16x16x4f32 v[8:11], v71, v103, v[8:11]
	v_mfma_f32_16x16x4f32 v[4:7], v87, v103, v[4:7]
	s_waitcnt lgkmcnt(0)
	v_mfma_f32_16x16x4f32 v[0:3], v36, v38, v[0:3]
	v_mfma_f32_16x16x4f32 v[12:15], v52, v38, v[12:15]
	v_mfma_f32_16x16x4f32 v[8:11], v68, v38, v[8:11]
	v_mfma_f32_16x16x4f32 v[4:7], v84, v38, v[4:7]
	v_mfma_f32_16x16x4f32 v[0:3], v37, v39, v[0:3]
	ds_read_b64 v[36:37], v95 offset:96
	v_mfma_f32_16x16x4f32 v[12:15], v53, v39, v[12:15]
	v_mfma_f32_16x16x4f32 v[8:11], v69, v39, v[8:11]
	v_mfma_f32_16x16x4f32 v[4:7], v85, v39, v[4:7]
	;; [unrolled: 10-line block ×6, first 2 shown]
	s_waitcnt lgkmcnt(0)
	v_mfma_f32_16x16x4f32 v[0:3], v26, v28, v[0:3]
	v_mfma_f32_16x16x4f32 v[12:15], v42, v28, v[12:15]
	;; [unrolled: 1-line block ×8, first 2 shown]
	s_andn2_b64 exec, exec, s[0:1]
	s_cbranch_execnz .LBB98_4
; %bb.5:
	s_or_b64 exec, exec, s[0:1]
.LBB98_6:
	s_or_b64 exec, exec, s[24:25]
	v_mul_u32_u24_e32 v16, 0x808, v92
	v_lshlrev_b32_e32 v17, 2, v91
	s_mul_hi_i32 s1, s19, s8
	s_mul_i32 s0, s19, s8
	v_add3_u32 v16, 0, v16, v17
	v_and_b32_e32 v17, 0x3f0, v90
	s_lshl_b64 s[0:1], s[0:1], 2
	v_add_u32_e32 v17, v16, v17
	s_mul_i32 s4, s7, s15
	s_waitcnt lgkmcnt(0)
	s_add_u32 s6, s10, s0
	s_barrier
	ds_write2_b32 v17, v0, v1 offset1:1
	ds_write_b32 v17, v2 offset:8
	v_or_b32_e32 v0, 12, v90
	s_addc_u32 s7, s11, s1
	s_ashr_i32 s5, s4, 31
	v_and_b32_e32 v0, 0x3fc, v0
	s_lshl_b64 s[0:1], s[4:5], 2
	s_movk_i32 s4, 0x808
	v_add_u32_e32 v0, v16, v0
	v_lshl_add_u32 v1, v90, 2, 0
	ds_write_b32 v0, v3
	ds_write2_b32 v17, v12, v13 offset0:16 offset1:17
	ds_write_b32 v17, v14 offset:72
	ds_write_b32 v0, v15 offset:64
	ds_write2_b32 v17, v8, v9 offset0:32 offset1:33
	ds_write_b32 v17, v10 offset:136
	ds_write_b32 v0, v11 offset:128
	;; [unrolled: 3-line block ×3, first 2 shown]
	v_mad_u32_u24 v8, v25, s4, v1
	s_waitcnt lgkmcnt(0)
	s_barrier
	ds_read2st64_b32 v[2:3], v8 offset1:1
	ds_read2st64_b32 v[4:5], v8 offset0:2 offset1:3
	ds_read2st64_b32 v[6:7], v8 offset0:4 offset1:5
	;; [unrolled: 1-line block ×3, first 2 shown]
	s_add_u32 s0, s6, s0
	v_add_u32_e32 v0, s3, v90
	s_addc_u32 s1, s7, s1
	s_waitcnt lgkmcnt(3)
	v_add_f32_e32 v2, 0, v2
	v_add_f32_e32 v2, v2, v3
	s_waitcnt lgkmcnt(2)
	v_add_f32_e32 v2, v2, v4
	v_add_f32_e32 v2, v2, v5
	;; [unrolled: 3-line block ×4, first 2 shown]
	v_mad_u64_u32 v[2:3], s[6:7], v25, s2, v[0:1]
	v_mov_b32_e32 v3, 0
	v_lshlrev_b64 v[4:5], 2, v[2:3]
	v_mov_b32_e32 v2, s1
	v_add_co_u32_e32 v4, vcc, s0, v4
	v_addc_co_u32_e32 v5, vcc, v2, v5, vcc
	v_cmp_gt_u32_e32 vcc, 5, v25
	global_store_dword v[4:5], v6, off
	s_and_saveexec_b64 s[6:7], vcc
	s_cbranch_execz .LBB98_8
; %bb.7:
	v_or_b32_e32 v2, 8, v25
	v_mad_u32_u24 v1, v2, s4, v1
	ds_read2st64_b32 v[4:5], v1 offset1:1
	ds_read2st64_b32 v[6:7], v1 offset0:2 offset1:3
	ds_read2st64_b32 v[8:9], v1 offset0:4 offset1:5
	;; [unrolled: 1-line block ×3, first 2 shown]
	s_waitcnt lgkmcnt(3)
	v_add_f32_e32 v1, 0, v4
	v_add_f32_e32 v1, v1, v5
	s_waitcnt lgkmcnt(2)
	v_add_f32_e32 v1, v1, v6
	v_add_f32_e32 v1, v1, v7
	;; [unrolled: 3-line block ×4, first 2 shown]
	v_mad_u64_u32 v[0:1], s[2:3], v2, s2, v[0:1]
	v_mov_b32_e32 v1, v3
	v_lshlrev_b64 v[0:1], 2, v[0:1]
	v_mov_b32_e32 v2, s1
	v_add_co_u32_e32 v0, vcc, s0, v0
	v_addc_co_u32_e32 v1, vcc, v2, v1, vcc
	global_store_dword v[0:1], v4, off
.LBB98_8:
	s_endpgm
	.section	.rodata,"a",@progbits
	.p2align	6, 0x0
	.amdhsa_kernel _ZL9mul_mat_fIfLi64ELi13ELi8ELb0EEvPKT_PKfPKiPfiiiiiiiiiiiiiiii
		.amdhsa_group_segment_fixed_size 0
		.amdhsa_private_segment_fixed_size 0
		.amdhsa_kernarg_size 96
		.amdhsa_user_sgpr_count 6
		.amdhsa_user_sgpr_private_segment_buffer 1
		.amdhsa_user_sgpr_dispatch_ptr 0
		.amdhsa_user_sgpr_queue_ptr 0
		.amdhsa_user_sgpr_kernarg_segment_ptr 1
		.amdhsa_user_sgpr_dispatch_id 0
		.amdhsa_user_sgpr_flat_scratch_init 0
		.amdhsa_user_sgpr_kernarg_preload_length 0
		.amdhsa_user_sgpr_kernarg_preload_offset 0
		.amdhsa_user_sgpr_private_segment_size 0
		.amdhsa_uses_dynamic_stack 0
		.amdhsa_system_sgpr_private_segment_wavefront_offset 0
		.amdhsa_system_sgpr_workgroup_id_x 1
		.amdhsa_system_sgpr_workgroup_id_y 1
		.amdhsa_system_sgpr_workgroup_id_z 1
		.amdhsa_system_sgpr_workgroup_info 0
		.amdhsa_system_vgpr_workitem_id 1
		.amdhsa_next_free_vgpr 104
		.amdhsa_next_free_sgpr 90
		.amdhsa_accum_offset 104
		.amdhsa_reserve_vcc 1
		.amdhsa_reserve_flat_scratch 0
		.amdhsa_float_round_mode_32 0
		.amdhsa_float_round_mode_16_64 0
		.amdhsa_float_denorm_mode_32 3
		.amdhsa_float_denorm_mode_16_64 3
		.amdhsa_dx10_clamp 1
		.amdhsa_ieee_mode 1
		.amdhsa_fp16_overflow 0
		.amdhsa_tg_split 0
		.amdhsa_exception_fp_ieee_invalid_op 0
		.amdhsa_exception_fp_denorm_src 0
		.amdhsa_exception_fp_ieee_div_zero 0
		.amdhsa_exception_fp_ieee_overflow 0
		.amdhsa_exception_fp_ieee_underflow 0
		.amdhsa_exception_fp_ieee_inexact 0
		.amdhsa_exception_int_div_zero 0
	.end_amdhsa_kernel
	.section	.text._ZL9mul_mat_fIfLi64ELi13ELi8ELb0EEvPKT_PKfPKiPfiiiiiiiiiiiiiiii,"axG",@progbits,_ZL9mul_mat_fIfLi64ELi13ELi8ELb0EEvPKT_PKfPKiPfiiiiiiiiiiiiiiii,comdat
.Lfunc_end98:
	.size	_ZL9mul_mat_fIfLi64ELi13ELi8ELb0EEvPKT_PKfPKiPfiiiiiiiiiiiiiiii, .Lfunc_end98-_ZL9mul_mat_fIfLi64ELi13ELi8ELb0EEvPKT_PKfPKiPfiiiiiiiiiiiiiiii
                                        ; -- End function
	.section	.AMDGPU.csdata,"",@progbits
; Kernel info:
; codeLenInByte = 5820
; NumSgprs: 94
; NumVgprs: 104
; NumAgprs: 0
; TotalNumVgprs: 104
; ScratchSize: 0
; MemoryBound: 0
; FloatMode: 240
; IeeeMode: 1
; LDSByteSize: 0 bytes/workgroup (compile time only)
; SGPRBlocks: 11
; VGPRBlocks: 12
; NumSGPRsForWavesPerEU: 94
; NumVGPRsForWavesPerEU: 104
; AccumOffset: 104
; Occupancy: 4
; WaveLimiterHint : 0
; COMPUTE_PGM_RSRC2:SCRATCH_EN: 0
; COMPUTE_PGM_RSRC2:USER_SGPR: 6
; COMPUTE_PGM_RSRC2:TRAP_HANDLER: 0
; COMPUTE_PGM_RSRC2:TGID_X_EN: 1
; COMPUTE_PGM_RSRC2:TGID_Y_EN: 1
; COMPUTE_PGM_RSRC2:TGID_Z_EN: 1
; COMPUTE_PGM_RSRC2:TIDIG_COMP_CNT: 1
; COMPUTE_PGM_RSRC3_GFX90A:ACCUM_OFFSET: 25
; COMPUTE_PGM_RSRC3_GFX90A:TG_SPLIT: 0
	.section	.text._ZL13mul_mat_f_idsI7__half2Li64ELi13ELi1EEvPKT_PKfPKiS7_S7_Pfiiiiiiiiiiiiii15HIP_vector_typeIjLj3EESA_,"axG",@progbits,_ZL13mul_mat_f_idsI7__half2Li64ELi13ELi1EEvPKT_PKfPKiS7_S7_Pfiiiiiiiiiiiiii15HIP_vector_typeIjLj3EESA_,comdat
	.globl	_ZL13mul_mat_f_idsI7__half2Li64ELi13ELi1EEvPKT_PKfPKiS7_S7_Pfiiiiiiiiiiiiii15HIP_vector_typeIjLj3EESA_ ; -- Begin function _ZL13mul_mat_f_idsI7__half2Li64ELi13ELi1EEvPKT_PKfPKiS7_S7_Pfiiiiiiiiiiiiii15HIP_vector_typeIjLj3EESA_
	.p2align	8
	.type	_ZL13mul_mat_f_idsI7__half2Li64ELi13ELi1EEvPKT_PKfPKiS7_S7_Pfiiiiiiiiiiiiii15HIP_vector_typeIjLj3EESA_,@function
_ZL13mul_mat_f_idsI7__half2Li64ELi13ELi1EEvPKT_PKfPKiS7_S7_Pfiiiiiiiiiiiiii15HIP_vector_typeIjLj3EESA_: ; @_ZL13mul_mat_f_idsI7__half2Li64ELi13ELi1EEvPKT_PKfPKiS7_S7_Pfiiiiiiiiiiiiii15HIP_vector_typeIjLj3EESA_
; %bb.0:
	s_load_dwordx2 s[0:1], s[4:5], 0x20
	s_mov_b32 s34, s7
	s_ashr_i32 s35, s7, 31
	s_lshl_b64 s[2:3], s[34:35], 2
	s_waitcnt lgkmcnt(0)
	s_add_u32 s0, s0, s2
	s_addc_u32 s1, s1, s3
	s_load_dwordx2 s[26:27], s[0:1], 0x0
	s_waitcnt lgkmcnt(0)
	s_sub_i32 s33, s27, s26
	s_add_i32 s0, s33, 12
	s_mul_hi_i32 s0, s0, 0x4ec4ec4f
	s_lshr_b32 s1, s0, 31
	s_ashr_i32 s0, s0, 2
	s_add_i32 s0, s0, s1
	s_cmp_ge_i32 s8, s0
	s_cbranch_scc1 .LBB99_85
; %bb.1:
	v_bfe_u32 v92, v0, 10, 10
	v_lshlrev_b32_e32 v94, 6, v92
	v_and_b32_e32 v93, 0x3ff, v0
	s_load_dwordx4 s[12:15], s[4:5], 0x30
	s_load_dwordx2 s[20:21], s[4:5], 0x40
	s_load_dwordx4 s[0:3], s[4:5], 0x4c
	s_load_dwordx4 s[16:19], s[4:5], 0x68
	s_load_dwordx2 s[24:25], s[4:5], 0x78
	v_or_b32_e32 v96, v94, v93
	s_ashr_i32 s27, s26, 31
	s_waitcnt lgkmcnt(0)
	v_cmp_le_i32_e32 vcc, s12, v96
	v_and_b32_e32 v0, 15, v93
                                        ; implicit-def: $sgpr3
                                        ; implicit-def: $vgpr95
	s_and_saveexec_b64 s[10:11], vcc
	s_xor_b64 s[10:11], exec, s[10:11]
; %bb.2:
	v_mul_u32_u24_e32 v95, 0x108, v0
	s_mov_b32 s3, 0
                                        ; implicit-def: $vgpr96
                                        ; implicit-def: $vgpr0
; %bb.3:
	s_or_saveexec_b64 s[22:23], s[10:11]
	s_load_dwordx2 s[10:11], s[4:5], 0x18
                                        ; implicit-def: $vgpr103 : SGPR spill to VGPR lane
	s_lshl_b32 s7, s6, 6
	s_mul_i32 s6, s8, 13
	v_accvgpr_write_b32 a0, s3
	v_accvgpr_write_b32 a1, s3
	s_waitcnt lgkmcnt(0)
	v_writelane_b32 v103, s10, 0
	v_writelane_b32 v103, s11, 1
	s_load_dwordx2 s[10:11], s[4:5], 0x28
	v_accvgpr_write_b32 a2, s3
	v_accvgpr_write_b32 a3, s3
	;; [unrolled: 1-line block ×4, first 2 shown]
	s_waitcnt lgkmcnt(0)
	v_writelane_b32 v103, s10, 2
	v_writelane_b32 v103, s11, 3
	v_accvgpr_write_b32 a6, s3
	v_accvgpr_write_b32 a7, s3
	v_accvgpr_write_b32 a8, s3
	v_accvgpr_write_b32 a9, s3
	v_accvgpr_write_b32 a10, s3
	v_accvgpr_write_b32 a11, s3
	v_accvgpr_write_b32 a12, s3
	v_accvgpr_write_b32 a13, s3
	v_accvgpr_write_b32 a14, s3
	v_accvgpr_write_b32 a15, s3
	v_writelane_b32 v103, s22, 4
	v_writelane_b32 v103, s23, 5
	s_xor_b64 exec, exec, s[22:23]
	s_cbranch_execz .LBB99_46
; %bb.4:
	v_writelane_b32 v103, s24, 6
	v_writelane_b32 v103, s25, 7
	s_load_dwordx4 s[8:11], s[4:5], 0x0
	s_load_dwordx2 s[22:23], s[4:5], 0x10
	s_mul_i32 s4, s34, s0
	s_mul_i32 s24, s7, s15
	s_ashr_i32 s5, s4, 31
	s_ashr_i32 s25, s24, 31
	s_lshl_b64 s[24:25], s[24:25], 2
	s_lshl_b64 s[4:5], s[4:5], 2
	s_add_u32 s3, s4, s24
	s_addc_u32 s24, s5, s25
	v_writelane_b32 v103, s7, 8
	s_waitcnt lgkmcnt(0)
	s_add_u32 s0, s3, s8
	s_addc_u32 s25, s24, s9
	v_writelane_b32 v103, s26, 9
	s_lshl_b64 s[4:5], s[26:27], 2
	v_writelane_b32 v103, s27, 10
	s_add_u32 s26, s22, s4
	s_addc_u32 s27, s23, s5
	s_movk_i32 s4, 0x1080
	s_cmp_lt_i32 s6, s33
	v_mad_u32_u24 v1, v92, s4, 0
	s_cselect_b64 s[4:5], -1, 0
	s_ashr_i32 s7, s6, 31
	s_lshl_b64 s[22:23], s[6:7], 2
	s_add_u32 s34, s26, s22
	s_addc_u32 s35, s27, s23
	s_add_i32 s7, s6, 1
	s_cmp_lt_i32 s7, s33
	s_cselect_b64 s[36:37], -1, 0
	s_add_i32 s7, s6, 2
	s_cmp_lt_i32 s7, s33
	s_cselect_b64 s[38:39], -1, 0
	;; [unrolled: 3-line block ×3, first 2 shown]
	s_add_i32 s7, s6, 4
	s_cmp_lt_i32 s7, s33
	v_mul_u32_u24_e32 v95, 0x108, v0
	v_lshrrev_b32_e32 v0, 1, v93
	s_cselect_b64 s[42:43], -1, 0
	s_add_i32 s7, s6, 5
	v_and_b32_e32 v0, 0x1f8, v0
	s_cmp_lt_i32 s7, s33
	v_add3_u32 v98, v1, v95, v0
	s_cselect_b64 s[44:45], -1, 0
	s_add_i32 s7, s6, 6
	v_lshlrev_b32_e32 v0, 8, v92
	s_cmp_lt_i32 s7, s33
	v_add_co_u32_e32 v0, vcc, s3, v0
	s_mul_i32 s3, s15, 3
	s_cselect_b64 s[46:47], -1, 0
	s_add_i32 s7, s6, 7
	v_writelane_b32 v103, s3, 11
	s_mul_i32 s3, s15, 5
	s_cmp_lt_i32 s7, s33
	v_writelane_b32 v103, s3, 12
	s_mul_i32 s3, s15, 6
	s_cselect_b64 s[48:49], -1, 0
	s_add_i32 s7, s6, 8
	v_writelane_b32 v103, s3, 13
	s_mul_i32 s3, s15, 7
	s_cmp_lt_i32 s7, s33
	v_writelane_b32 v103, s3, 14
	;; [unrolled: 7-line block ×4, first 2 shown]
	s_mul_i32 s3, s15, 13
	v_lshlrev_b32_e32 v2, 2, v93
	s_cselect_b64 s[54:55], -1, 0
	s_add_i32 s7, s6, 11
	v_writelane_b32 v103, s3, 19
	s_mul_i32 s3, s15, 14
	v_add_u32_e32 v97, v1, v2
	s_cmp_lt_i32 s7, s33
	v_mov_b32_e32 v1, s24
	v_writelane_b32 v103, s3, 20
	s_mul_i32 s3, s15, 15
	s_cselect_b64 s[56:57], -1, 0
	s_add_i32 s7, s6, 12
	v_addc_co_u32_e32 v1, vcc, 0, v1, vcc
	v_writelane_b32 v103, s3, 21
	s_mul_i32 s3, s15, 17
	s_cmp_lt_i32 s7, s33
	v_add_co_u32_e32 v0, vcc, v0, v2
	v_writelane_b32 v103, s3, 22
	s_mul_i32 s3, s15, 18
	s_cselect_b64 s[58:59], -1, 0
	s_ashr_i32 s23, s15, 31
	s_mov_b32 s22, s15
	v_addc_co_u32_e32 v1, vcc, 0, v1, vcc
	v_writelane_b32 v103, s3, 23
	s_mul_i32 s3, s15, 19
	s_lshl_b64 s[60:61], s[22:23], 2
	v_mov_b32_e32 v2, s9
	v_add_co_u32_e32 v0, vcc, s8, v0
	v_writelane_b32 v103, s3, 24
	s_mul_i32 s3, s15, 20
	v_addc_co_u32_e32 v1, vcc, v2, v1, vcc
	s_lshl_b32 s7, s15, 1
	s_lshl_b32 s63, s15, 2
	;; [unrolled: 1-line block ×4, first 2 shown]
	v_writelane_b32 v103, s3, 25
	s_mul_i32 s80, s15, 21
	s_mul_i32 s81, s15, 22
	;; [unrolled: 1-line block ×9, first 2 shown]
	v_mov_b32_e32 v99, s25
	s_mul_i32 s89, s15, 30
	v_mov_b32_e32 v100, 0
	v_accvgpr_write_b32 a15, 0
	v_accvgpr_write_b32 a14, 0
	;; [unrolled: 1-line block ×16, first 2 shown]
	v_mov_b32_e32 v101, s61
	s_mul_i32 s61, s15, 31
	s_lshl_b32 s90, s15, 5
	s_mul_i32 s91, s15, 33
	s_mul_i32 s92, s15, 34
	;; [unrolled: 1-line block ×31, first 2 shown]
	s_mov_b64 s[8:9], 0
	s_branch .LBB99_6
.LBB99_5:                               ;   in Loop: Header=BB99_6 Depth=1
	s_waitcnt vmcnt(0)
	v_cvt_f16_f32_e32 v66, v66
	v_cvt_f16_f32_e32 v67, v67
	;; [unrolled: 1-line block ×4, first 2 shown]
	v_add_co_u32_e32 v0, vcc, 0x100, v0
	v_pack_b32_f16 v66, v66, v67
	v_cvt_f16_f32_e32 v67, v68
	v_cvt_f16_f32_e32 v68, v69
	;; [unrolled: 1-line block ×4, first 2 shown]
	v_pack_b32_f16 v70, v70, v71
	ds_write2_b32 v97, v66, v70 offset1:66
	v_pack_b32_f16 v66, v67, v68
	v_pack_b32_f16 v67, v69, v74
	v_cvt_f16_f32_e32 v68, v72
	v_cvt_f16_f32_e32 v69, v73
	ds_write2_b32 v97, v66, v67 offset0:132 offset1:198
	v_cvt_f16_f32_e32 v66, v78
	v_cvt_f16_f32_e32 v67, v79
	v_pack_b32_f16 v68, v68, v69
	v_cvt_f16_f32_e32 v69, v76
	v_cvt_f16_f32_e32 v70, v77
	v_pack_b32_f16 v66, v66, v67
	v_add_u32_e32 v67, 0x400, v97
	ds_write2_b32 v67, v68, v66 offset0:8 offset1:74
	v_pack_b32_f16 v66, v69, v70
	v_cvt_f16_f32_e32 v68, v82
	v_cvt_f16_f32_e32 v69, v83
	;; [unrolled: 1-line block ×6, first 2 shown]
	v_pack_b32_f16 v68, v68, v69
	ds_write2_b32 v67, v66, v68 offset0:140 offset1:206
	v_pack_b32_f16 v66, v70, v71
	v_pack_b32_f16 v67, v72, v73
	v_add_u32_e32 v68, 0x800, v97
	ds_write2_b32 v68, v66, v67 offset0:16 offset1:82
	v_cvt_f16_f32_e32 v66, v84
	v_cvt_f16_f32_e32 v67, v85
	;; [unrolled: 1-line block ×6, first 2 shown]
	v_pack_b32_f16 v66, v66, v67
	v_pack_b32_f16 v67, v69, v70
	ds_write2_b32 v68, v66, v67 offset0:148 offset1:214
	v_pack_b32_f16 v66, v71, v72
	v_add_u32_e32 v67, 0xc00, v97
	ds_write2_b32 v67, v66, v100 offset0:24 offset1:90
	ds_write2_b32 v67, v100, v100 offset0:156 offset1:222
	ds_read2_b64 v[66:69], v98 offset1:4
	s_waitcnt lgkmcnt(0)
	v_mfma_f32_16x16x16f16 a[0:3], v[16:17], v[66:67], a[0:3]
	v_add_u32_e32 v96, 64, v96
	v_addc_co_u32_e32 v1, vcc, 0, v1, vcc
	v_cmp_le_i32_e32 vcc, s12, v96
	s_or_b64 s[8:9], vcc, s[8:9]
	v_mfma_f32_16x16x16f16 a[4:7], v[34:35], v[66:67], a[4:7]
	v_mfma_f32_16x16x16f16 a[8:11], v[48:49], v[66:67], a[8:11]
	;; [unrolled: 1-line block ×4, first 2 shown]
	ds_read2_b64 v[14:17], v98 offset0:8 offset1:12
	v_mfma_f32_16x16x16f16 a[4:7], v[30:31], v[68:69], a[4:7]
	v_mfma_f32_16x16x16f16 a[8:11], v[46:47], v[68:69], a[8:11]
	;; [unrolled: 1-line block ×3, first 2 shown]
	s_waitcnt lgkmcnt(0)
	v_mfma_f32_16x16x16f16 a[0:3], v[10:11], v[14:15], a[0:3]
	v_mfma_f32_16x16x16f16 a[4:7], v[28:29], v[14:15], a[4:7]
	v_mfma_f32_16x16x16f16 a[8:11], v[44:45], v[14:15], a[8:11]
	v_mfma_f32_16x16x16f16 a[12:15], v[58:59], v[14:15], a[12:15]
	v_mfma_f32_16x16x16f16 a[0:3], v[6:7], v[16:17], a[0:3]
	v_mfma_f32_16x16x16f16 a[4:7], v[26:27], v[16:17], a[4:7]
	v_mfma_f32_16x16x16f16 a[8:11], v[42:43], v[16:17], a[8:11]
	v_mfma_f32_16x16x16f16 a[12:15], v[54:55], v[16:17], a[12:15]
	ds_read2_b64 v[14:17], v98 offset0:16 offset1:20
	s_waitcnt lgkmcnt(0)
	v_mfma_f32_16x16x16f16 a[0:3], v[12:13], v[14:15], a[0:3]
	v_mfma_f32_16x16x16f16 a[4:7], v[24:25], v[14:15], a[4:7]
	v_mfma_f32_16x16x16f16 a[8:11], v[40:41], v[14:15], a[8:11]
	v_mfma_f32_16x16x16f16 a[12:15], v[60:61], v[14:15], a[12:15]
	v_mfma_f32_16x16x16f16 a[0:3], v[8:9], v[16:17], a[0:3]
	ds_read2_b64 v[6:9], v98 offset0:24 offset1:28
	v_mfma_f32_16x16x16f16 a[4:7], v[22:23], v[16:17], a[4:7]
	v_mfma_f32_16x16x16f16 a[8:11], v[38:39], v[16:17], a[8:11]
	;; [unrolled: 1-line block ×3, first 2 shown]
	s_waitcnt lgkmcnt(0)
	v_mfma_f32_16x16x16f16 a[0:3], v[4:5], v[6:7], a[0:3]
	v_mfma_f32_16x16x16f16 a[4:7], v[20:21], v[6:7], a[4:7]
	;; [unrolled: 1-line block ×8, first 2 shown]
	s_andn2_b64 exec, exec, s[8:9]
	s_cbranch_execz .LBB99_45
.LBB99_6:                               ; =>This Inner Loop Header: Depth=1
	v_add_co_u32_e32 v2, vcc, s60, v0
	v_addc_co_u32_e32 v3, vcc, v1, v101, vcc
	global_load_dword v18, v[0:1], off
	global_load_dword v19, v[2:3], off
	v_add_u32_e32 v2, s7, v96
	v_ashrrev_i32_e32 v3, 31, v2
	v_readlane_b32 s79, v103, 11
	v_lshlrev_b64 v[2:3], 2, v[2:3]
	v_add_u32_e32 v4, s79, v96
	v_add_co_u32_e32 v2, vcc, s0, v2
	v_ashrrev_i32_e32 v5, 31, v4
	v_addc_co_u32_e32 v3, vcc, v99, v3, vcc
	v_lshlrev_b64 v[4:5], 2, v[4:5]
	v_add_u32_e32 v6, s63, v96
	v_add_co_u32_e32 v4, vcc, s0, v4
	v_ashrrev_i32_e32 v7, 31, v6
	v_readlane_b32 s79, v103, 12
	v_addc_co_u32_e32 v5, vcc, v99, v5, vcc
	v_lshlrev_b64 v[6:7], 2, v[6:7]
	v_add_u32_e32 v8, s79, v96
	v_add_co_u32_e32 v6, vcc, s0, v6
	v_ashrrev_i32_e32 v9, 31, v8
	v_readlane_b32 s79, v103, 13
	v_addc_co_u32_e32 v7, vcc, v99, v7, vcc
	v_lshlrev_b64 v[8:9], 2, v[8:9]
	v_add_u32_e32 v10, s79, v96
	v_add_co_u32_e32 v8, vcc, s0, v8
	v_ashrrev_i32_e32 v11, 31, v10
	v_readlane_b32 s79, v103, 14
	v_addc_co_u32_e32 v9, vcc, v99, v9, vcc
	v_lshlrev_b64 v[10:11], 2, v[10:11]
	v_add_u32_e32 v12, s79, v96
	v_add_co_u32_e32 v10, vcc, s0, v10
	v_ashrrev_i32_e32 v13, 31, v12
	v_addc_co_u32_e32 v11, vcc, v99, v11, vcc
	v_lshlrev_b64 v[12:13], 2, v[12:13]
	v_add_u32_e32 v14, s67, v96
	v_add_co_u32_e32 v12, vcc, s0, v12
	v_ashrrev_i32_e32 v15, 31, v14
	v_readlane_b32 s79, v103, 15
	v_addc_co_u32_e32 v13, vcc, v99, v13, vcc
	v_lshlrev_b64 v[14:15], 2, v[14:15]
	v_add_u32_e32 v16, s79, v96
	v_add_co_u32_e32 v14, vcc, s0, v14
	v_ashrrev_i32_e32 v17, 31, v16
	v_addc_co_u32_e32 v15, vcc, v99, v15, vcc
	v_lshlrev_b64 v[16:17], 2, v[16:17]
	v_add_co_u32_e32 v16, vcc, s0, v16
	v_readlane_b32 s79, v103, 16
	v_addc_co_u32_e32 v17, vcc, v99, v17, vcc
	global_load_dword v20, v[2:3], off
	global_load_dword v21, v[4:5], off
	;; [unrolled: 1-line block ×6, first 2 shown]
	s_nop 0
	global_load_dword v14, v[14:15], off
	s_nop 0
	global_load_dword v15, v[16:17], off
	v_add_u32_e32 v2, s79, v96
	v_ashrrev_i32_e32 v3, 31, v2
	v_readlane_b32 s79, v103, 17
	v_lshlrev_b64 v[2:3], 2, v[2:3]
	v_add_u32_e32 v4, s79, v96
	v_add_co_u32_e32 v2, vcc, s0, v2
	v_ashrrev_i32_e32 v5, 31, v4
	v_readlane_b32 s79, v103, 18
	v_addc_co_u32_e32 v3, vcc, v99, v3, vcc
	v_lshlrev_b64 v[4:5], 2, v[4:5]
	v_add_u32_e32 v6, s79, v96
	v_add_co_u32_e32 v4, vcc, s0, v4
	v_ashrrev_i32_e32 v7, 31, v6
	v_readlane_b32 s79, v103, 19
	v_addc_co_u32_e32 v5, vcc, v99, v5, vcc
	;; [unrolled: 6-line block ×4, first 2 shown]
	v_lshlrev_b64 v[10:11], 2, v[10:11]
	v_add_u32_e32 v12, s79, v96
	v_add_co_u32_e32 v10, vcc, s0, v10
	v_ashrrev_i32_e32 v13, 31, v12
	v_addc_co_u32_e32 v11, vcc, v99, v11, vcc
	v_lshlrev_b64 v[12:13], 2, v[12:13]
	v_add_co_u32_e32 v12, vcc, s0, v12
	v_addc_co_u32_e32 v13, vcc, v99, v13, vcc
	global_load_dword v16, v[2:3], off
	global_load_dword v17, v[4:5], off
	s_nop 0
	global_load_dword v6, v[6:7], off
	s_nop 0
	;; [unrolled: 2-line block ×3, first 2 shown]
	global_load_dword v8, v[10:11], off
	global_load_dword v9, v[12:13], off
	v_add_u32_e32 v2, s75, v96
	v_ashrrev_i32_e32 v3, 31, v2
	v_readlane_b32 s79, v103, 22
	v_lshlrev_b64 v[2:3], 2, v[2:3]
	v_add_u32_e32 v4, s79, v96
	v_add_co_u32_e32 v2, vcc, s0, v2
	v_ashrrev_i32_e32 v5, 31, v4
	v_addc_co_u32_e32 v3, vcc, v99, v3, vcc
	v_lshlrev_b64 v[4:5], 2, v[4:5]
	s_waitcnt vmcnt(15)
	ds_write_b32 v97, v18
	s_waitcnt vmcnt(14)
	ds_write_b32 v97, v19 offset:264
	s_waitcnt vmcnt(13)
	ds_write_b32 v97, v20 offset:528
	;; [unrolled: 2-line block ×9, first 2 shown]
	v_add_co_u32_e32 v4, vcc, s0, v4
	v_readlane_b32 s79, v103, 23
	v_addc_co_u32_e32 v5, vcc, v99, v5, vcc
	global_load_dword v18, v[2:3], off
	global_load_dword v19, v[4:5], off
	v_add_u32_e32 v2, s79, v96
	v_ashrrev_i32_e32 v3, 31, v2
	v_readlane_b32 s79, v103, 24
	v_lshlrev_b64 v[2:3], 2, v[2:3]
	v_add_u32_e32 v4, s79, v96
	v_add_co_u32_e32 v2, vcc, s0, v2
	v_ashrrev_i32_e32 v5, 31, v4
	v_readlane_b32 s79, v103, 25
	s_waitcnt vmcnt(7)
	ds_write_b32 v97, v16 offset:2640
	s_waitcnt vmcnt(6)
	ds_write_b32 v97, v17 offset:2904
	;; [unrolled: 2-line block ×6, first 2 shown]
	v_addc_co_u32_e32 v3, vcc, v99, v3, vcc
	v_lshlrev_b64 v[4:5], 2, v[4:5]
	v_add_u32_e32 v6, s79, v96
	v_add_co_u32_e32 v4, vcc, s0, v4
	v_ashrrev_i32_e32 v7, 31, v6
	v_addc_co_u32_e32 v5, vcc, v99, v5, vcc
	v_lshlrev_b64 v[6:7], 2, v[6:7]
	v_add_u32_e32 v8, s80, v96
	v_add_co_u32_e32 v6, vcc, s0, v6
	v_ashrrev_i32_e32 v9, 31, v8
	v_addc_co_u32_e32 v7, vcc, v99, v7, vcc
	v_lshlrev_b64 v[8:9], 2, v[8:9]
	v_add_u32_e32 v10, s81, v96
	v_add_co_u32_e32 v8, vcc, s0, v8
	v_ashrrev_i32_e32 v11, 31, v10
	v_addc_co_u32_e32 v9, vcc, v99, v9, vcc
	v_lshlrev_b64 v[10:11], 2, v[10:11]
	v_add_u32_e32 v12, s82, v96
	v_add_co_u32_e32 v10, vcc, s0, v10
	v_ashrrev_i32_e32 v13, 31, v12
	v_addc_co_u32_e32 v11, vcc, v99, v11, vcc
	v_lshlrev_b64 v[12:13], 2, v[12:13]
	v_add_u32_e32 v14, s83, v96
	v_add_co_u32_e32 v12, vcc, s0, v12
	v_ashrrev_i32_e32 v15, 31, v14
	v_addc_co_u32_e32 v13, vcc, v99, v13, vcc
	v_lshlrev_b64 v[14:15], 2, v[14:15]
	v_add_u32_e32 v16, s84, v96
	v_add_co_u32_e32 v14, vcc, s0, v14
	v_ashrrev_i32_e32 v17, 31, v16
	v_addc_co_u32_e32 v15, vcc, v99, v15, vcc
	v_lshlrev_b64 v[16:17], 2, v[16:17]
	v_add_co_u32_e32 v16, vcc, s0, v16
	v_addc_co_u32_e32 v17, vcc, v99, v17, vcc
	global_load_dword v24, v[2:3], off
	global_load_dword v25, v[4:5], off
	global_load_dword v26, v[6:7], off
	global_load_dword v27, v[8:9], off
	global_load_dword v28, v[10:11], off
	global_load_dword v29, v[12:13], off
	global_load_dword v30, v[14:15], off
	global_load_dword v31, v[16:17], off
	v_add_u32_e32 v2, s85, v96
	v_ashrrev_i32_e32 v3, 31, v2
	v_lshlrev_b64 v[2:3], 2, v[2:3]
	v_add_u32_e32 v4, s86, v96
	v_add_co_u32_e32 v2, vcc, s0, v2
	v_ashrrev_i32_e32 v5, 31, v4
	v_addc_co_u32_e32 v3, vcc, v99, v3, vcc
	v_lshlrev_b64 v[4:5], 2, v[4:5]
	v_add_u32_e32 v6, s87, v96
	v_add_co_u32_e32 v4, vcc, s0, v4
	v_ashrrev_i32_e32 v7, 31, v6
	v_addc_co_u32_e32 v5, vcc, v99, v5, vcc
	v_lshlrev_b64 v[6:7], 2, v[6:7]
	v_add_u32_e32 v8, s88, v96
	v_add_co_u32_e32 v6, vcc, s0, v6
	v_ashrrev_i32_e32 v9, 31, v8
	v_addc_co_u32_e32 v7, vcc, v99, v7, vcc
	v_lshlrev_b64 v[8:9], 2, v[8:9]
	v_add_u32_e32 v10, s89, v96
	v_add_co_u32_e32 v8, vcc, s0, v8
	v_ashrrev_i32_e32 v11, 31, v10
	v_addc_co_u32_e32 v9, vcc, v99, v9, vcc
	v_lshlrev_b64 v[10:11], 2, v[10:11]
	v_add_u32_e32 v12, s61, v96
	v_add_co_u32_e32 v10, vcc, s0, v10
	v_ashrrev_i32_e32 v13, 31, v12
	v_addc_co_u32_e32 v11, vcc, v99, v11, vcc
	v_lshlrev_b64 v[12:13], 2, v[12:13]
	v_add_u32_e32 v14, s90, v96
	v_add_co_u32_e32 v12, vcc, s0, v12
	v_ashrrev_i32_e32 v15, 31, v14
	v_addc_co_u32_e32 v13, vcc, v99, v13, vcc
	v_lshlrev_b64 v[14:15], 2, v[14:15]
	v_add_u32_e32 v16, s91, v96
	v_add_co_u32_e32 v14, vcc, s0, v14
	v_ashrrev_i32_e32 v17, 31, v16
	v_addc_co_u32_e32 v15, vcc, v99, v15, vcc
	v_lshlrev_b64 v[16:17], 2, v[16:17]
	v_add_co_u32_e32 v16, vcc, s0, v16
	v_addc_co_u32_e32 v17, vcc, v99, v17, vcc
	global_load_dword v32, v[2:3], off
	global_load_dword v33, v[4:5], off
	global_load_dword v34, v[6:7], off
	global_load_dword v35, v[8:9], off
	global_load_dword v36, v[10:11], off
	global_load_dword v37, v[12:13], off
	global_load_dword v38, v[14:15], off
	global_load_dword v39, v[16:17], off
	v_add_u32_e32 v2, s92, v96
	v_ashrrev_i32_e32 v3, 31, v2
	v_lshlrev_b64 v[2:3], 2, v[2:3]
	v_add_u32_e32 v4, s93, v96
	v_add_co_u32_e32 v2, vcc, s0, v2
	v_ashrrev_i32_e32 v5, 31, v4
	;; [unrolled: 48-line block ×5, first 2 shown]
	v_addc_co_u32_e32 v3, vcc, v99, v3, vcc
	v_lshlrev_b64 v[4:5], 2, v[4:5]
	v_add_u32_e32 v6, s76, v96
	v_add_co_u32_e32 v4, vcc, s0, v4
	v_ashrrev_i32_e32 v7, 31, v6
	v_addc_co_u32_e32 v5, vcc, v99, v5, vcc
	v_lshlrev_b64 v[6:7], 2, v[6:7]
	v_add_co_u32_e32 v8, vcc, s0, v6
	v_add_u32_e32 v6, s77, v96
	v_addc_co_u32_e32 v9, vcc, v99, v7, vcc
	v_ashrrev_i32_e32 v7, 31, v6
	v_lshlrev_b64 v[6:7], 2, v[6:7]
	v_add_co_u32_e32 v12, vcc, s0, v6
	v_add_u32_e32 v6, s78, v96
	v_addc_co_u32_e32 v13, vcc, v99, v7, vcc
	v_ashrrev_i32_e32 v7, 31, v6
	v_lshlrev_b64 v[6:7], 2, v[6:7]
	v_add_co_u32_e32 v20, vcc, s0, v6
	v_add_u32_e32 v6, s15, v96
	v_addc_co_u32_e32 v21, vcc, v99, v7, vcc
	v_ashrrev_i32_e32 v7, 31, v6
	v_lshlrev_b64 v[6:7], 2, v[6:7]
	v_add_co_u32_e32 v22, vcc, s0, v6
	v_addc_co_u32_e32 v23, vcc, v99, v7, vcc
	ds_read_b64 v[16:17], v98
	ds_read_b64 v[14:15], v98 offset:32
	ds_read_b64 v[10:11], v98 offset:64
	;; [unrolled: 1-line block ×3, first 2 shown]
	global_load_dword v64, v[2:3], off
	global_load_dword v65, v[4:5], off
	;; [unrolled: 1-line block ×6, first 2 shown]
	ds_read_b64 v[12:13], v98 offset:128
	ds_read_b64 v[8:9], v98 offset:160
	ds_read_b64 v[4:5], v98 offset:192
	ds_read_b64 v[2:3], v98 offset:224
	s_waitcnt vmcnt(47)
	ds_write_b32 v97, v18
	s_waitcnt vmcnt(46)
	ds_write_b32 v97, v19 offset:264
	s_waitcnt vmcnt(45)
	ds_write_b32 v97, v24 offset:528
	s_waitcnt vmcnt(44)
	ds_write_b32 v97, v25 offset:792
	s_waitcnt vmcnt(43)
	ds_write_b32 v97, v26 offset:1056
	s_waitcnt vmcnt(42)
	ds_write_b32 v97, v27 offset:1320
	s_waitcnt vmcnt(41)
	ds_write_b32 v97, v28 offset:1584
	s_waitcnt vmcnt(40)
	ds_write_b32 v97, v29 offset:1848
	s_waitcnt vmcnt(39)
	ds_write_b32 v97, v30 offset:2112
	s_waitcnt vmcnt(38)
	ds_write_b32 v97, v31 offset:2376
	s_waitcnt vmcnt(37)
	ds_write_b32 v97, v32 offset:2640
	s_waitcnt vmcnt(36)
	ds_write_b32 v97, v33 offset:2904
	s_waitcnt vmcnt(35)
	ds_write_b32 v97, v34 offset:3168
	s_waitcnt vmcnt(34)
	ds_write_b32 v97, v35 offset:3432
	s_waitcnt vmcnt(33)
	ds_write_b32 v97, v36 offset:3696
	s_waitcnt vmcnt(32)
	ds_write_b32 v97, v37 offset:3960
	ds_read_b64 v[34:35], v98
	ds_read_b64 v[30:31], v98 offset:32
	ds_read_b64 v[28:29], v98 offset:64
	ds_read_b64 v[26:27], v98 offset:96
	ds_read_b64 v[24:25], v98 offset:128
	ds_read_b64 v[22:23], v98 offset:160
	ds_read_b64 v[20:21], v98 offset:192
	ds_read_b64 v[18:19], v98 offset:224
	s_waitcnt vmcnt(31)
	ds_write_b32 v97, v38
	s_waitcnt vmcnt(30)
	ds_write_b32 v97, v39 offset:264
	s_waitcnt vmcnt(29)
	ds_write_b32 v97, v40 offset:528
	s_waitcnt vmcnt(28)
	ds_write_b32 v97, v41 offset:792
	s_waitcnt vmcnt(27)
	ds_write_b32 v97, v42 offset:1056
	s_waitcnt vmcnt(26)
	ds_write_b32 v97, v43 offset:1320
	s_waitcnt vmcnt(25)
	ds_write_b32 v97, v44 offset:1584
	s_waitcnt vmcnt(24)
	ds_write_b32 v97, v45 offset:1848
	s_waitcnt vmcnt(23)
	ds_write_b32 v97, v46 offset:2112
	s_waitcnt vmcnt(22)
	ds_write_b32 v97, v47 offset:2376
	s_waitcnt vmcnt(21)
	ds_write_b32 v97, v48 offset:2640
	s_waitcnt vmcnt(20)
	ds_write_b32 v97, v49 offset:2904
	s_waitcnt vmcnt(19)
	ds_write_b32 v97, v50 offset:3168
	s_waitcnt vmcnt(18)
	ds_write_b32 v97, v51 offset:3432
	s_waitcnt vmcnt(17)
	ds_write_b32 v97, v52 offset:3696
	s_waitcnt vmcnt(16)
	ds_write_b32 v97, v53 offset:3960
	ds_read_b64 v[48:49], v98
	ds_read_b64 v[46:47], v98 offset:32
	ds_read_b64 v[44:45], v98 offset:64
	ds_read_b64 v[42:43], v98 offset:96
	;; [unrolled: 40-line block ×3, first 2 shown]
	ds_read_b64 v[60:61], v98 offset:128
	ds_read_b64 v[56:57], v98 offset:160
	ds_read_b64 v[52:53], v98 offset:192
	ds_read_b64 v[50:51], v98 offset:224
	s_andn2_b64 vcc, exec, s[4:5]
	v_mov_b32_e32 v66, 0
	v_mov_b32_e32 v67, 0
	s_cbranch_vccnz .LBB99_9
; %bb.7:                                ;   in Loop: Header=BB99_6 Depth=1
	s_load_dword vcc_lo, s[34:35], 0x0
	v_mov_b32_e32 v67, 0
	v_mov_b32_e32 v66, 0
	s_waitcnt lgkmcnt(0)
	s_mul_hi_u32 vcc_hi, vcc_lo, s16
	s_add_i32 vcc_hi, vcc_lo, vcc_hi
	s_lshr_b32 s79, vcc_hi, s17
	s_cmp_ge_i32 s79, s13
	s_cbranch_scc1 .LBB99_9
; %bb.8:                                ;   in Loop: Header=BB99_6 Depth=1
	s_mul_i32 vcc_hi, s79, s18
	s_sub_i32 vcc_lo, vcc_lo, vcc_hi
	s_mul_i32 s79, s79, s20
	s_mul_i32 vcc_lo, vcc_lo, s1
	v_add_u32_e32 v66, s79, v96
	v_lshl_add_u32 v66, v66, 1, vcc_lo
	v_ashrrev_i32_e32 v67, 31, v66
	v_lshlrev_b64 v[66:67], 2, v[66:67]
	v_mov_b32_e32 v68, s11
	v_add_co_u32_e32 v66, vcc, s10, v66
	v_addc_co_u32_e32 v67, vcc, v68, v67, vcc
	global_load_dwordx2 v[66:67], v[66:67], off
.LBB99_9:                               ;   in Loop: Header=BB99_6 Depth=1
	s_andn2_b64 vcc, exec, s[36:37]
	v_mov_b32_e32 v68, 0
	v_mov_b32_e32 v70, 0
	v_mov_b32_e32 v71, 0
	s_cbranch_vccnz .LBB99_12
; %bb.10:                               ;   in Loop: Header=BB99_6 Depth=1
	s_load_dword vcc_lo, s[34:35], 0x4
	v_mov_b32_e32 v71, 0
	v_mov_b32_e32 v70, 0
	s_waitcnt lgkmcnt(0)
	s_mul_hi_u32 s79, vcc_lo, s16
	s_add_i32 s79, vcc_lo, s79
	s_lshr_b32 vcc_hi, s79, s17
	s_cmp_ge_i32 vcc_hi, s13
	s_cbranch_scc1 .LBB99_12
; %bb.11:                               ;   in Loop: Header=BB99_6 Depth=1
	s_mul_i32 s79, vcc_hi, s18
	s_sub_i32 s79, vcc_lo, s79
	s_mul_i32 vcc_hi, vcc_hi, s20
	s_mul_i32 s79, s79, s1
	v_add_u32_e32 v69, vcc_hi, v96
	v_lshl_add_u32 v70, v69, 1, s79
	v_ashrrev_i32_e32 v71, 31, v70
	v_lshlrev_b64 v[70:71], 2, v[70:71]
	v_mov_b32_e32 v69, s11
	v_add_co_u32_e32 v70, vcc, s10, v70
	v_addc_co_u32_e32 v71, vcc, v69, v71, vcc
	global_load_dwordx2 v[70:71], v[70:71], off
.LBB99_12:                              ;   in Loop: Header=BB99_6 Depth=1
	s_andn2_b64 vcc, exec, s[38:39]
	v_mov_b32_e32 v69, 0
	s_cbranch_vccnz .LBB99_15
; %bb.13:                               ;   in Loop: Header=BB99_6 Depth=1
	s_load_dword vcc_lo, s[34:35], 0x8
	v_mov_b32_e32 v69, 0
	v_mov_b32_e32 v68, 0
	s_waitcnt lgkmcnt(0)
	s_mul_hi_u32 s79, vcc_lo, s16
	s_add_i32 s79, vcc_lo, s79
	s_lshr_b32 vcc_hi, s79, s17
	s_cmp_ge_i32 vcc_hi, s13
	s_cbranch_scc1 .LBB99_15
; %bb.14:                               ;   in Loop: Header=BB99_6 Depth=1
	s_mul_i32 s79, vcc_hi, s18
	s_sub_i32 s79, vcc_lo, s79
	s_mul_i32 vcc_hi, vcc_hi, s20
	s_mul_i32 s79, s79, s1
	v_add_u32_e32 v68, vcc_hi, v96
	v_lshl_add_u32 v68, v68, 1, s79
	v_ashrrev_i32_e32 v69, 31, v68
	v_lshlrev_b64 v[68:69], 2, v[68:69]
	v_mov_b32_e32 v72, s11
	v_add_co_u32_e32 v68, vcc, s10, v68
	v_addc_co_u32_e32 v69, vcc, v72, v69, vcc
	global_load_dwordx2 v[68:69], v[68:69], off
.LBB99_15:                              ;   in Loop: Header=BB99_6 Depth=1
	s_andn2_b64 vcc, exec, s[40:41]
	v_mov_b32_e32 v72, 0
	v_mov_b32_e32 v74, 0
	v_mov_b32_e32 v75, 0
	s_cbranch_vccnz .LBB99_18
; %bb.16:                               ;   in Loop: Header=BB99_6 Depth=1
	s_load_dword vcc_lo, s[34:35], 0xc
	v_mov_b32_e32 v75, 0
	v_mov_b32_e32 v74, 0
	s_waitcnt lgkmcnt(0)
	s_mul_hi_u32 s79, vcc_lo, s16
	s_add_i32 s79, vcc_lo, s79
	s_lshr_b32 vcc_hi, s79, s17
	s_cmp_ge_i32 vcc_hi, s13
	s_cbranch_scc1 .LBB99_18
; %bb.17:                               ;   in Loop: Header=BB99_6 Depth=1
	s_mul_i32 s79, vcc_hi, s18
	s_sub_i32 s79, vcc_lo, s79
	s_mul_i32 vcc_hi, vcc_hi, s20
	s_mul_i32 s79, s79, s1
	v_add_u32_e32 v73, vcc_hi, v96
	v_lshl_add_u32 v74, v73, 1, s79
	v_ashrrev_i32_e32 v75, 31, v74
	v_lshlrev_b64 v[74:75], 2, v[74:75]
	v_mov_b32_e32 v73, s11
	v_add_co_u32_e32 v74, vcc, s10, v74
	v_addc_co_u32_e32 v75, vcc, v73, v75, vcc
	global_load_dwordx2 v[74:75], v[74:75], off
.LBB99_18:                              ;   in Loop: Header=BB99_6 Depth=1
	s_andn2_b64 vcc, exec, s[42:43]
	v_mov_b32_e32 v73, 0
	s_cbranch_vccnz .LBB99_21
; %bb.19:                               ;   in Loop: Header=BB99_6 Depth=1
	s_load_dword vcc_lo, s[34:35], 0x10
	v_mov_b32_e32 v73, 0
	v_mov_b32_e32 v72, 0
	s_waitcnt lgkmcnt(0)
	s_mul_hi_u32 s79, vcc_lo, s16
	s_add_i32 s79, vcc_lo, s79
	s_lshr_b32 vcc_hi, s79, s17
	s_cmp_ge_i32 vcc_hi, s13
	s_cbranch_scc1 .LBB99_21
; %bb.20:                               ;   in Loop: Header=BB99_6 Depth=1
	s_mul_i32 s79, vcc_hi, s18
	s_sub_i32 s79, vcc_lo, s79
	s_mul_i32 vcc_hi, vcc_hi, s20
	s_mul_i32 s79, s79, s1
	v_add_u32_e32 v72, vcc_hi, v96
	v_lshl_add_u32 v72, v72, 1, s79
	v_ashrrev_i32_e32 v73, 31, v72
	v_lshlrev_b64 v[72:73], 2, v[72:73]
	v_mov_b32_e32 v76, s11
	v_add_co_u32_e32 v72, vcc, s10, v72
	v_addc_co_u32_e32 v73, vcc, v76, v73, vcc
	global_load_dwordx2 v[72:73], v[72:73], off
.LBB99_21:                              ;   in Loop: Header=BB99_6 Depth=1
	;; [unrolled: 56-line block ×5, first 2 shown]
	s_andn2_b64 vcc, exec, s[56:57]
	v_mov_b32_e32 v88, 0
	v_mov_b32_e32 v90, 0
	;; [unrolled: 1-line block ×3, first 2 shown]
	s_cbranch_vccnz .LBB99_42
; %bb.40:                               ;   in Loop: Header=BB99_6 Depth=1
	s_load_dword vcc_lo, s[34:35], 0x2c
	v_mov_b32_e32 v91, 0
	v_mov_b32_e32 v90, 0
	s_waitcnt lgkmcnt(0)
	s_mul_hi_u32 s79, vcc_lo, s16
	s_add_i32 s79, vcc_lo, s79
	s_lshr_b32 vcc_hi, s79, s17
	s_cmp_ge_i32 vcc_hi, s13
	s_cbranch_scc1 .LBB99_42
; %bb.41:                               ;   in Loop: Header=BB99_6 Depth=1
	s_mul_i32 s79, vcc_hi, s18
	s_sub_i32 s79, vcc_lo, s79
	s_mul_i32 vcc_hi, vcc_hi, s20
	s_mul_i32 s79, s79, s1
	v_add_u32_e32 v89, vcc_hi, v96
	v_lshl_add_u32 v90, v89, 1, s79
	v_ashrrev_i32_e32 v91, 31, v90
	v_lshlrev_b64 v[90:91], 2, v[90:91]
	v_mov_b32_e32 v89, s11
	v_add_co_u32_e32 v90, vcc, s10, v90
	v_addc_co_u32_e32 v91, vcc, v89, v91, vcc
	global_load_dwordx2 v[90:91], v[90:91], off
.LBB99_42:                              ;   in Loop: Header=BB99_6 Depth=1
	s_andn2_b64 vcc, exec, s[58:59]
	v_mov_b32_e32 v89, 0
	s_cbranch_vccnz .LBB99_5
; %bb.43:                               ;   in Loop: Header=BB99_6 Depth=1
	s_load_dword vcc_lo, s[34:35], 0x30
	v_mov_b32_e32 v89, 0
	v_mov_b32_e32 v88, 0
	s_waitcnt lgkmcnt(0)
	s_mul_hi_u32 s79, vcc_lo, s16
	s_add_i32 s79, vcc_lo, s79
	s_lshr_b32 vcc_hi, s79, s17
	s_cmp_ge_i32 vcc_hi, s13
	s_cbranch_scc1 .LBB99_5
; %bb.44:                               ;   in Loop: Header=BB99_6 Depth=1
	s_mul_i32 s79, vcc_hi, s18
	s_sub_i32 s79, vcc_lo, s79
	s_mul_i32 vcc_hi, vcc_hi, s20
	s_mul_i32 s79, s79, s1
	v_add_u32_e32 v88, vcc_hi, v96
	v_lshl_add_u32 v88, v88, 1, s79
	v_ashrrev_i32_e32 v89, 31, v88
	v_lshlrev_b64 v[88:89], 2, v[88:89]
	v_mov_b32_e32 v102, s11
	v_add_co_u32_e32 v88, vcc, s10, v88
	v_addc_co_u32_e32 v89, vcc, v102, v89, vcc
	global_load_dwordx2 v[88:89], v[88:89], off
	s_branch .LBB99_5
.LBB99_45:
	s_or_b64 exec, exec, s[8:9]
	v_readlane_b32 s24, v103, 6
	v_readlane_b32 s26, v103, 9
	;; [unrolled: 1-line block ×5, first 2 shown]
.LBB99_46:
	v_readlane_b32 s0, v103, 4
	v_readlane_b32 s1, v103, 5
	s_or_b64 exec, exec, s[0:1]
	s_lshl_b64 s[0:1], s[26:27], 2
	v_readlane_b32 s4, v103, 0
	v_lshlrev_b32_e32 v0, 2, v94
	v_or_b32_e32 v2, 12, v93
	v_readlane_b32 s5, v103, 1
	s_add_u32 s3, s4, s0
	v_add3_u32 v0, 0, v95, v0
	v_and_b32_e32 v1, 0x3f0, v93
	v_and_b32_e32 v2, 0x3fc, v2
	s_addc_u32 s8, s5, s1
	v_add_u32_e32 v1, v0, v1
	v_add_u32_e32 v0, v0, v2
	ds_write2_b32 v1, a0, a1 offset1:1
	ds_write_b32 v1, a2 offset:8
	ds_write_b32 v0, a3
	ds_write2_b32 v1, a4, a5 offset0:16 offset1:17
	ds_write_b32 v1, a6 offset:72
	ds_write_b32 v0, a7 offset:64
	ds_write2_b32 v1, a8, a9 offset0:32 offset1:33
	ds_write_b32 v1, a10 offset:136
	ds_write_b32 v0, a11 offset:128
	;; [unrolled: 3-line block ×3, first 2 shown]
	s_cmp_gt_i32 s14, 0
	v_add_u32_e32 v0, s6, v92
	s_cselect_b64 s[4:5], -1, 0
	v_cmp_gt_i32_e64 s[0:1], s33, v0
	v_cmp_gt_u32_e32 vcc, 13, v92
	s_and_b64 s[0:1], s[4:5], s[0:1]
	v_lshl_add_u32 v5, v93, 2, 0
	v_add_u32_e32 v4, s7, v93
	v_mul_u32_u24_e32 v6, 0x108, v92
	s_and_b64 s[10:11], vcc, s[0:1]
	s_and_saveexec_b64 s[0:1], s[10:11]
	v_readlane_b32 s14, v103, 2
	v_readlane_b32 s15, v103, 3
	s_cbranch_execz .LBB99_49
; %bb.47:
	v_ashrrev_i32_e32 v1, 31, v0
	v_lshlrev_b64 v[2:3], 2, v[0:1]
	v_mov_b32_e32 v1, s8
	v_add_co_u32_e32 v2, vcc, s3, v2
	v_addc_co_u32_e32 v3, vcc, v1, v3, vcc
	global_load_dword v1, v[2:3], off
	s_waitcnt vmcnt(0)
	v_mul_hi_u32 v2, v1, s19
	v_add_u32_e32 v2, v1, v2
	v_lshrrev_b32_e32 v2, s24, v2
	v_cmp_gt_i32_e32 vcc, s13, v2
	s_and_b64 exec, exec, vcc
	s_cbranch_execz .LBB99_49
; %bb.48:
	v_add_u32_e32 v3, v5, v6
	ds_read_b32 v3, v3
	v_mul_lo_u32 v7, v2, s25
	v_sub_u32_e32 v1, v1, v7
	v_mul_lo_u32 v2, v2, s21
	v_mul_lo_u32 v1, v1, s2
	s_waitcnt lgkmcnt(0)
	v_add_f32_e32 v7, 0, v3
	v_add3_u32 v2, v4, v2, v1
	v_mov_b32_e32 v3, 0
	v_lshlrev_b64 v[2:3], 2, v[2:3]
	v_mov_b32_e32 v1, s15
	v_add_co_u32_e32 v2, vcc, s14, v2
	v_addc_co_u32_e32 v3, vcc, v1, v3, vcc
	global_store_dword v[2:3], v7, off
.LBB99_49:
	s_or_b64 exec, exec, s[0:1]
	v_add_u32_e32 v1, 1, v0
	v_cmp_gt_i32_e64 s[0:1], s33, v1
	v_cmp_gt_u32_e32 vcc, 12, v92
	s_and_b64 s[0:1], s[4:5], s[0:1]
	s_and_b64 s[10:11], vcc, s[0:1]
	s_and_saveexec_b64 s[0:1], s[10:11]
	s_cbranch_execz .LBB99_52
; %bb.50:
	s_ashr_i32 s7, s6, 31
	v_mov_b32_e32 v1, s7
	v_add_co_u32_e32 v2, vcc, s6, v92
	v_addc_co_u32_e32 v3, vcc, 0, v1, vcc
	v_lshlrev_b64 v[2:3], 2, v[2:3]
	v_mov_b32_e32 v1, s8
	v_add_co_u32_e32 v2, vcc, s3, v2
	v_addc_co_u32_e32 v3, vcc, v1, v3, vcc
	global_load_dword v1, v[2:3], off offset:4
	v_mov_b32_e32 v3, 0
	s_waitcnt vmcnt(0)
	v_mul_hi_u32 v2, v1, s19
	v_add_u32_e32 v2, v1, v2
	v_lshrrev_b32_e32 v2, s24, v2
	v_cmp_gt_i32_e32 vcc, s13, v2
	s_and_b64 exec, exec, vcc
	s_cbranch_execz .LBB99_52
; %bb.51:
	v_add_u32_e32 v7, v6, v5
	v_mul_lo_u32 v8, v2, s25
	ds_read_b32 v7, v7 offset:264
	v_sub_u32_e32 v1, v1, v8
	v_mul_lo_u32 v2, v2, s21
	v_mul_lo_u32 v1, v1, s2
	v_add3_u32 v2, v4, v2, v1
	v_lshlrev_b64 v[2:3], 2, v[2:3]
	v_mov_b32_e32 v1, s15
	v_add_co_u32_e32 v2, vcc, s14, v2
	s_waitcnt lgkmcnt(0)
	v_add_f32_e32 v7, 0, v7
	v_addc_co_u32_e32 v3, vcc, v1, v3, vcc
	global_store_dword v[2:3], v7, off
.LBB99_52:
	s_or_b64 exec, exec, s[0:1]
	v_add_u32_e32 v1, 2, v0
	v_cmp_gt_i32_e64 s[0:1], s33, v1
	v_cmp_gt_u32_e32 vcc, 11, v92
	s_and_b64 s[0:1], s[4:5], s[0:1]
	s_and_b64 s[10:11], vcc, s[0:1]
	s_and_saveexec_b64 s[0:1], s[10:11]
	s_cbranch_execz .LBB99_55
; %bb.53:
	s_ashr_i32 s7, s6, 31
	v_mov_b32_e32 v1, s7
	v_add_co_u32_e32 v2, vcc, s6, v92
	v_addc_co_u32_e32 v3, vcc, 0, v1, vcc
	v_lshlrev_b64 v[2:3], 2, v[2:3]
	v_mov_b32_e32 v1, s8
	v_add_co_u32_e32 v2, vcc, s3, v2
	v_addc_co_u32_e32 v3, vcc, v1, v3, vcc
	global_load_dword v1, v[2:3], off offset:8
	v_mov_b32_e32 v3, 0
	s_waitcnt vmcnt(0)
	v_mul_hi_u32 v2, v1, s19
	v_add_u32_e32 v2, v1, v2
	v_lshrrev_b32_e32 v2, s24, v2
	v_cmp_gt_i32_e32 vcc, s13, v2
	s_and_b64 exec, exec, vcc
	s_cbranch_execz .LBB99_55
; %bb.54:
	v_add_u32_e32 v7, v5, v6
	v_mul_lo_u32 v8, v2, s25
	ds_read_b32 v7, v7 offset:528
	v_sub_u32_e32 v1, v1, v8
	v_mul_lo_u32 v2, v2, s21
	v_mul_lo_u32 v1, v1, s2
	v_add3_u32 v2, v4, v2, v1
	v_lshlrev_b64 v[2:3], 2, v[2:3]
	v_mov_b32_e32 v1, s15
	v_add_co_u32_e32 v2, vcc, s14, v2
	s_waitcnt lgkmcnt(0)
	v_add_f32_e32 v7, 0, v7
	v_addc_co_u32_e32 v3, vcc, v1, v3, vcc
	global_store_dword v[2:3], v7, off
.LBB99_55:
	;; [unrolled: 42-line block ×11, first 2 shown]
	s_or_b64 exec, exec, s[0:1]
	v_add_u32_e32 v0, 12, v0
	v_cmp_gt_i32_e64 s[0:1], s33, v0
	v_cmp_eq_u32_e32 vcc, 0, v92
	s_and_b64 s[0:1], s[4:5], s[0:1]
	s_and_b64 s[0:1], vcc, s[0:1]
	s_and_saveexec_b64 s[4:5], s[0:1]
	s_cbranch_execz .LBB99_85
; %bb.83:
	s_ashr_i32 s7, s6, 31
	s_lshl_b64 s[0:1], s[6:7], 2
	s_add_u32 s0, s3, s0
	s_addc_u32 s1, s8, s1
	s_load_dword s0, s[0:1], 0x30
	s_waitcnt lgkmcnt(0)
	s_mul_hi_u32 s1, s0, s19
	s_add_i32 s1, s0, s1
	s_lshr_b32 s1, s1, s24
	s_cmp_ge_i32 s1, s13
	s_cbranch_scc1 .LBB99_85
; %bb.84:
	v_add_u32_e32 v0, v5, v6
	ds_read_b32 v0, v0 offset:3168
	s_mul_i32 s3, s1, s25
	s_sub_i32 s0, s0, s3
	s_mul_i32 s1, s1, s21
	s_mul_i32 s0, s0, s2
	s_add_i32 s0, s0, s1
	s_waitcnt lgkmcnt(0)
	v_add_f32_e32 v2, 0, v0
	v_add_u32_e32 v0, s0, v4
	v_mov_b32_e32 v1, 0
	v_lshlrev_b64 v[0:1], 2, v[0:1]
	v_mov_b32_e32 v3, s15
	v_add_co_u32_e32 v0, vcc, s14, v0
	v_addc_co_u32_e32 v1, vcc, v3, v1, vcc
	global_store_dword v[0:1], v2, off
.LBB99_85:
	s_endpgm
	.section	.rodata,"a",@progbits
	.p2align	6, 0x0
	.amdhsa_kernel _ZL13mul_mat_f_idsI7__half2Li64ELi13ELi1EEvPKT_PKfPKiS7_S7_Pfiiiiiiiiiiiiii15HIP_vector_typeIjLj3EESA_
		.amdhsa_group_segment_fixed_size 0
		.amdhsa_private_segment_fixed_size 0
		.amdhsa_kernarg_size 128
		.amdhsa_user_sgpr_count 6
		.amdhsa_user_sgpr_private_segment_buffer 1
		.amdhsa_user_sgpr_dispatch_ptr 0
		.amdhsa_user_sgpr_queue_ptr 0
		.amdhsa_user_sgpr_kernarg_segment_ptr 1
		.amdhsa_user_sgpr_dispatch_id 0
		.amdhsa_user_sgpr_flat_scratch_init 0
		.amdhsa_user_sgpr_kernarg_preload_length 0
		.amdhsa_user_sgpr_kernarg_preload_offset 0
		.amdhsa_user_sgpr_private_segment_size 0
		.amdhsa_uses_dynamic_stack 0
		.amdhsa_system_sgpr_private_segment_wavefront_offset 0
		.amdhsa_system_sgpr_workgroup_id_x 1
		.amdhsa_system_sgpr_workgroup_id_y 1
		.amdhsa_system_sgpr_workgroup_id_z 1
		.amdhsa_system_sgpr_workgroup_info 0
		.amdhsa_system_vgpr_workitem_id 1
		.amdhsa_next_free_vgpr 120
		.amdhsa_next_free_sgpr 96
		.amdhsa_accum_offset 104
		.amdhsa_reserve_vcc 1
		.amdhsa_reserve_flat_scratch 0
		.amdhsa_float_round_mode_32 0
		.amdhsa_float_round_mode_16_64 0
		.amdhsa_float_denorm_mode_32 3
		.amdhsa_float_denorm_mode_16_64 3
		.amdhsa_dx10_clamp 1
		.amdhsa_ieee_mode 1
		.amdhsa_fp16_overflow 0
		.amdhsa_tg_split 0
		.amdhsa_exception_fp_ieee_invalid_op 0
		.amdhsa_exception_fp_denorm_src 0
		.amdhsa_exception_fp_ieee_div_zero 0
		.amdhsa_exception_fp_ieee_overflow 0
		.amdhsa_exception_fp_ieee_underflow 0
		.amdhsa_exception_fp_ieee_inexact 0
		.amdhsa_exception_int_div_zero 0
	.end_amdhsa_kernel
	.section	.text._ZL13mul_mat_f_idsI7__half2Li64ELi13ELi1EEvPKT_PKfPKiS7_S7_Pfiiiiiiiiiiiiii15HIP_vector_typeIjLj3EESA_,"axG",@progbits,_ZL13mul_mat_f_idsI7__half2Li64ELi13ELi1EEvPKT_PKfPKiS7_S7_Pfiiiiiiiiiiiiii15HIP_vector_typeIjLj3EESA_,comdat
.Lfunc_end99:
	.size	_ZL13mul_mat_f_idsI7__half2Li64ELi13ELi1EEvPKT_PKfPKiS7_S7_Pfiiiiiiiiiiiiii15HIP_vector_typeIjLj3EESA_, .Lfunc_end99-_ZL13mul_mat_f_idsI7__half2Li64ELi13ELi1EEvPKT_PKfPKiS7_S7_Pfiiiiiiiiiiiiii15HIP_vector_typeIjLj3EESA_
                                        ; -- End function
	.section	.AMDGPU.csdata,"",@progbits
; Kernel info:
; codeLenInByte = 9432
; NumSgprs: 100
; NumVgprs: 104
; NumAgprs: 16
; TotalNumVgprs: 120
; ScratchSize: 0
; MemoryBound: 0
; FloatMode: 240
; IeeeMode: 1
; LDSByteSize: 0 bytes/workgroup (compile time only)
; SGPRBlocks: 12
; VGPRBlocks: 14
; NumSGPRsForWavesPerEU: 100
; NumVGPRsForWavesPerEU: 120
; AccumOffset: 104
; Occupancy: 4
; WaveLimiterHint : 1
; COMPUTE_PGM_RSRC2:SCRATCH_EN: 0
; COMPUTE_PGM_RSRC2:USER_SGPR: 6
; COMPUTE_PGM_RSRC2:TRAP_HANDLER: 0
; COMPUTE_PGM_RSRC2:TGID_X_EN: 1
; COMPUTE_PGM_RSRC2:TGID_Y_EN: 1
; COMPUTE_PGM_RSRC2:TGID_Z_EN: 1
; COMPUTE_PGM_RSRC2:TIDIG_COMP_CNT: 1
; COMPUTE_PGM_RSRC3_GFX90A:ACCUM_OFFSET: 25
; COMPUTE_PGM_RSRC3_GFX90A:TG_SPLIT: 0
	.section	.text._ZL9mul_mat_fI7__half2Li64ELi13ELi1ELb1EEvPKT_PKfPKiPfiiiiiiiiiiiiiiii,"axG",@progbits,_ZL9mul_mat_fI7__half2Li64ELi13ELi1ELb1EEvPKT_PKfPKiPfiiiiiiiiiiiiiiii,comdat
	.globl	_ZL9mul_mat_fI7__half2Li64ELi13ELi1ELb1EEvPKT_PKfPKiPfiiiiiiiiiiiiiiii ; -- Begin function _ZL9mul_mat_fI7__half2Li64ELi13ELi1ELb1EEvPKT_PKfPKiPfiiiiiiiiiiiiiiii
	.p2align	8
	.type	_ZL9mul_mat_fI7__half2Li64ELi13ELi1ELb1EEvPKT_PKfPKiPfiiiiiiiiiiiiiiii,@function
_ZL9mul_mat_fI7__half2Li64ELi13ELi1ELb1EEvPKT_PKfPKiPfiiiiiiiiiiiiiiii: ; @_ZL9mul_mat_fI7__half2Li64ELi13ELi1ELb1EEvPKT_PKfPKiPfiiiiiiiiiiiiiiii
; %bb.0:
	s_load_dwordx8 s[40:47], s[4:5], 0x20
	v_bfe_u32 v3, v0, 10, 10
	s_waitcnt lgkmcnt(0)
	s_add_i32 s0, s41, 12
	s_mul_hi_i32 s0, s0, 0x4ec4ec4f
	s_lshr_b32 s1, s0, 31
	s_ashr_i32 s0, s0, 2
	s_add_i32 s0, s0, s1
	v_cvt_f32_u32_e32 v1, s0
	s_load_dwordx4 s[48:51], s[4:5], 0x44
	s_load_dword s1, s[4:5], 0x64
	s_add_u32 s52, s4, 0x60
	s_addc_u32 s53, s5, 0
	v_rcp_iflag_f32_e32 v1, v1
	s_sub_i32 s2, 0, s0
	v_mul_f32_e32 v1, 0x4f7ffffe, v1
	v_cvt_u32_f32_e32 v1, v1
	v_readfirstlane_b32 s3, v1
	s_mul_i32 s2, s2, s3
	s_mul_hi_u32 s2, s3, s2
	s_add_i32 s3, s3, s2
	s_waitcnt lgkmcnt(0)
	s_mul_hi_u32 s2, s1, s3
	s_mul_i32 s3, s2, s0
	s_sub_i32 s1, s1, s3
	s_add_i32 s9, s2, 1
	s_sub_i32 s3, s1, s0
	s_cmp_ge_u32 s1, s0
	s_cselect_b32 s2, s9, s2
	s_cselect_b32 s1, s3, s1
	s_add_i32 s3, s2, 1
	s_cmp_ge_u32 s1, s0
	s_cselect_b32 s9, s3, s2
	v_cvt_f32_u32_e32 v1, s9
	s_abs_i32 s27, s51
	v_cvt_f32_u32_e32 v2, s27
	s_load_dwordx2 s[0:1], s[4:5], 0x10
	v_rcp_iflag_f32_e32 v1, v1
	s_sub_i32 s2, 0, s9
	v_rcp_iflag_f32_e32 v2, v2
	v_mul_f32_e32 v1, 0x4f7ffffe, v1
	v_cvt_u32_f32_e32 v1, v1
	v_mul_f32_e32 v2, 0x4f7ffffe, v2
	v_cvt_u32_f32_e32 v4, v2
	v_and_b32_e32 v2, 0x3ff, v0
	v_readfirstlane_b32 s3, v1
	s_mul_i32 s2, s2, s3
	s_mul_hi_u32 s2, s3, s2
	s_add_i32 s3, s3, s2
	v_readfirstlane_b32 s26, v4
	s_mul_hi_u32 s10, s7, s3
	v_cmp_eq_u32_e32 vcc, 0, v2
	s_and_saveexec_b64 s[2:3], vcc
	s_cbranch_execz .LBB100_2
; %bb.1:
	v_mov_b32_e32 v1, 0x100
	v_lshl_add_u32 v1, v3, 2, v1
	v_mov_b32_e32 v4, -1
	ds_write_b32 v1, v4
.LBB100_2:
	s_or_b64 exec, exec, s[2:3]
	s_mul_i32 s2, s10, s9
	s_sub_i32 s2, s7, s2
	s_add_i32 s3, s10, 1
	s_sub_i32 s11, s2, s9
	s_cmp_ge_u32 s2, s9
	s_cselect_b32 s3, s3, s10
	s_cselect_b32 s2, s11, s2
	s_add_i32 s10, s3, 1
	s_cmp_ge_u32 s2, s9
	s_cselect_b32 s2, s10, s3
	s_mul_i32 s3, s2, s9
	s_mul_i32 s9, s2, 13
	s_sub_i32 s7, s7, s3
	s_mul_hi_i32 s3, s9, s47
	s_mul_i32 s2, s9, s47
	s_lshl_b64 s[2:3], s[2:3], 2
	s_waitcnt lgkmcnt(0)
	s_add_u32 s0, s0, s2
	v_add_u32_e32 v1, s9, v3
	s_addc_u32 s1, s1, s3
	v_cmp_gt_i32_e64 s[28:29], s42, v2
	v_cmp_gt_i32_e64 s[30:31], s41, v1
	v_mov_b32_e32 v1, 0
	s_and_saveexec_b64 s[12:13], s[30:31]
	s_cbranch_execz .LBB100_10
; %bb.3:
	v_mov_b32_e32 v1, 0
	s_and_saveexec_b64 s[14:15], s[28:29]
	s_cbranch_execz .LBB100_9
; %bb.4:
	v_mul_lo_u32 v4, v3, s47
	v_ashrrev_i32_e32 v5, 31, v4
	v_lshlrev_b64 v[4:5], 2, v[4:5]
	v_mov_b32_e32 v1, s1
	v_add_co_u32_e64 v6, s[2:3], s0, v4
	v_addc_co_u32_e64 v7, s[2:3], v1, v5, s[2:3]
	v_mov_b32_e32 v1, 0x100
	v_lshl_add_u32 v8, v3, 2, v1
	v_mul_lo_u32 v4, v2, s46
	s_lshl_b32 s20, s46, 6
	s_mov_b64 s[16:17], 0
	v_mov_b32_e32 v1, 0
	v_mov_b32_e32 v9, v2
	s_branch .LBB100_6
.LBB100_5:                              ;   in Loop: Header=BB100_6 Depth=1
	s_or_b64 exec, exec, s[18:19]
	v_add_u32_e32 v9, 64, v9
	v_cmp_le_i32_e64 s[10:11], s42, v9
	s_xor_b64 s[2:3], s[2:3], -1
	s_or_b64 s[2:3], s[2:3], s[10:11]
	s_and_b64 s[2:3], exec, s[2:3]
	s_or_b64 s[16:17], s[2:3], s[16:17]
	v_add_u32_e32 v4, s20, v4
	s_andn2_b64 exec, exec, s[16:17]
	s_cbranch_execz .LBB100_8
.LBB100_6:                              ; =>This Inner Loop Header: Depth=1
	v_ashrrev_i32_e32 v5, 31, v4
	v_lshlrev_b64 v[10:11], 2, v[4:5]
	v_add_co_u32_e64 v10, s[2:3], v6, v10
	v_addc_co_u32_e64 v11, s[2:3], v7, v11, s[2:3]
	global_load_dword v5, v[10:11], off
	s_waitcnt vmcnt(0)
	v_cmp_ne_u32_e64 s[2:3], s7, v5
	v_cmp_eq_u32_e64 s[10:11], s7, v5
	s_and_saveexec_b64 s[18:19], s[10:11]
	s_cbranch_execz .LBB100_5
; %bb.7:                                ;   in Loop: Header=BB100_6 Depth=1
	v_mov_b32_e32 v1, 1
	ds_write_b32 v8, v9
	s_branch .LBB100_5
.LBB100_8:
	s_or_b64 exec, exec, s[16:17]
.LBB100_9:
	s_or_b64 exec, exec, s[14:15]
.LBB100_10:
	s_or_b64 exec, exec, s[12:13]
	s_and_saveexec_b64 s[2:3], vcc
	s_cbranch_execz .LBB100_12
; %bb.11:
	v_mov_b32_e32 v4, 0x100
	v_lshl_add_u32 v4, v3, 2, v4
	v_mov_b32_e32 v5, -1
	ds_write_b32 v4, v5 offset:4
.LBB100_12:
	s_or_b64 exec, exec, s[2:3]
	v_add_u32_e32 v72, 1, v3
	v_add_u32_e32 v4, s9, v72
	v_cmp_gt_i32_e64 s[2:3], s41, v4
	s_mov_b64 s[14:15], exec
                                        ; implicit-def: $vgpr94 : SGPR spill to VGPR lane
	v_writelane_b32 v94, s2, 0
	v_writelane_b32 v94, s3, 1
	s_and_b64 s[2:3], s[14:15], s[2:3]
	s_mov_b64 exec, s[2:3]
	s_cbranch_execz .LBB100_20
; %bb.13:
	s_and_saveexec_b64 s[16:17], s[28:29]
	s_cbranch_execz .LBB100_19
; %bb.14:
	v_mul_lo_u32 v4, v72, s47
	v_ashrrev_i32_e32 v5, 31, v4
	v_lshlrev_b64 v[4:5], 2, v[4:5]
	v_mov_b32_e32 v7, s1
	v_add_co_u32_e64 v6, s[10:11], s0, v4
	v_mov_b32_e32 v4, 0x100
	v_addc_co_u32_e64 v7, s[10:11], v7, v5, s[10:11]
	v_lshl_add_u32 v8, v3, 2, v4
	v_mul_lo_u32 v4, v2, s46
	s_lshl_b32 s2, s46, 6
	s_mov_b64 s[18:19], 0
	v_mov_b32_e32 v9, v2
	s_branch .LBB100_16
.LBB100_15:                             ;   in Loop: Header=BB100_16 Depth=1
	s_or_b64 exec, exec, s[20:21]
	v_add_u32_e32 v9, 64, v9
	v_cmp_le_i32_e64 s[12:13], s42, v9
	s_xor_b64 s[10:11], s[10:11], -1
	s_or_b64 s[10:11], s[10:11], s[12:13]
	s_and_b64 s[10:11], exec, s[10:11]
	s_or_b64 s[18:19], s[10:11], s[18:19]
	v_add_u32_e32 v4, s2, v4
	s_andn2_b64 exec, exec, s[18:19]
	s_cbranch_execz .LBB100_18
.LBB100_16:                             ; =>This Inner Loop Header: Depth=1
	v_ashrrev_i32_e32 v5, 31, v4
	v_lshlrev_b64 v[10:11], 2, v[4:5]
	v_add_co_u32_e64 v10, s[10:11], v6, v10
	v_addc_co_u32_e64 v11, s[10:11], v7, v11, s[10:11]
	global_load_dword v5, v[10:11], off
	s_waitcnt vmcnt(0)
	v_cmp_ne_u32_e64 s[10:11], s7, v5
	v_cmp_eq_u32_e64 s[12:13], s7, v5
	s_and_saveexec_b64 s[20:21], s[12:13]
	s_cbranch_execz .LBB100_15
; %bb.17:                               ;   in Loop: Header=BB100_16 Depth=1
	v_mov_b32_e32 v1, 1
	ds_write_b32 v8, v9 offset:4
	s_branch .LBB100_15
.LBB100_18:
	s_or_b64 exec, exec, s[18:19]
.LBB100_19:
	s_or_b64 exec, exec, s[16:17]
.LBB100_20:
	s_or_b64 exec, exec, s[14:15]
	s_and_saveexec_b64 s[10:11], vcc
	s_cbranch_execz .LBB100_22
; %bb.21:
	v_mov_b32_e32 v4, 0x100
	v_lshl_add_u32 v4, v3, 2, v4
	v_mov_b32_e32 v5, -1
	ds_write_b32 v4, v5 offset:8
.LBB100_22:
	s_or_b64 exec, exec, s[10:11]
	v_add_u32_e32 v73, 2, v3
	v_add_u32_e32 v4, s9, v73
	v_cmp_gt_i32_e64 s[2:3], s41, v4
	s_mov_b64 s[14:15], exec
	v_writelane_b32 v94, s2, 2
	v_writelane_b32 v94, s3, 3
	s_and_b64 s[2:3], s[14:15], s[2:3]
	s_mov_b64 exec, s[2:3]
	s_cbranch_execz .LBB100_30
; %bb.23:
	s_and_saveexec_b64 s[16:17], s[28:29]
	s_cbranch_execz .LBB100_29
; %bb.24:
	v_mul_lo_u32 v4, v73, s47
	v_ashrrev_i32_e32 v5, 31, v4
	v_lshlrev_b64 v[4:5], 2, v[4:5]
	v_mov_b32_e32 v7, s1
	v_add_co_u32_e64 v6, s[10:11], s0, v4
	v_mov_b32_e32 v4, 0x100
	v_addc_co_u32_e64 v7, s[10:11], v7, v5, s[10:11]
	v_lshl_add_u32 v8, v3, 2, v4
	v_mul_lo_u32 v4, v2, s46
	s_lshl_b32 s2, s46, 6
	s_mov_b64 s[18:19], 0
	v_mov_b32_e32 v9, v2
	s_branch .LBB100_26
.LBB100_25:                             ;   in Loop: Header=BB100_26 Depth=1
	s_or_b64 exec, exec, s[20:21]
	v_add_u32_e32 v9, 64, v9
	v_cmp_le_i32_e64 s[12:13], s42, v9
	s_xor_b64 s[10:11], s[10:11], -1
	s_or_b64 s[10:11], s[10:11], s[12:13]
	s_and_b64 s[10:11], exec, s[10:11]
	s_or_b64 s[18:19], s[10:11], s[18:19]
	v_add_u32_e32 v4, s2, v4
	s_andn2_b64 exec, exec, s[18:19]
	s_cbranch_execz .LBB100_28
.LBB100_26:                             ; =>This Inner Loop Header: Depth=1
	v_ashrrev_i32_e32 v5, 31, v4
	v_lshlrev_b64 v[10:11], 2, v[4:5]
	v_add_co_u32_e64 v10, s[10:11], v6, v10
	v_addc_co_u32_e64 v11, s[10:11], v7, v11, s[10:11]
	global_load_dword v5, v[10:11], off
	s_waitcnt vmcnt(0)
	v_cmp_ne_u32_e64 s[10:11], s7, v5
	v_cmp_eq_u32_e64 s[12:13], s7, v5
	s_and_saveexec_b64 s[20:21], s[12:13]
	s_cbranch_execz .LBB100_25
; %bb.27:                               ;   in Loop: Header=BB100_26 Depth=1
	v_mov_b32_e32 v1, 1
	ds_write_b32 v8, v9 offset:8
	s_branch .LBB100_25
.LBB100_28:
	s_or_b64 exec, exec, s[18:19]
.LBB100_29:
	s_or_b64 exec, exec, s[16:17]
.LBB100_30:
	s_or_b64 exec, exec, s[14:15]
	s_and_saveexec_b64 s[10:11], vcc
	s_cbranch_execz .LBB100_32
; %bb.31:
	v_mov_b32_e32 v4, 0x100
	v_lshl_add_u32 v4, v3, 2, v4
	v_mov_b32_e32 v5, -1
	ds_write_b32 v4, v5 offset:12
.LBB100_32:
	s_or_b64 exec, exec, s[10:11]
	v_add_u32_e32 v74, 3, v3
	v_add_u32_e32 v4, s9, v74
	v_cmp_gt_i32_e64 s[2:3], s41, v4
	s_mov_b64 s[14:15], exec
	v_writelane_b32 v94, s2, 4
	v_writelane_b32 v94, s3, 5
	s_and_b64 s[2:3], s[14:15], s[2:3]
	s_mov_b64 exec, s[2:3]
	s_cbranch_execz .LBB100_40
; %bb.33:
	s_and_saveexec_b64 s[16:17], s[28:29]
	s_cbranch_execz .LBB100_39
; %bb.34:
	v_mul_lo_u32 v4, v74, s47
	v_ashrrev_i32_e32 v5, 31, v4
	v_lshlrev_b64 v[4:5], 2, v[4:5]
	v_mov_b32_e32 v7, s1
	v_add_co_u32_e64 v6, s[10:11], s0, v4
	v_mov_b32_e32 v4, 0x100
	v_addc_co_u32_e64 v7, s[10:11], v7, v5, s[10:11]
	v_lshl_add_u32 v8, v3, 2, v4
	v_mul_lo_u32 v4, v2, s46
	s_lshl_b32 s2, s46, 6
	s_mov_b64 s[18:19], 0
	v_mov_b32_e32 v9, v2
	s_branch .LBB100_36
.LBB100_35:                             ;   in Loop: Header=BB100_36 Depth=1
	s_or_b64 exec, exec, s[20:21]
	v_add_u32_e32 v9, 64, v9
	v_cmp_le_i32_e64 s[12:13], s42, v9
	s_xor_b64 s[10:11], s[10:11], -1
	s_or_b64 s[10:11], s[10:11], s[12:13]
	s_and_b64 s[10:11], exec, s[10:11]
	s_or_b64 s[18:19], s[10:11], s[18:19]
	v_add_u32_e32 v4, s2, v4
	s_andn2_b64 exec, exec, s[18:19]
	s_cbranch_execz .LBB100_38
.LBB100_36:                             ; =>This Inner Loop Header: Depth=1
	v_ashrrev_i32_e32 v5, 31, v4
	v_lshlrev_b64 v[10:11], 2, v[4:5]
	v_add_co_u32_e64 v10, s[10:11], v6, v10
	v_addc_co_u32_e64 v11, s[10:11], v7, v11, s[10:11]
	global_load_dword v5, v[10:11], off
	s_waitcnt vmcnt(0)
	v_cmp_ne_u32_e64 s[10:11], s7, v5
	v_cmp_eq_u32_e64 s[12:13], s7, v5
	s_and_saveexec_b64 s[20:21], s[12:13]
	s_cbranch_execz .LBB100_35
; %bb.37:                               ;   in Loop: Header=BB100_36 Depth=1
	v_mov_b32_e32 v1, 1
	ds_write_b32 v8, v9 offset:12
	s_branch .LBB100_35
.LBB100_38:
	s_or_b64 exec, exec, s[18:19]
.LBB100_39:
	s_or_b64 exec, exec, s[16:17]
.LBB100_40:
	s_or_b64 exec, exec, s[14:15]
	s_and_saveexec_b64 s[10:11], vcc
	s_cbranch_execz .LBB100_42
; %bb.41:
	v_mov_b32_e32 v4, 0x100
	v_lshl_add_u32 v4, v3, 2, v4
	v_mov_b32_e32 v5, -1
	ds_write_b32 v4, v5 offset:16
.LBB100_42:
	s_or_b64 exec, exec, s[10:11]
	v_add_u32_e32 v75, 4, v3
	v_add_u32_e32 v4, s9, v75
	v_cmp_gt_i32_e64 s[2:3], s41, v4
	s_mov_b64 s[14:15], exec
	v_writelane_b32 v94, s2, 6
	v_writelane_b32 v94, s3, 7
	s_and_b64 s[2:3], s[14:15], s[2:3]
	s_mov_b64 exec, s[2:3]
	s_cbranch_execz .LBB100_50
; %bb.43:
	s_and_saveexec_b64 s[16:17], s[28:29]
	s_cbranch_execz .LBB100_49
; %bb.44:
	v_mul_lo_u32 v4, v75, s47
	v_ashrrev_i32_e32 v5, 31, v4
	v_lshlrev_b64 v[4:5], 2, v[4:5]
	v_mov_b32_e32 v7, s1
	v_add_co_u32_e64 v6, s[10:11], s0, v4
	v_mov_b32_e32 v4, 0x100
	v_addc_co_u32_e64 v7, s[10:11], v7, v5, s[10:11]
	v_lshl_add_u32 v8, v3, 2, v4
	v_mul_lo_u32 v4, v2, s46
	s_lshl_b32 s2, s46, 6
	s_mov_b64 s[18:19], 0
	v_mov_b32_e32 v9, v2
	s_branch .LBB100_46
.LBB100_45:                             ;   in Loop: Header=BB100_46 Depth=1
	s_or_b64 exec, exec, s[20:21]
	v_add_u32_e32 v9, 64, v9
	v_cmp_le_i32_e64 s[12:13], s42, v9
	s_xor_b64 s[10:11], s[10:11], -1
	s_or_b64 s[10:11], s[10:11], s[12:13]
	s_and_b64 s[10:11], exec, s[10:11]
	s_or_b64 s[18:19], s[10:11], s[18:19]
	v_add_u32_e32 v4, s2, v4
	s_andn2_b64 exec, exec, s[18:19]
	s_cbranch_execz .LBB100_48
.LBB100_46:                             ; =>This Inner Loop Header: Depth=1
	v_ashrrev_i32_e32 v5, 31, v4
	v_lshlrev_b64 v[10:11], 2, v[4:5]
	v_add_co_u32_e64 v10, s[10:11], v6, v10
	v_addc_co_u32_e64 v11, s[10:11], v7, v11, s[10:11]
	global_load_dword v5, v[10:11], off
	s_waitcnt vmcnt(0)
	v_cmp_ne_u32_e64 s[10:11], s7, v5
	v_cmp_eq_u32_e64 s[12:13], s7, v5
	s_and_saveexec_b64 s[20:21], s[12:13]
	s_cbranch_execz .LBB100_45
; %bb.47:                               ;   in Loop: Header=BB100_46 Depth=1
	v_mov_b32_e32 v1, 1
	ds_write_b32 v8, v9 offset:16
	s_branch .LBB100_45
.LBB100_48:
	s_or_b64 exec, exec, s[18:19]
.LBB100_49:
	s_or_b64 exec, exec, s[16:17]
.LBB100_50:
	s_or_b64 exec, exec, s[14:15]
	s_and_saveexec_b64 s[10:11], vcc
	s_cbranch_execz .LBB100_52
; %bb.51:
	v_mov_b32_e32 v4, 0x100
	v_lshl_add_u32 v4, v3, 2, v4
	v_mov_b32_e32 v5, -1
	ds_write_b32 v4, v5 offset:20
.LBB100_52:
	s_or_b64 exec, exec, s[10:11]
	v_add_u32_e32 v76, 5, v3
	v_add_u32_e32 v4, s9, v76
	v_cmp_gt_i32_e64 s[2:3], s41, v4
	s_mov_b64 s[16:17], exec
	v_writelane_b32 v94, s2, 8
	v_writelane_b32 v94, s3, 9
	s_and_b64 s[2:3], s[16:17], s[2:3]
	s_mov_b64 exec, s[2:3]
	s_cbranch_execz .LBB100_60
; %bb.53:
	s_and_saveexec_b64 s[18:19], s[28:29]
	s_cbranch_execz .LBB100_59
; %bb.54:
	v_mul_lo_u32 v4, v76, s47
	v_ashrrev_i32_e32 v5, 31, v4
	v_lshlrev_b64 v[4:5], 2, v[4:5]
	v_mov_b32_e32 v7, s1
	v_add_co_u32_e64 v6, s[12:13], s0, v4
	v_mov_b32_e32 v4, 0x100
	v_addc_co_u32_e64 v7, s[12:13], v7, v5, s[12:13]
	v_lshl_add_u32 v8, v3, 2, v4
	v_mul_lo_u32 v4, v2, s46
	s_lshl_b32 s2, s46, 6
	s_mov_b64 s[20:21], 0
	v_mov_b32_e32 v9, v2
	s_branch .LBB100_56
.LBB100_55:                             ;   in Loop: Header=BB100_56 Depth=1
	s_or_b64 exec, exec, s[22:23]
	v_add_u32_e32 v9, 64, v9
	v_cmp_le_i32_e64 s[14:15], s42, v9
	s_xor_b64 s[10:11], s[12:13], -1
	s_or_b64 s[10:11], s[10:11], s[14:15]
	s_and_b64 s[10:11], exec, s[10:11]
	s_or_b64 s[20:21], s[10:11], s[20:21]
	v_add_u32_e32 v4, s2, v4
	s_andn2_b64 exec, exec, s[20:21]
	s_cbranch_execz .LBB100_58
.LBB100_56:                             ; =>This Inner Loop Header: Depth=1
	v_ashrrev_i32_e32 v5, 31, v4
	v_lshlrev_b64 v[10:11], 2, v[4:5]
	v_add_co_u32_e64 v10, s[12:13], v6, v10
	v_addc_co_u32_e64 v11, s[12:13], v7, v11, s[12:13]
	global_load_dword v5, v[10:11], off
	s_waitcnt vmcnt(0)
	v_cmp_ne_u32_e64 s[12:13], s7, v5
	v_cmp_eq_u32_e64 s[14:15], s7, v5
	s_and_saveexec_b64 s[22:23], s[14:15]
	s_cbranch_execz .LBB100_55
; %bb.57:                               ;   in Loop: Header=BB100_56 Depth=1
	v_mov_b32_e32 v1, 1
	ds_write_b32 v8, v9 offset:20
	s_branch .LBB100_55
.LBB100_58:
	s_or_b64 exec, exec, s[20:21]
.LBB100_59:
	s_or_b64 exec, exec, s[18:19]
.LBB100_60:
	s_or_b64 exec, exec, s[16:17]
	s_and_saveexec_b64 s[12:13], vcc
	s_cbranch_execz .LBB100_62
; %bb.61:
	v_mov_b32_e32 v4, 0x100
	v_lshl_add_u32 v4, v3, 2, v4
	v_mov_b32_e32 v5, -1
	ds_write_b32 v4, v5 offset:24
.LBB100_62:
	s_or_b64 exec, exec, s[12:13]
	v_add_u32_e32 v77, 6, v3
	v_add_u32_e32 v4, s9, v77
	v_cmp_gt_i32_e64 s[2:3], s41, v4
	s_mov_b64 s[18:19], exec
	v_writelane_b32 v94, s2, 10
	v_writelane_b32 v94, s3, 11
	s_and_b64 s[2:3], s[18:19], s[2:3]
	s_mov_b64 exec, s[2:3]
	s_cbranch_execz .LBB100_70
; %bb.63:
	s_and_saveexec_b64 s[20:21], s[28:29]
	s_cbranch_execz .LBB100_69
; %bb.64:
	v_mul_lo_u32 v4, v77, s47
	v_ashrrev_i32_e32 v5, 31, v4
	v_lshlrev_b64 v[4:5], 2, v[4:5]
	v_mov_b32_e32 v7, s1
	v_add_co_u32_e64 v6, s[14:15], s0, v4
	v_mov_b32_e32 v4, 0x100
	v_addc_co_u32_e64 v7, s[14:15], v7, v5, s[14:15]
	v_lshl_add_u32 v8, v3, 2, v4
	v_mul_lo_u32 v4, v2, s46
	s_lshl_b32 s2, s46, 6
	s_mov_b64 s[22:23], 0
	v_mov_b32_e32 v9, v2
	s_branch .LBB100_66
.LBB100_65:                             ;   in Loop: Header=BB100_66 Depth=1
	s_or_b64 exec, exec, s[24:25]
	v_add_u32_e32 v9, 64, v9
	v_cmp_le_i32_e64 s[16:17], s42, v9
	s_xor_b64 s[10:11], s[14:15], -1
	s_or_b64 s[10:11], s[10:11], s[16:17]
	s_and_b64 s[10:11], exec, s[10:11]
	s_or_b64 s[22:23], s[10:11], s[22:23]
	v_add_u32_e32 v4, s2, v4
	s_andn2_b64 exec, exec, s[22:23]
	s_cbranch_execz .LBB100_68
.LBB100_66:                             ; =>This Inner Loop Header: Depth=1
	v_ashrrev_i32_e32 v5, 31, v4
	v_lshlrev_b64 v[10:11], 2, v[4:5]
	v_add_co_u32_e64 v10, s[14:15], v6, v10
	v_addc_co_u32_e64 v11, s[14:15], v7, v11, s[14:15]
	global_load_dword v5, v[10:11], off
	s_waitcnt vmcnt(0)
	v_cmp_ne_u32_e64 s[14:15], s7, v5
	v_cmp_eq_u32_e64 s[16:17], s7, v5
	s_and_saveexec_b64 s[24:25], s[16:17]
	s_cbranch_execz .LBB100_65
; %bb.67:                               ;   in Loop: Header=BB100_66 Depth=1
	v_mov_b32_e32 v1, 1
	ds_write_b32 v8, v9 offset:24
	s_branch .LBB100_65
.LBB100_68:
	s_or_b64 exec, exec, s[22:23]
.LBB100_69:
	s_or_b64 exec, exec, s[20:21]
.LBB100_70:
	s_or_b64 exec, exec, s[18:19]
	s_and_saveexec_b64 s[14:15], vcc
	s_cbranch_execz .LBB100_72
; %bb.71:
	v_mov_b32_e32 v4, 0x100
	v_lshl_add_u32 v4, v3, 2, v4
	v_mov_b32_e32 v5, -1
	ds_write_b32 v4, v5 offset:28
.LBB100_72:
	s_or_b64 exec, exec, s[14:15]
	v_add_u32_e32 v78, 7, v3
	v_add_u32_e32 v4, s9, v78
	v_cmp_gt_i32_e64 s[2:3], s41, v4
	s_mov_b64 s[20:21], exec
	v_writelane_b32 v94, s2, 12
	v_writelane_b32 v94, s3, 13
	s_and_b64 s[2:3], s[20:21], s[2:3]
	s_mov_b64 exec, s[2:3]
	s_cbranch_execz .LBB100_80
; %bb.73:
	s_and_saveexec_b64 s[22:23], s[28:29]
	s_cbranch_execz .LBB100_79
; %bb.74:
	v_mul_lo_u32 v4, v78, s47
	v_ashrrev_i32_e32 v5, 31, v4
	v_lshlrev_b64 v[4:5], 2, v[4:5]
	v_mov_b32_e32 v7, s1
	v_add_co_u32_e64 v6, s[16:17], s0, v4
	v_mov_b32_e32 v4, 0x100
	v_addc_co_u32_e64 v7, s[16:17], v7, v5, s[16:17]
	v_lshl_add_u32 v8, v3, 2, v4
	v_mul_lo_u32 v4, v2, s46
	s_lshl_b32 s2, s46, 6
	s_mov_b64 s[24:25], 0
	v_mov_b32_e32 v9, v2
	s_branch .LBB100_76
.LBB100_75:                             ;   in Loop: Header=BB100_76 Depth=1
	s_or_b64 exec, exec, s[36:37]
	v_add_u32_e32 v9, 64, v9
	v_cmp_le_i32_e64 s[18:19], s42, v9
	s_xor_b64 s[10:11], s[16:17], -1
	s_or_b64 s[10:11], s[10:11], s[18:19]
	s_and_b64 s[10:11], exec, s[10:11]
	s_or_b64 s[24:25], s[10:11], s[24:25]
	v_add_u32_e32 v4, s2, v4
	s_andn2_b64 exec, exec, s[24:25]
	s_cbranch_execz .LBB100_78
.LBB100_76:                             ; =>This Inner Loop Header: Depth=1
	v_ashrrev_i32_e32 v5, 31, v4
	v_lshlrev_b64 v[10:11], 2, v[4:5]
	v_add_co_u32_e64 v10, s[16:17], v6, v10
	v_addc_co_u32_e64 v11, s[16:17], v7, v11, s[16:17]
	global_load_dword v5, v[10:11], off
	s_waitcnt vmcnt(0)
	v_cmp_ne_u32_e64 s[16:17], s7, v5
	v_cmp_eq_u32_e64 s[18:19], s7, v5
	s_and_saveexec_b64 s[36:37], s[18:19]
	s_cbranch_execz .LBB100_75
; %bb.77:                               ;   in Loop: Header=BB100_76 Depth=1
	v_mov_b32_e32 v1, 1
	ds_write_b32 v8, v9 offset:28
	s_branch .LBB100_75
.LBB100_78:
	s_or_b64 exec, exec, s[24:25]
.LBB100_79:
	s_or_b64 exec, exec, s[22:23]
.LBB100_80:
	s_or_b64 exec, exec, s[20:21]
	s_and_saveexec_b64 s[16:17], vcc
	s_cbranch_execz .LBB100_82
; %bb.81:
	v_mov_b32_e32 v4, 0x100
	v_lshl_add_u32 v4, v3, 2, v4
	v_mov_b32_e32 v5, -1
	ds_write_b32 v4, v5 offset:32
.LBB100_82:
	s_or_b64 exec, exec, s[16:17]
	v_add_u32_e32 v79, 8, v3
	v_add_u32_e32 v4, s9, v79
	v_cmp_gt_i32_e64 s[2:3], s41, v4
	s_mov_b64 s[22:23], exec
	v_writelane_b32 v94, s2, 14
	v_writelane_b32 v94, s3, 15
	s_and_b64 s[2:3], s[22:23], s[2:3]
	s_mov_b64 exec, s[2:3]
	s_cbranch_execz .LBB100_90
; %bb.83:
	s_and_saveexec_b64 s[24:25], s[28:29]
	s_cbranch_execz .LBB100_89
; %bb.84:
	v_mul_lo_u32 v4, v79, s47
	v_ashrrev_i32_e32 v5, 31, v4
	v_lshlrev_b64 v[4:5], 2, v[4:5]
	v_mov_b32_e32 v7, s1
	v_add_co_u32_e64 v6, s[18:19], s0, v4
	v_mov_b32_e32 v4, 0x100
	v_addc_co_u32_e64 v7, s[18:19], v7, v5, s[18:19]
	v_lshl_add_u32 v8, v3, 2, v4
	v_mul_lo_u32 v4, v2, s46
	s_lshl_b32 s2, s46, 6
	s_mov_b64 s[36:37], 0
	v_mov_b32_e32 v9, v2
	s_branch .LBB100_86
.LBB100_85:                             ;   in Loop: Header=BB100_86 Depth=1
	s_or_b64 exec, exec, s[38:39]
	v_add_u32_e32 v9, 64, v9
	v_cmp_le_i32_e64 s[20:21], s42, v9
	s_xor_b64 s[10:11], s[18:19], -1
	s_or_b64 s[10:11], s[10:11], s[20:21]
	s_and_b64 s[10:11], exec, s[10:11]
	s_or_b64 s[36:37], s[10:11], s[36:37]
	v_add_u32_e32 v4, s2, v4
	s_andn2_b64 exec, exec, s[36:37]
	s_cbranch_execz .LBB100_88
.LBB100_86:                             ; =>This Inner Loop Header: Depth=1
	v_ashrrev_i32_e32 v5, 31, v4
	v_lshlrev_b64 v[10:11], 2, v[4:5]
	v_add_co_u32_e64 v10, s[18:19], v6, v10
	v_addc_co_u32_e64 v11, s[18:19], v7, v11, s[18:19]
	global_load_dword v5, v[10:11], off
	s_waitcnt vmcnt(0)
	v_cmp_ne_u32_e64 s[18:19], s7, v5
	v_cmp_eq_u32_e64 s[20:21], s7, v5
	s_and_saveexec_b64 s[38:39], s[20:21]
	s_cbranch_execz .LBB100_85
; %bb.87:                               ;   in Loop: Header=BB100_86 Depth=1
	v_mov_b32_e32 v1, 1
	ds_write_b32 v8, v9 offset:32
	s_branch .LBB100_85
.LBB100_88:
	s_or_b64 exec, exec, s[36:37]
.LBB100_89:
	s_or_b64 exec, exec, s[24:25]
.LBB100_90:
	s_or_b64 exec, exec, s[22:23]
	s_and_saveexec_b64 s[18:19], vcc
	s_cbranch_execz .LBB100_92
; %bb.91:
	v_mov_b32_e32 v4, 0x100
	v_lshl_add_u32 v4, v3, 2, v4
	v_mov_b32_e32 v5, -1
	ds_write_b32 v4, v5 offset:36
.LBB100_92:
	s_or_b64 exec, exec, s[18:19]
	v_add_u32_e32 v80, 9, v3
	v_add_u32_e32 v4, s9, v80
	v_cmp_gt_i32_e64 s[2:3], s41, v4
	s_mov_b64 s[24:25], exec
	v_writelane_b32 v94, s2, 16
	v_writelane_b32 v94, s3, 17
	s_and_b64 s[2:3], s[24:25], s[2:3]
	s_mov_b64 exec, s[2:3]
	s_cbranch_execz .LBB100_100
; %bb.93:
	s_and_saveexec_b64 s[36:37], s[28:29]
	s_cbranch_execz .LBB100_99
; %bb.94:
	v_mul_lo_u32 v4, v80, s47
	v_ashrrev_i32_e32 v5, 31, v4
	v_lshlrev_b64 v[4:5], 2, v[4:5]
	v_mov_b32_e32 v7, s1
	v_add_co_u32_e64 v6, s[20:21], s0, v4
	v_mov_b32_e32 v4, 0x100
	v_addc_co_u32_e64 v7, s[20:21], v7, v5, s[20:21]
	v_lshl_add_u32 v8, v3, 2, v4
	v_mul_lo_u32 v4, v2, s46
	s_lshl_b32 s2, s46, 6
	s_mov_b64 s[38:39], 0
	v_mov_b32_e32 v9, v2
	s_branch .LBB100_96
.LBB100_95:                             ;   in Loop: Header=BB100_96 Depth=1
	s_or_b64 exec, exec, s[54:55]
	v_add_u32_e32 v9, 64, v9
	v_cmp_le_i32_e64 s[22:23], s42, v9
	s_xor_b64 s[10:11], s[20:21], -1
	s_or_b64 s[10:11], s[10:11], s[22:23]
	s_and_b64 s[10:11], exec, s[10:11]
	s_or_b64 s[38:39], s[10:11], s[38:39]
	v_add_u32_e32 v4, s2, v4
	s_andn2_b64 exec, exec, s[38:39]
	s_cbranch_execz .LBB100_98
.LBB100_96:                             ; =>This Inner Loop Header: Depth=1
	v_ashrrev_i32_e32 v5, 31, v4
	v_lshlrev_b64 v[10:11], 2, v[4:5]
	v_add_co_u32_e64 v10, s[20:21], v6, v10
	v_addc_co_u32_e64 v11, s[20:21], v7, v11, s[20:21]
	global_load_dword v5, v[10:11], off
	s_waitcnt vmcnt(0)
	v_cmp_ne_u32_e64 s[20:21], s7, v5
	v_cmp_eq_u32_e64 s[22:23], s7, v5
	s_and_saveexec_b64 s[54:55], s[22:23]
	s_cbranch_execz .LBB100_95
; %bb.97:                               ;   in Loop: Header=BB100_96 Depth=1
	v_mov_b32_e32 v1, 1
	ds_write_b32 v8, v9 offset:36
	s_branch .LBB100_95
.LBB100_98:
	s_or_b64 exec, exec, s[38:39]
.LBB100_99:
	s_or_b64 exec, exec, s[36:37]
.LBB100_100:
	s_or_b64 exec, exec, s[24:25]
	s_and_saveexec_b64 s[20:21], vcc
	s_cbranch_execz .LBB100_102
; %bb.101:
	v_mov_b32_e32 v4, 0x100
	v_lshl_add_u32 v4, v3, 2, v4
	v_mov_b32_e32 v5, -1
	ds_write_b32 v4, v5 offset:40
.LBB100_102:
	s_or_b64 exec, exec, s[20:21]
	v_add_u32_e32 v81, 10, v3
	v_add_u32_e32 v4, s9, v81
	v_cmp_gt_i32_e64 s[2:3], s41, v4
	s_mov_b64 s[36:37], exec
	v_writelane_b32 v94, s2, 18
	v_writelane_b32 v94, s3, 19
	s_and_b64 s[2:3], s[36:37], s[2:3]
	s_mov_b64 exec, s[2:3]
	s_cbranch_execz .LBB100_110
; %bb.103:
	s_and_saveexec_b64 s[38:39], s[28:29]
	s_cbranch_execz .LBB100_109
; %bb.104:
	v_mul_lo_u32 v4, v81, s47
	v_ashrrev_i32_e32 v5, 31, v4
	v_lshlrev_b64 v[4:5], 2, v[4:5]
	v_mov_b32_e32 v7, s1
	v_add_co_u32_e64 v6, s[22:23], s0, v4
	v_mov_b32_e32 v4, 0x100
	v_addc_co_u32_e64 v7, s[22:23], v7, v5, s[22:23]
	v_lshl_add_u32 v8, v3, 2, v4
	v_mul_lo_u32 v4, v2, s46
	s_lshl_b32 s2, s46, 6
	s_mov_b64 s[54:55], 0
	v_mov_b32_e32 v9, v2
	s_branch .LBB100_106
.LBB100_105:                            ;   in Loop: Header=BB100_106 Depth=1
	s_or_b64 exec, exec, s[56:57]
	v_add_u32_e32 v9, 64, v9
	v_cmp_le_i32_e64 s[24:25], s42, v9
	s_xor_b64 s[10:11], s[22:23], -1
	s_or_b64 s[10:11], s[10:11], s[24:25]
	s_and_b64 s[10:11], exec, s[10:11]
	s_or_b64 s[54:55], s[10:11], s[54:55]
	v_add_u32_e32 v4, s2, v4
	s_andn2_b64 exec, exec, s[54:55]
	s_cbranch_execz .LBB100_108
.LBB100_106:                            ; =>This Inner Loop Header: Depth=1
	v_ashrrev_i32_e32 v5, 31, v4
	v_lshlrev_b64 v[10:11], 2, v[4:5]
	v_add_co_u32_e64 v10, s[22:23], v6, v10
	v_addc_co_u32_e64 v11, s[22:23], v7, v11, s[22:23]
	global_load_dword v5, v[10:11], off
	s_waitcnt vmcnt(0)
	v_cmp_ne_u32_e64 s[22:23], s7, v5
	v_cmp_eq_u32_e64 s[24:25], s7, v5
	s_and_saveexec_b64 s[56:57], s[24:25]
	s_cbranch_execz .LBB100_105
; %bb.107:                              ;   in Loop: Header=BB100_106 Depth=1
	v_mov_b32_e32 v1, 1
	ds_write_b32 v8, v9 offset:40
	s_branch .LBB100_105
.LBB100_108:
	s_or_b64 exec, exec, s[54:55]
.LBB100_109:
	s_or_b64 exec, exec, s[38:39]
.LBB100_110:
	s_or_b64 exec, exec, s[36:37]
	s_sub_i32 s2, 0, s27
	s_and_saveexec_b64 s[22:23], vcc
	s_cbranch_execz .LBB100_112
; %bb.111:
	v_mov_b32_e32 v4, 0x100
	v_lshl_add_u32 v4, v3, 2, v4
	v_mov_b32_e32 v5, -1
	ds_write_b32 v4, v5 offset:44
.LBB100_112:
	s_or_b64 exec, exec, s[22:23]
	v_add_u32_e32 v82, 11, v3
	s_mul_i32 s2, s2, s26
	v_add_u32_e32 v4, s9, v82
	v_cmp_gt_i32_e64 s[10:11], s41, v4
	s_mov_b64 s[38:39], exec
	v_writelane_b32 v94, s10, 20
	v_writelane_b32 v94, s11, 21
	s_and_b64 s[10:11], s[38:39], s[10:11]
	s_mov_b64 exec, s[10:11]
	s_cbranch_execz .LBB100_120
; %bb.113:
	s_and_saveexec_b64 s[54:55], s[28:29]
	s_cbranch_execz .LBB100_119
; %bb.114:
	v_mul_lo_u32 v4, v82, s47
	v_ashrrev_i32_e32 v5, 31, v4
	v_lshlrev_b64 v[4:5], 2, v[4:5]
	v_mov_b32_e32 v7, s1
	v_add_co_u32_e64 v6, s[24:25], s0, v4
	v_mov_b32_e32 v4, 0x100
	v_addc_co_u32_e64 v7, s[24:25], v7, v5, s[24:25]
	v_lshl_add_u32 v8, v3, 2, v4
	v_mul_lo_u32 v4, v2, s46
	s_lshl_b32 s3, s46, 6
	s_mov_b64 s[56:57], 0
	v_mov_b32_e32 v9, v2
	s_branch .LBB100_116
.LBB100_115:                            ;   in Loop: Header=BB100_116 Depth=1
	s_or_b64 exec, exec, s[58:59]
	v_add_u32_e32 v9, 64, v9
	v_cmp_le_i32_e64 s[36:37], s42, v9
	s_xor_b64 s[10:11], s[24:25], -1
	s_or_b64 s[10:11], s[10:11], s[36:37]
	s_and_b64 s[10:11], exec, s[10:11]
	s_or_b64 s[56:57], s[10:11], s[56:57]
	v_add_u32_e32 v4, s3, v4
	s_andn2_b64 exec, exec, s[56:57]
	s_cbranch_execz .LBB100_118
.LBB100_116:                            ; =>This Inner Loop Header: Depth=1
	v_ashrrev_i32_e32 v5, 31, v4
	v_lshlrev_b64 v[10:11], 2, v[4:5]
	v_add_co_u32_e64 v10, s[24:25], v6, v10
	v_addc_co_u32_e64 v11, s[24:25], v7, v11, s[24:25]
	global_load_dword v5, v[10:11], off
	s_waitcnt vmcnt(0)
	v_cmp_ne_u32_e64 s[24:25], s7, v5
	v_cmp_eq_u32_e64 s[36:37], s7, v5
	s_and_saveexec_b64 s[58:59], s[36:37]
	s_cbranch_execz .LBB100_115
; %bb.117:                              ;   in Loop: Header=BB100_116 Depth=1
	v_mov_b32_e32 v1, 1
	ds_write_b32 v8, v9 offset:44
	s_branch .LBB100_115
.LBB100_118:
	s_or_b64 exec, exec, s[56:57]
.LBB100_119:
	s_or_b64 exec, exec, s[54:55]
.LBB100_120:
	s_or_b64 exec, exec, s[38:39]
	s_mul_hi_u32 s3, s26, s2
	s_and_saveexec_b64 s[24:25], vcc
	s_cbranch_execz .LBB100_122
; %bb.121:
	v_mov_b32_e32 v4, 0x100
	v_lshl_add_u32 v4, v3, 2, v4
	v_mov_b32_e32 v5, -1
	ds_write_b32 v4, v5 offset:48
.LBB100_122:
	s_or_b64 exec, exec, s[24:25]
	s_load_dwordx4 s[16:19], s[4:5], 0x54
	v_add_u32_e32 v83, 12, v3
	s_abs_i32 s2, s8
	s_add_i32 s26, s26, s3
	v_add_u32_e32 v4, s9, v83
	v_cmp_gt_i32_e64 s[10:11], s41, v4
	s_mov_b64 s[54:55], exec
	v_writelane_b32 v94, s10, 22
	v_writelane_b32 v94, s11, 23
	s_and_b64 s[10:11], s[54:55], s[10:11]
	s_mov_b64 exec, s[10:11]
	s_cbranch_execz .LBB100_130
; %bb.123:
	s_and_saveexec_b64 s[56:57], s[28:29]
	s_cbranch_execz .LBB100_129
; %bb.124:
	v_mul_lo_u32 v4, v83, s47
	v_ashrrev_i32_e32 v5, 31, v4
	v_lshlrev_b64 v[4:5], 2, v[4:5]
	v_mov_b32_e32 v7, s1
	v_add_co_u32_e32 v6, vcc, s0, v4
	v_mov_b32_e32 v4, 0x100
	v_addc_co_u32_e32 v7, vcc, v7, v5, vcc
	v_lshl_add_u32 v8, v3, 2, v4
	v_mul_lo_u32 v4, v2, s46
	s_lshl_b32 s0, s46, 6
	s_mov_b64 s[46:47], 0
	v_mov_b32_e32 v9, v2
	s_branch .LBB100_126
.LBB100_125:                            ;   in Loop: Header=BB100_126 Depth=1
	s_or_b64 exec, exec, s[58:59]
	v_add_u32_e32 v9, 64, v9
	v_cmp_le_i32_e64 s[28:29], s42, v9
	s_xor_b64 s[10:11], vcc, -1
	s_or_b64 s[10:11], s[10:11], s[28:29]
	s_and_b64 s[10:11], exec, s[10:11]
	s_or_b64 s[46:47], s[10:11], s[46:47]
	v_add_u32_e32 v4, s0, v4
	s_andn2_b64 exec, exec, s[46:47]
	s_cbranch_execz .LBB100_128
.LBB100_126:                            ; =>This Inner Loop Header: Depth=1
	v_ashrrev_i32_e32 v5, 31, v4
	v_lshlrev_b64 v[10:11], 2, v[4:5]
	v_add_co_u32_e32 v10, vcc, v6, v10
	v_addc_co_u32_e32 v11, vcc, v7, v11, vcc
	global_load_dword v5, v[10:11], off
	s_waitcnt vmcnt(0)
	v_cmp_ne_u32_e32 vcc, s7, v5
	v_cmp_eq_u32_e64 s[28:29], s7, v5
	s_and_saveexec_b64 s[58:59], s[28:29]
	s_cbranch_execz .LBB100_125
; %bb.127:                              ;   in Loop: Header=BB100_126 Depth=1
	v_mov_b32_e32 v1, 1
	ds_write_b32 v8, v9 offset:48
	s_branch .LBB100_125
.LBB100_128:
	s_or_b64 exec, exec, s[46:47]
.LBB100_129:
	s_or_b64 exec, exec, s[56:57]
.LBB100_130:
	s_or_b64 exec, exec, s[54:55]
	s_load_dwordx2 s[10:11], s[52:53], 0xc
	s_nop 0
	s_load_dwordx4 s[52:55], s[4:5], 0x0
	s_load_dwordx2 s[0:1], s[4:5], 0x18
	v_cmp_ne_u32_e32 vcc, 0, v1
	v_cndmask_b32_e64 v1, 0, 1, vcc
	s_waitcnt lgkmcnt(0)
	s_lshr_b32 s4, s10, 16
	s_and_b32 s3, s10, 0xffff
	v_or_b32_dpp v1, v1, v1 row_shl:1 row_mask:0xf bank_mask:0xf bound_ctrl:1
	v_writelane_b32 v94, s0, 24
	s_mul_i32 s5, s4, s3
	v_or_b32_dpp v1, v1, v1 row_shl:2 row_mask:0xf bank_mask:0xf bound_ctrl:1
	v_writelane_b32 v94, s1, 25
	s_and_b32 s1, s11, 0xffff
	v_or_b32_dpp v1, v1, v1 row_shl:4 row_mask:0xf bank_mask:0xf bound_ctrl:1
	s_bfe_i32 s5, s5, 0x180000
	s_mul_i32 s1, s5, s1
	v_or_b32_dpp v1, v1, v1 row_shl:8 row_mask:0xf bank_mask:0xf bound_ctrl:1
	s_add_i32 s5, s1, 63
	s_bitcmp1_b32 exec_hi, 0
	v_mov_b32_dpp v4, v1 wave_shl:1 row_mask:0xf bank_mask:0xf bound_ctrl:1
	s_mul_hi_u32 s0, s2, s26
	s_nop 0
	v_or_b32_dpp v1, v4, v1 row_mirror row_mask:0xf bank_mask:0xf bound_ctrl:1
	v_readlane_b32 s1, v1, 32
	s_cselect_b32 s1, s1, 0
	v_readlane_b32 s10, v1, 0
	s_or_b32 s1, s1, s10
	s_andn2_b32 s5, s5, 63
	s_cmp_lg_u32 s5, 64
	v_mov_b32_e32 v1, s1
	s_cbranch_scc0 .LBB100_137
; %bb.131:
	v_bfe_u32 v0, v0, 20, 10
	v_mbcnt_lo_u32_b32 v1, -1, 0
	v_mad_u32_u24 v0, v0, s4, v3
	v_mbcnt_hi_u32_b32 v4, -1, v1
	v_mad_u64_u32 v[0:1], s[4:5], v0, s3, v[2:3]
	v_lshrrev_b32_e32 v1, 6, v0
	v_or_b32_e32 v1, v4, v1
	v_cmp_eq_u32_e32 vcc, 0, v1
	s_and_saveexec_b64 s[4:5], vcc
	s_cbranch_execz .LBB100_133
; %bb.132:
	v_mov_b32_e32 v1, 0
	v_mov_b32_e32 v5, s1
	ds_write_b32 v1, v5
.LBB100_133:
	s_or_b64 exec, exec, s[4:5]
	v_cmp_eq_u32_e32 vcc, 0, v4
	v_cmp_lt_u32_e64 s[4:5], 63, v0
	s_and_b64 s[10:11], s[4:5], vcc
	s_waitcnt lgkmcnt(0)
	; wave barrier
	s_waitcnt lgkmcnt(0)
	s_and_saveexec_b64 s[4:5], s[10:11]
	s_cbranch_execz .LBB100_136
; %bb.134:
	v_mbcnt_lo_u32_b32 v0, exec_lo, 0
	v_mbcnt_hi_u32_b32 v0, exec_hi, v0
	v_cmp_eq_u32_e32 vcc, 0, v0
	s_and_b64 exec, exec, vcc
	s_cbranch_execz .LBB100_136
; %bb.135:
	v_mov_b32_e32 v0, 0
	v_mov_b32_e32 v1, s1
	ds_or_b32 v0, v1
.LBB100_136:
	s_or_b64 exec, exec, s[4:5]
	v_mov_b32_e32 v0, 0
	s_waitcnt lgkmcnt(0)
	; wave barrier
	s_waitcnt lgkmcnt(0)
	ds_read_b32 v1, v0
	s_waitcnt lgkmcnt(0)
	; wave barrier
	s_waitcnt lgkmcnt(0)
.LBB100_137:
	v_cmp_ne_u32_e32 vcc, 0, v1
	s_ashr_i32 s1, s8, 31
	s_ashr_i32 s3, s51, 31
	s_cbranch_vccz .LBB100_235
; %bb.138:
	v_lshlrev_b32_e32 v84, 6, v3
	v_add_u32_e32 v85, v84, v2
	v_cmp_le_i32_e32 vcc, s40, v85
	v_and_b32_e32 v0, 15, v2
                                        ; implicit-def: $sgpr10
                                        ; implicit-def: $vgpr86
	s_and_saveexec_b64 s[4:5], vcc
	s_xor_b64 s[4:5], exec, s[4:5]
; %bb.139:
	v_mul_u32_u24_e32 v86, 0x108, v0
	s_mov_b32 s10, 0
                                        ; implicit-def: $vgpr85
                                        ; implicit-def: $vgpr0
; %bb.140:
	s_or_saveexec_b64 s[4:5], s[4:5]
	s_lshl_b32 s6, s6, 6
	v_accvgpr_write_b32 a8, s10
	v_accvgpr_write_b32 a9, s10
	;; [unrolled: 1-line block ×16, first 2 shown]
	v_writelane_b32 v94, s4, 26
	v_writelane_b32 v94, s5, 27
	s_xor_b64 exec, exec, s[4:5]
	s_cbranch_execz .LBB100_183
; %bb.141:
	s_xor_b32 s1, s1, s3
	s_mul_i32 s3, s0, s27
	s_sub_i32 s2, s2, s3
	s_add_i32 s3, s0, 1
	s_sub_i32 s4, s2, s27
	s_cmp_ge_u32 s2, s27
	s_cselect_b32 s0, s3, s0
	s_cselect_b32 s2, s4, s2
	s_add_i32 s3, s0, 1
	s_cmp_ge_u32 s2, s27
	s_cselect_b32 s0, s3, s0
	s_xor_b32 s0, s0, s1
	s_sub_i32 s0, s0, s1
	s_mul_hi_i32 s1, s0, s16
	s_mul_i32 s0, s0, s16
	s_mul_i32 s2, s7, s48
	v_writelane_b32 v94, s30, 28
	s_ashr_i32 s3, s2, 31
	s_lshl_b64 s[0:1], s[0:1], 2
	v_writelane_b32 v94, s31, 29
	s_add_u32 s5, s52, s0
	v_writelane_b32 v94, s6, 30
	s_mul_i32 s4, s6, s43
	s_addc_u32 s6, s53, s1
	s_lshl_b64 s[2:3], s[2:3], 2
	s_add_u32 s7, s5, s2
	s_addc_u32 s6, s6, s3
	s_ashr_i32 s5, s4, 31
	s_lshl_b64 s[4:5], s[4:5], 2
	s_add_u32 s39, s7, s4
	s_addc_u32 s12, s6, s5
	s_movk_i32 s6, 0x1080
	v_mov_b32_e32 v87, 0x100
	v_writelane_b32 v94, s8, 31
	v_mad_u32_u24 v1, v3, s6, v87
	s_mul_hi_i32 s7, s17, s8
	v_writelane_b32 v94, s16, 32
	s_mul_i32 s6, s17, s8
	s_mul_hi_i32 s11, s44, s9
	s_mul_i32 s10, s44, s9
	s_lshl_b64 s[10:11], s[10:11], 3
	s_lshl_b64 s[6:7], s[6:7], 2
	s_add_u32 s6, s54, s6
	s_addc_u32 s7, s55, s7
	s_add_u32 s48, s6, s10
	s_addc_u32 s51, s7, s11
	s_cmp_lt_i32 s9, s41
	s_cselect_b64 s[6:7], -1, 0
	s_add_i32 s10, s9, 1
	s_cmp_lt_i32 s10, s41
	s_cselect_b64 s[36:37], -1, 0
	s_add_i32 s10, s9, 2
	s_cmp_lt_i32 s10, s41
	s_cselect_b64 s[46:47], -1, 0
	s_lshl_b32 s8, s44, 2
	s_add_i32 s10, s9, 3
	v_writelane_b32 v94, s17, 33
	s_cmp_lt_i32 s10, s41
	v_writelane_b32 v94, s18, 34
	s_cselect_b64 s[54:55], -1, 0
	s_add_i32 s10, s9, 4
	v_writelane_b32 v94, s19, 35
	s_cmp_lt_i32 s10, s41
	v_writelane_b32 v94, s8, 36
	s_cselect_b64 s[56:57], -1, 0
	s_lshl_b32 s8, s44, 3
	s_add_i32 s10, s9, 5
	s_cmp_lt_i32 s10, s41
	s_cselect_b64 s[58:59], -1, 0
	s_add_i32 s10, s9, 6
	s_cmp_lt_i32 s10, s41
	s_cselect_b64 s[60:61], -1, 0
	;; [unrolled: 3-line block ×3, first 2 shown]
	s_add_i32 s10, s9, 8
	v_writelane_b32 v94, s8, 37
	s_mul_i32 s8, s44, 6
	s_cmp_lt_i32 s10, s41
	v_writelane_b32 v94, s8, 38
	s_cselect_b64 s[64:65], -1, 0
	s_lshl_b32 s8, s44, 4
	s_add_i32 s10, s9, 9
	s_cmp_lt_i32 s10, s41
	s_cselect_b64 s[66:67], -1, 0
	s_add_i32 s10, s9, 10
	s_cmp_lt_i32 s10, s41
	s_cselect_b64 s[68:69], -1, 0
	;; [unrolled: 3-line block ×4, first 2 shown]
	s_ashr_i32 s11, s43, 31
	s_mov_b32 s10, s43
	s_lshl_b64 s[74:75], s[10:11], 2
	s_add_u32 s0, s0, s4
	v_mul_u32_u24_e32 v86, 0x108, v0
	v_lshrrev_b32_e32 v0, 1, v2
	s_addc_u32 s1, s1, s5
	v_and_b32_e32 v0, 0x1f8, v0
	s_add_u32 s0, s0, s2
	v_add3_u32 v89, v1, v86, v0
	v_writelane_b32 v94, s8, 39
	s_mul_i32 s8, s44, 10
	v_lshlrev_b32_e32 v0, 1, v2
	s_addc_u32 s1, s1, s3
	v_writelane_b32 v94, s8, 40
	s_mul_i32 s8, s44, 12
	v_lshl_add_u32 v90, v3, 7, v0
	v_lshlrev_b32_e32 v0, 2, v85
	s_add_u32 s0, s52, s0
	v_writelane_b32 v94, s8, 41
	v_add_co_u32_e32 v0, vcc, s0, v0
	s_mul_i32 s0, s44, 24
	v_writelane_b32 v94, s0, 42
	s_mul_i32 s0, s44, 22
	v_writelane_b32 v94, s0, 43
	;; [unrolled: 2-line block ×4, first 2 shown]
	s_mul_i32 s0, s44, 14
	s_addc_u32 s1, s53, s1
	v_writelane_b32 v94, s0, 46
	s_lshl_b32 s0, s44, 1
	v_writelane_b32 v94, s0, 47
	s_mul_i32 s0, s43, 3
	v_writelane_b32 v94, s0, 48
	s_mul_i32 s0, s43, 5
	;; [unrolled: 2-line block ×3, first 2 shown]
	v_lshl_add_u32 v88, v2, 2, v1
	v_mov_b32_e32 v1, s1
	v_writelane_b32 v94, s0, 50
	s_mul_i32 s0, s43, 7
	v_addc_co_u32_e32 v1, vcc, 0, v1, vcc
	s_lshl_b32 s84, s43, 1
	s_lshl_b32 s86, s43, 2
	v_writelane_b32 v94, s0, 51
	s_lshl_b32 s90, s43, 3
	s_mul_i32 s91, s43, 9
	s_mul_i32 s92, s43, 10
	;; [unrolled: 1-line block ×7, first 2 shown]
	s_lshl_b32 s0, s43, 4
	v_mov_b32_e32 v91, s12
	s_mul_i32 s1, s43, 17
	v_mov_b32_e32 v92, 0
	v_accvgpr_write_b32 a15, 0
	v_accvgpr_write_b32 a14, 0
	;; [unrolled: 1-line block ×16, first 2 shown]
	v_mov_b32_e32 v93, s75
	s_mul_i32 s75, s43, 18
	s_mul_i32 s2, s43, 19
	;; [unrolled: 1-line block ×14, first 2 shown]
	s_lshl_b32 s13, s43, 5
	s_mul_i32 s14, s43, 33
	s_mul_i32 s15, s43, 34
	;; [unrolled: 1-line block ×31, first 2 shown]
	s_mov_b64 s[42:43], 0
	s_branch .LBB100_143
.LBB100_142:                            ;   in Loop: Header=BB100_143 Depth=1
	s_waitcnt vmcnt(0)
	v_cvt_f16_f32_e32 v68, v68
	v_cvt_f16_f32_e32 v69, v69
	v_add_u32_e32 v70, 0xc00, v88
	ds_write2_b32 v70, v92, v92 offset0:172 offset1:238
	v_add_co_u32_e32 v0, vcc, 0x100, v0
	v_pack_b32_f16 v68, v68, v69
	ds_write2_b32 v70, v68, v92 offset0:40 offset1:106
	ds_read2_b64 v[68:71], v89 offset0:8 offset1:12
	v_add_u32_e32 v85, 64, v85
	v_addc_co_u32_e32 v1, vcc, 0, v1, vcc
	s_waitcnt lgkmcnt(0)
	v_mfma_f32_16x16x16f16 a[12:15], v[18:19], v[68:69], a[12:15]
	v_cmp_le_i32_e32 vcc, s40, v85
	v_add_u32_e32 v90, 0x80, v90
	s_or_b64 s[42:43], vcc, s[42:43]
	v_mfma_f32_16x16x16f16 a[4:7], v[36:37], v[68:69], a[4:7]
	v_mfma_f32_16x16x16f16 a[0:3], v[50:51], v[68:69], a[0:3]
	;; [unrolled: 1-line block ×4, first 2 shown]
	ds_read2_b64 v[16:19], v89 offset0:16 offset1:20
	v_mfma_f32_16x16x16f16 a[4:7], v[34:35], v[70:71], a[4:7]
	v_mfma_f32_16x16x16f16 a[0:3], v[48:49], v[70:71], a[0:3]
	;; [unrolled: 1-line block ×3, first 2 shown]
	s_waitcnt lgkmcnt(0)
	v_mfma_f32_16x16x16f16 a[12:15], v[12:13], v[16:17], a[12:15]
	v_mfma_f32_16x16x16f16 a[4:7], v[30:31], v[16:17], a[4:7]
	v_mfma_f32_16x16x16f16 a[0:3], v[46:47], v[16:17], a[0:3]
	v_mfma_f32_16x16x16f16 a[8:11], v[60:61], v[16:17], a[8:11]
	v_mfma_f32_16x16x16f16 a[12:15], v[8:9], v[18:19], a[12:15]
	v_mfma_f32_16x16x16f16 a[4:7], v[28:29], v[18:19], a[4:7]
	v_mfma_f32_16x16x16f16 a[0:3], v[44:45], v[18:19], a[0:3]
	v_mfma_f32_16x16x16f16 a[8:11], v[56:57], v[18:19], a[8:11]
	ds_read2_b64 v[16:19], v89 offset0:24 offset1:28
	s_waitcnt lgkmcnt(0)
	v_mfma_f32_16x16x16f16 a[12:15], v[14:15], v[16:17], a[12:15]
	v_mfma_f32_16x16x16f16 a[4:7], v[26:27], v[16:17], a[4:7]
	;; [unrolled: 1-line block ×5, first 2 shown]
	ds_read2_b64 v[8:11], v89 offset0:32 offset1:36
	v_mfma_f32_16x16x16f16 a[4:7], v[24:25], v[18:19], a[4:7]
	v_mfma_f32_16x16x16f16 a[0:3], v[40:41], v[18:19], a[0:3]
	;; [unrolled: 1-line block ×3, first 2 shown]
	s_waitcnt lgkmcnt(0)
	v_mfma_f32_16x16x16f16 a[12:15], v[6:7], v[8:9], a[12:15]
	v_mfma_f32_16x16x16f16 a[4:7], v[22:23], v[8:9], a[4:7]
	;; [unrolled: 1-line block ×8, first 2 shown]
	s_andn2_b64 exec, exec, s[42:43]
	s_cbranch_execz .LBB100_182
.LBB100_143:                            ; =>This Inner Loop Header: Depth=1
	v_add_co_u32_e32 v4, vcc, s74, v0
	v_addc_co_u32_e32 v5, vcc, v1, v93, vcc
	global_load_dword v20, v[0:1], off
	global_load_dword v21, v[4:5], off
	v_add_u32_e32 v4, s84, v85
	v_ashrrev_i32_e32 v5, 31, v4
	v_lshlrev_b64 v[4:5], 2, v[4:5]
	v_add_co_u32_e32 v4, vcc, s39, v4
	v_addc_co_u32_e32 v5, vcc, v91, v5, vcc
	v_readlane_b32 vcc_lo, v94, 48
	v_add_u32_e32 v6, vcc_lo, v85
	v_ashrrev_i32_e32 v7, 31, v6
	v_lshlrev_b64 v[6:7], 2, v[6:7]
	v_add_u32_e32 v8, s86, v85
	v_add_co_u32_e32 v6, vcc, s39, v6
	v_ashrrev_i32_e32 v9, 31, v8
	v_addc_co_u32_e32 v7, vcc, v91, v7, vcc
	v_lshlrev_b64 v[8:9], 2, v[8:9]
	v_add_co_u32_e32 v8, vcc, s39, v8
	v_addc_co_u32_e32 v9, vcc, v91, v9, vcc
	v_readlane_b32 vcc_lo, v94, 49
	v_add_u32_e32 v10, vcc_lo, v85
	v_ashrrev_i32_e32 v11, 31, v10
	v_lshlrev_b64 v[10:11], 2, v[10:11]
	v_add_co_u32_e32 v10, vcc, s39, v10
	v_addc_co_u32_e32 v11, vcc, v91, v11, vcc
	v_readlane_b32 vcc_lo, v94, 50
	v_add_u32_e32 v12, vcc_lo, v85
	v_ashrrev_i32_e32 v13, 31, v12
	v_lshlrev_b64 v[12:13], 2, v[12:13]
	v_add_co_u32_e32 v12, vcc, s39, v12
	v_addc_co_u32_e32 v13, vcc, v91, v13, vcc
	v_readlane_b32 vcc_lo, v94, 51
	v_add_u32_e32 v14, vcc_lo, v85
	v_ashrrev_i32_e32 v15, 31, v14
	v_lshlrev_b64 v[14:15], 2, v[14:15]
	v_add_u32_e32 v16, s90, v85
	v_add_co_u32_e32 v14, vcc, s39, v14
	v_ashrrev_i32_e32 v17, 31, v16
	v_addc_co_u32_e32 v15, vcc, v91, v15, vcc
	v_lshlrev_b64 v[16:17], 2, v[16:17]
	v_add_u32_e32 v18, s91, v85
	v_add_co_u32_e32 v16, vcc, s39, v16
	v_ashrrev_i32_e32 v19, 31, v18
	v_addc_co_u32_e32 v17, vcc, v91, v17, vcc
	v_lshlrev_b64 v[18:19], 2, v[18:19]
	v_add_co_u32_e32 v18, vcc, s39, v18
	v_addc_co_u32_e32 v19, vcc, v91, v19, vcc
	global_load_dword v22, v[4:5], off
	global_load_dword v23, v[6:7], off
	;; [unrolled: 1-line block ×6, first 2 shown]
	s_nop 0
	global_load_dword v16, v[16:17], off
	s_nop 0
	global_load_dword v17, v[18:19], off
	v_add_u32_e32 v4, s92, v85
	v_ashrrev_i32_e32 v5, 31, v4
	v_lshlrev_b64 v[4:5], 2, v[4:5]
	v_add_u32_e32 v6, s93, v85
	v_add_co_u32_e32 v4, vcc, s39, v4
	v_ashrrev_i32_e32 v7, 31, v6
	v_addc_co_u32_e32 v5, vcc, v91, v5, vcc
	v_lshlrev_b64 v[6:7], 2, v[6:7]
	v_add_u32_e32 v8, s94, v85
	v_add_co_u32_e32 v6, vcc, s39, v6
	v_ashrrev_i32_e32 v9, 31, v8
	v_addc_co_u32_e32 v7, vcc, v91, v7, vcc
	v_lshlrev_b64 v[8:9], 2, v[8:9]
	v_add_u32_e32 v10, s95, v85
	v_add_co_u32_e32 v8, vcc, s39, v8
	v_ashrrev_i32_e32 v11, 31, v10
	v_addc_co_u32_e32 v9, vcc, v91, v9, vcc
	v_lshlrev_b64 v[10:11], 2, v[10:11]
	v_add_u32_e32 v12, s28, v85
	v_add_co_u32_e32 v10, vcc, s39, v10
	v_ashrrev_i32_e32 v13, 31, v12
	v_addc_co_u32_e32 v11, vcc, v91, v11, vcc
	v_lshlrev_b64 v[12:13], 2, v[12:13]
	v_add_u32_e32 v14, s29, v85
	v_add_co_u32_e32 v12, vcc, s39, v12
	v_ashrrev_i32_e32 v15, 31, v14
	v_addc_co_u32_e32 v13, vcc, v91, v13, vcc
	v_lshlrev_b64 v[14:15], 2, v[14:15]
	v_add_co_u32_e32 v14, vcc, s39, v14
	v_addc_co_u32_e32 v15, vcc, v91, v15, vcc
	global_load_dword v18, v[4:5], off
	global_load_dword v19, v[6:7], off
	s_nop 0
	global_load_dword v8, v[8:9], off
	s_nop 0
	;; [unrolled: 2-line block ×3, first 2 shown]
	global_load_dword v10, v[12:13], off
	global_load_dword v11, v[14:15], off
	v_add_u32_e32 v4, s0, v85
	v_ashrrev_i32_e32 v5, 31, v4
	v_lshlrev_b64 v[4:5], 2, v[4:5]
	v_add_u32_e32 v6, s1, v85
	v_add_co_u32_e32 v4, vcc, s39, v4
	v_ashrrev_i32_e32 v7, 31, v6
	v_addc_co_u32_e32 v5, vcc, v91, v5, vcc
	v_lshlrev_b64 v[6:7], 2, v[6:7]
	s_waitcnt vmcnt(15)
	ds_write_b32 v88, v20 offset:64
	s_waitcnt vmcnt(14)
	ds_write_b32 v88, v21 offset:328
	;; [unrolled: 2-line block ×10, first 2 shown]
	v_add_co_u32_e32 v6, vcc, s39, v6
	v_addc_co_u32_e32 v7, vcc, v91, v7, vcc
	global_load_dword v20, v[4:5], off
	global_load_dword v21, v[6:7], off
	v_add_u32_e32 v4, s75, v85
	v_ashrrev_i32_e32 v5, 31, v4
	v_lshlrev_b64 v[4:5], 2, v[4:5]
	v_add_u32_e32 v6, s2, v85
	v_add_co_u32_e32 v4, vcc, s39, v4
	v_ashrrev_i32_e32 v7, 31, v6
	s_waitcnt vmcnt(7)
	ds_write_b32 v88, v18 offset:2704
	s_waitcnt vmcnt(6)
	ds_write_b32 v88, v19 offset:2968
	;; [unrolled: 2-line block ×6, first 2 shown]
	v_addc_co_u32_e32 v5, vcc, v91, v5, vcc
	v_lshlrev_b64 v[6:7], 2, v[6:7]
	v_add_u32_e32 v8, s3, v85
	v_add_co_u32_e32 v6, vcc, s39, v6
	v_ashrrev_i32_e32 v9, 31, v8
	v_addc_co_u32_e32 v7, vcc, v91, v7, vcc
	v_lshlrev_b64 v[8:9], 2, v[8:9]
	v_add_u32_e32 v10, s33, v85
	v_add_co_u32_e32 v8, vcc, s39, v8
	v_ashrrev_i32_e32 v11, 31, v10
	v_addc_co_u32_e32 v9, vcc, v91, v9, vcc
	v_lshlrev_b64 v[10:11], 2, v[10:11]
	v_add_u32_e32 v12, s38, v85
	v_add_co_u32_e32 v10, vcc, s39, v10
	v_ashrrev_i32_e32 v13, 31, v12
	v_addc_co_u32_e32 v11, vcc, v91, v11, vcc
	v_lshlrev_b64 v[12:13], 2, v[12:13]
	v_add_u32_e32 v14, s26, v85
	v_add_co_u32_e32 v12, vcc, s39, v12
	v_ashrrev_i32_e32 v15, 31, v14
	v_addc_co_u32_e32 v13, vcc, v91, v13, vcc
	v_lshlrev_b64 v[14:15], 2, v[14:15]
	v_add_u32_e32 v16, s27, v85
	v_add_co_u32_e32 v14, vcc, s39, v14
	v_ashrrev_i32_e32 v17, 31, v16
	v_addc_co_u32_e32 v15, vcc, v91, v15, vcc
	v_lshlrev_b64 v[16:17], 2, v[16:17]
	v_add_u32_e32 v18, s34, v85
	v_add_co_u32_e32 v16, vcc, s39, v16
	v_ashrrev_i32_e32 v19, 31, v18
	v_addc_co_u32_e32 v17, vcc, v91, v17, vcc
	v_lshlrev_b64 v[18:19], 2, v[18:19]
	v_add_co_u32_e32 v18, vcc, s39, v18
	v_addc_co_u32_e32 v19, vcc, v91, v19, vcc
	global_load_dword v26, v[4:5], off
	global_load_dword v27, v[6:7], off
	global_load_dword v28, v[8:9], off
	global_load_dword v29, v[10:11], off
	global_load_dword v30, v[12:13], off
	global_load_dword v31, v[14:15], off
	global_load_dword v32, v[16:17], off
	global_load_dword v33, v[18:19], off
	v_add_u32_e32 v4, s35, v85
	v_ashrrev_i32_e32 v5, 31, v4
	v_lshlrev_b64 v[4:5], 2, v[4:5]
	v_add_u32_e32 v6, s30, v85
	v_add_co_u32_e32 v4, vcc, s39, v4
	v_ashrrev_i32_e32 v7, 31, v6
	v_addc_co_u32_e32 v5, vcc, v91, v5, vcc
	v_lshlrev_b64 v[6:7], 2, v[6:7]
	v_add_u32_e32 v8, s31, v85
	v_add_co_u32_e32 v6, vcc, s39, v6
	v_ashrrev_i32_e32 v9, 31, v8
	v_addc_co_u32_e32 v7, vcc, v91, v7, vcc
	v_lshlrev_b64 v[8:9], 2, v[8:9]
	v_add_u32_e32 v10, s10, v85
	v_add_co_u32_e32 v8, vcc, s39, v8
	v_ashrrev_i32_e32 v11, 31, v10
	v_addc_co_u32_e32 v9, vcc, v91, v9, vcc
	v_lshlrev_b64 v[10:11], 2, v[10:11]
	v_add_u32_e32 v12, s11, v85
	v_add_co_u32_e32 v10, vcc, s39, v10
	v_ashrrev_i32_e32 v13, 31, v12
	v_addc_co_u32_e32 v11, vcc, v91, v11, vcc
	v_lshlrev_b64 v[12:13], 2, v[12:13]
	v_add_u32_e32 v14, s12, v85
	v_add_co_u32_e32 v12, vcc, s39, v12
	v_ashrrev_i32_e32 v15, 31, v14
	v_addc_co_u32_e32 v13, vcc, v91, v13, vcc
	v_lshlrev_b64 v[14:15], 2, v[14:15]
	v_add_u32_e32 v16, s13, v85
	v_add_co_u32_e32 v14, vcc, s39, v14
	v_ashrrev_i32_e32 v17, 31, v16
	v_addc_co_u32_e32 v15, vcc, v91, v15, vcc
	v_lshlrev_b64 v[16:17], 2, v[16:17]
	v_add_u32_e32 v18, s14, v85
	v_add_co_u32_e32 v16, vcc, s39, v16
	v_ashrrev_i32_e32 v19, 31, v18
	v_addc_co_u32_e32 v17, vcc, v91, v17, vcc
	v_lshlrev_b64 v[18:19], 2, v[18:19]
	v_add_co_u32_e32 v18, vcc, s39, v18
	v_addc_co_u32_e32 v19, vcc, v91, v19, vcc
	global_load_dword v34, v[4:5], off
	global_load_dword v35, v[6:7], off
	global_load_dword v36, v[8:9], off
	global_load_dword v37, v[10:11], off
	global_load_dword v38, v[12:13], off
	global_load_dword v39, v[14:15], off
	global_load_dword v40, v[16:17], off
	global_load_dword v41, v[18:19], off
	v_add_u32_e32 v4, s15, v85
	v_ashrrev_i32_e32 v5, 31, v4
	v_lshlrev_b64 v[4:5], 2, v[4:5]
	v_add_u32_e32 v6, s16, v85
	v_add_co_u32_e32 v4, vcc, s39, v4
	v_ashrrev_i32_e32 v7, 31, v6
	;; [unrolled: 48-line block ×5, first 2 shown]
	v_addc_co_u32_e32 v5, vcc, v91, v5, vcc
	v_lshlrev_b64 v[6:7], 2, v[6:7]
	v_add_u32_e32 v8, s85, v85
	v_add_co_u32_e32 v6, vcc, s39, v6
	v_ashrrev_i32_e32 v9, 31, v8
	v_addc_co_u32_e32 v7, vcc, v91, v7, vcc
	v_lshlrev_b64 v[8:9], 2, v[8:9]
	v_add_co_u32_e32 v10, vcc, s39, v8
	v_add_u32_e32 v8, s87, v85
	v_addc_co_u32_e32 v11, vcc, v91, v9, vcc
	v_ashrrev_i32_e32 v9, 31, v8
	v_lshlrev_b64 v[8:9], 2, v[8:9]
	v_add_co_u32_e32 v14, vcc, s39, v8
	v_add_u32_e32 v8, s88, v85
	v_addc_co_u32_e32 v15, vcc, v91, v9, vcc
	v_ashrrev_i32_e32 v9, 31, v8
	;; [unrolled: 5-line block ×3, first 2 shown]
	v_lshlrev_b64 v[8:9], 2, v[8:9]
	v_add_co_u32_e32 v24, vcc, s39, v8
	v_addc_co_u32_e32 v25, vcc, v91, v9, vcc
	ds_read_b64 v[18:19], v89 offset:64
	ds_read_b64 v[16:17], v89 offset:96
	;; [unrolled: 1-line block ×4, first 2 shown]
	global_load_dword v66, v[4:5], off
	global_load_dword v67, v[6:7], off
	;; [unrolled: 1-line block ×6, first 2 shown]
	ds_read_b64 v[14:15], v89 offset:192
	ds_read_b64 v[10:11], v89 offset:224
	ds_read_b64 v[6:7], v89 offset:256
	ds_read_b64 v[4:5], v89 offset:288
	s_waitcnt vmcnt(47)
	ds_write_b32 v88, v20 offset:64
	s_waitcnt vmcnt(46)
	ds_write_b32 v88, v21 offset:328
	s_waitcnt vmcnt(45)
	ds_write_b32 v88, v26 offset:592
	s_waitcnt vmcnt(44)
	ds_write_b32 v88, v27 offset:856
	s_waitcnt vmcnt(43)
	ds_write_b32 v88, v28 offset:1120
	s_waitcnt vmcnt(42)
	ds_write_b32 v88, v29 offset:1384
	s_waitcnt vmcnt(41)
	ds_write_b32 v88, v30 offset:1648
	s_waitcnt vmcnt(40)
	ds_write_b32 v88, v31 offset:1912
	s_waitcnt vmcnt(39)
	ds_write_b32 v88, v32 offset:2176
	s_waitcnt vmcnt(38)
	ds_write_b32 v88, v33 offset:2440
	s_waitcnt vmcnt(37)
	ds_write_b32 v88, v34 offset:2704
	s_waitcnt vmcnt(36)
	ds_write_b32 v88, v35 offset:2968
	s_waitcnt vmcnt(35)
	ds_write_b32 v88, v36 offset:3232
	s_waitcnt vmcnt(34)
	ds_write_b32 v88, v37 offset:3496
	s_waitcnt vmcnt(33)
	ds_write_b32 v88, v38 offset:3760
	s_waitcnt vmcnt(32)
	ds_write_b32 v88, v39 offset:4024
	ds_read_b64 v[36:37], v89 offset:64
	ds_read_b64 v[34:35], v89 offset:96
	ds_read_b64 v[30:31], v89 offset:128
	ds_read_b64 v[28:29], v89 offset:160
	ds_read_b64 v[26:27], v89 offset:192
	ds_read_b64 v[24:25], v89 offset:224
	ds_read_b64 v[22:23], v89 offset:256
	ds_read_b64 v[20:21], v89 offset:288
	s_waitcnt vmcnt(31)
	ds_write_b32 v88, v40 offset:64
	s_waitcnt vmcnt(30)
	ds_write_b32 v88, v41 offset:328
	s_waitcnt vmcnt(29)
	ds_write_b32 v88, v42 offset:592
	s_waitcnt vmcnt(28)
	ds_write_b32 v88, v43 offset:856
	s_waitcnt vmcnt(27)
	ds_write_b32 v88, v44 offset:1120
	s_waitcnt vmcnt(26)
	ds_write_b32 v88, v45 offset:1384
	s_waitcnt vmcnt(25)
	ds_write_b32 v88, v46 offset:1648
	s_waitcnt vmcnt(24)
	ds_write_b32 v88, v47 offset:1912
	s_waitcnt vmcnt(23)
	ds_write_b32 v88, v48 offset:2176
	s_waitcnt vmcnt(22)
	ds_write_b32 v88, v49 offset:2440
	s_waitcnt vmcnt(21)
	ds_write_b32 v88, v50 offset:2704
	s_waitcnt vmcnt(20)
	ds_write_b32 v88, v51 offset:2968
	s_waitcnt vmcnt(19)
	ds_write_b32 v88, v52 offset:3232
	s_waitcnt vmcnt(18)
	ds_write_b32 v88, v53 offset:3496
	s_waitcnt vmcnt(17)
	ds_write_b32 v88, v54 offset:3760
	s_waitcnt vmcnt(16)
	ds_write_b32 v88, v55 offset:4024
	ds_read_b64 v[50:51], v89 offset:64
	ds_read_b64 v[48:49], v89 offset:96
	ds_read_b64 v[46:47], v89 offset:128
	ds_read_b64 v[44:45], v89 offset:160
	;; [unrolled: 40-line block ×3, first 2 shown]
	ds_read_b64 v[62:63], v89 offset:192
	ds_read_b64 v[58:59], v89 offset:224
	;; [unrolled: 1-line block ×4, first 2 shown]
	s_andn2_b64 vcc, exec, s[6:7]
	v_mov_b32_e32 v68, 0
	v_mov_b32_e32 v69, 0
	s_cbranch_vccnz .LBB100_146
; %bb.144:                              ;   in Loop: Header=BB100_143 Depth=1
	ds_read_b32 v70, v87
	v_mov_b32_e32 v69, 0
	v_mov_b32_e32 v68, 0
	s_waitcnt lgkmcnt(0)
	v_cmp_gt_i32_e32 vcc, 0, v70
	s_cbranch_vccnz .LBB100_146
; %bb.145:                              ;   in Loop: Header=BB100_143 Depth=1
	v_mul_lo_u32 v68, v70, s49
	v_add_u32_e32 v68, v90, v68
	v_ashrrev_i32_e32 v69, 31, v68
	v_lshlrev_b64 v[68:69], 2, v[68:69]
	v_mov_b32_e32 v70, s51
	v_add_co_u32_e32 v68, vcc, s48, v68
	v_addc_co_u32_e32 v69, vcc, v70, v69, vcc
	global_load_dwordx2 v[68:69], v[68:69], off
.LBB100_146:                            ;   in Loop: Header=BB100_143 Depth=1
	s_waitcnt vmcnt(0)
	v_cvt_f16_f32_e32 v68, v68
	v_cvt_f16_f32_e32 v69, v69
	s_andn2_b64 vcc, exec, s[36:37]
	v_mov_b32_e32 v70, 0
	v_mov_b32_e32 v71, 0
	v_pack_b32_f16 v68, v68, v69
	ds_write_b32 v88, v68 offset:64
	v_mov_b32_e32 v68, 0
	s_cbranch_vccnz .LBB100_149
; %bb.147:                              ;   in Loop: Header=BB100_143 Depth=1
	ds_read_b32 v69, v87 offset:4
	v_mov_b32_e32 v71, 0
	v_mov_b32_e32 v70, 0
	s_waitcnt lgkmcnt(0)
	v_cmp_gt_i32_e32 vcc, 0, v69
	s_cbranch_vccnz .LBB100_149
; %bb.148:                              ;   in Loop: Header=BB100_143 Depth=1
	v_mul_lo_u32 v69, v69, s49
	v_readlane_b32 vcc_lo, v94, 47
	v_add_u32_e32 v69, vcc_lo, v69
	v_add_u32_e32 v70, v69, v90
	v_ashrrev_i32_e32 v71, 31, v70
	v_lshlrev_b64 v[70:71], 2, v[70:71]
	v_mov_b32_e32 v69, s51
	v_add_co_u32_e32 v70, vcc, s48, v70
	v_addc_co_u32_e32 v71, vcc, v69, v71, vcc
	global_load_dwordx2 v[70:71], v[70:71], off
.LBB100_149:                            ;   in Loop: Header=BB100_143 Depth=1
	s_waitcnt vmcnt(0)
	v_cvt_f16_f32_e32 v69, v70
	v_cvt_f16_f32_e32 v70, v71
	s_andn2_b64 vcc, exec, s[46:47]
	v_pack_b32_f16 v69, v69, v70
	ds_write_b32 v88, v69 offset:328
	v_mov_b32_e32 v69, 0
	s_cbranch_vccnz .LBB100_152
; %bb.150:                              ;   in Loop: Header=BB100_143 Depth=1
	ds_read_b32 v70, v87 offset:8
	v_mov_b32_e32 v69, 0
	v_mov_b32_e32 v68, 0
	s_waitcnt lgkmcnt(0)
	v_cmp_gt_i32_e32 vcc, 0, v70
	s_cbranch_vccnz .LBB100_152
; %bb.151:                              ;   in Loop: Header=BB100_143 Depth=1
	v_mul_lo_u32 v68, v70, s49
	v_readlane_b32 vcc_lo, v94, 36
	v_add_u32_e32 v68, vcc_lo, v68
	v_add_u32_e32 v68, v68, v90
	v_ashrrev_i32_e32 v69, 31, v68
	v_lshlrev_b64 v[68:69], 2, v[68:69]
	v_mov_b32_e32 v70, s51
	v_add_co_u32_e32 v68, vcc, s48, v68
	v_addc_co_u32_e32 v69, vcc, v70, v69, vcc
	global_load_dwordx2 v[68:69], v[68:69], off
.LBB100_152:                            ;   in Loop: Header=BB100_143 Depth=1
	s_waitcnt vmcnt(0)
	v_cvt_f16_f32_e32 v68, v68
	v_cvt_f16_f32_e32 v69, v69
	s_andn2_b64 vcc, exec, s[54:55]
	v_mov_b32_e32 v70, 0
	v_mov_b32_e32 v71, 0
	v_pack_b32_f16 v68, v68, v69
	ds_write_b32 v88, v68 offset:592
	v_mov_b32_e32 v68, 0
	s_cbranch_vccnz .LBB100_155
; %bb.153:                              ;   in Loop: Header=BB100_143 Depth=1
	ds_read_b32 v69, v87 offset:12
	v_mov_b32_e32 v71, 0
	v_mov_b32_e32 v70, 0
	s_waitcnt lgkmcnt(0)
	v_cmp_gt_i32_e32 vcc, 0, v69
	s_cbranch_vccnz .LBB100_155
; %bb.154:                              ;   in Loop: Header=BB100_143 Depth=1
	v_mul_lo_u32 v69, v69, s49
	v_readlane_b32 vcc_lo, v94, 38
	v_add_u32_e32 v69, vcc_lo, v69
	v_add_u32_e32 v70, v69, v90
	v_ashrrev_i32_e32 v71, 31, v70
	v_lshlrev_b64 v[70:71], 2, v[70:71]
	v_mov_b32_e32 v69, s51
	v_add_co_u32_e32 v70, vcc, s48, v70
	v_addc_co_u32_e32 v71, vcc, v69, v71, vcc
	global_load_dwordx2 v[70:71], v[70:71], off
.LBB100_155:                            ;   in Loop: Header=BB100_143 Depth=1
	s_waitcnt vmcnt(0)
	v_cvt_f16_f32_e32 v69, v70
	v_cvt_f16_f32_e32 v70, v71
	s_andn2_b64 vcc, exec, s[56:57]
	v_pack_b32_f16 v69, v69, v70
	ds_write_b32 v88, v69 offset:856
	v_mov_b32_e32 v69, 0
	s_cbranch_vccnz .LBB100_158
; %bb.156:                              ;   in Loop: Header=BB100_143 Depth=1
	ds_read_b32 v70, v87 offset:16
	v_mov_b32_e32 v69, 0
	v_mov_b32_e32 v68, 0
	s_waitcnt lgkmcnt(0)
	v_cmp_gt_i32_e32 vcc, 0, v70
	s_cbranch_vccnz .LBB100_158
; %bb.157:                              ;   in Loop: Header=BB100_143 Depth=1
	v_mul_lo_u32 v68, v70, s49
	v_readlane_b32 vcc_lo, v94, 37
	v_add_u32_e32 v68, vcc_lo, v68
	v_add_u32_e32 v68, v68, v90
	v_ashrrev_i32_e32 v69, 31, v68
	v_lshlrev_b64 v[68:69], 2, v[68:69]
	v_mov_b32_e32 v70, s51
	v_add_co_u32_e32 v68, vcc, s48, v68
	v_addc_co_u32_e32 v69, vcc, v70, v69, vcc
	global_load_dwordx2 v[68:69], v[68:69], off
.LBB100_158:                            ;   in Loop: Header=BB100_143 Depth=1
	;; [unrolled: 56-line block ×5, first 2 shown]
	s_waitcnt vmcnt(0)
	v_cvt_f16_f32_e32 v68, v68
	v_cvt_f16_f32_e32 v69, v69
	s_andn2_b64 vcc, exec, s[70:71]
	v_mov_b32_e32 v70, 0
	v_mov_b32_e32 v71, 0
	v_pack_b32_f16 v68, v68, v69
	ds_write_b32 v88, v68 offset:2704
	v_mov_b32_e32 v68, 0
	s_cbranch_vccnz .LBB100_179
; %bb.177:                              ;   in Loop: Header=BB100_143 Depth=1
	ds_read_b32 v69, v87 offset:44
	v_mov_b32_e32 v71, 0
	v_mov_b32_e32 v70, 0
	s_waitcnt lgkmcnt(0)
	v_cmp_gt_i32_e32 vcc, 0, v69
	s_cbranch_vccnz .LBB100_179
; %bb.178:                              ;   in Loop: Header=BB100_143 Depth=1
	v_mul_lo_u32 v69, v69, s49
	v_readlane_b32 vcc_lo, v94, 43
	v_add_u32_e32 v69, vcc_lo, v69
	v_add_u32_e32 v70, v69, v90
	v_ashrrev_i32_e32 v71, 31, v70
	v_lshlrev_b64 v[70:71], 2, v[70:71]
	v_mov_b32_e32 v69, s51
	v_add_co_u32_e32 v70, vcc, s48, v70
	v_addc_co_u32_e32 v71, vcc, v69, v71, vcc
	global_load_dwordx2 v[70:71], v[70:71], off
.LBB100_179:                            ;   in Loop: Header=BB100_143 Depth=1
	s_waitcnt vmcnt(0)
	v_cvt_f16_f32_e32 v69, v70
	v_cvt_f16_f32_e32 v70, v71
	s_andn2_b64 vcc, exec, s[72:73]
	v_pack_b32_f16 v69, v69, v70
	ds_write_b32 v88, v69 offset:2968
	v_mov_b32_e32 v69, 0
	s_cbranch_vccnz .LBB100_142
; %bb.180:                              ;   in Loop: Header=BB100_143 Depth=1
	ds_read_b32 v70, v87 offset:48
	v_mov_b32_e32 v69, 0
	v_mov_b32_e32 v68, 0
	s_waitcnt lgkmcnt(0)
	v_cmp_gt_i32_e32 vcc, 0, v70
	s_cbranch_vccnz .LBB100_142
; %bb.181:                              ;   in Loop: Header=BB100_143 Depth=1
	v_mul_lo_u32 v68, v70, s49
	v_readlane_b32 vcc_lo, v94, 42
	v_add_u32_e32 v68, vcc_lo, v68
	v_add_u32_e32 v68, v68, v90
	v_ashrrev_i32_e32 v69, 31, v68
	v_lshlrev_b64 v[68:69], 2, v[68:69]
	v_mov_b32_e32 v70, s51
	v_add_co_u32_e32 v68, vcc, s48, v68
	v_addc_co_u32_e32 v69, vcc, v70, v69, vcc
	global_load_dwordx2 v[68:69], v[68:69], off
	s_branch .LBB100_142
.LBB100_182:
	s_or_b64 exec, exec, s[42:43]
	v_readlane_b32 s30, v94, 28
	v_readlane_b32 s16, v94, 32
	;; [unrolled: 1-line block ×8, first 2 shown]
.LBB100_183:
	v_readlane_b32 s0, v94, 26
	v_readlane_b32 s1, v94, 27
	s_or_b64 exec, exec, s[0:1]
	s_movk_i32 s0, 0x100
	v_lshlrev_b32_e32 v0, 2, v84
	v_add3_u32 v0, s0, v86, v0
	v_and_b32_e32 v4, 0x3f0, v2
	v_add_u32_e32 v5, v0, v4
	ds_write2_b32 v5, a12, a13 offset0:16 offset1:17
	v_or_b32_e32 v5, 12, v2
	v_add_u32_e32 v1, 64, v0
	v_and_b32_e32 v5, 0x3fc, v5
	v_add_u32_e32 v4, v1, v4
	v_add_u32_e32 v0, v0, v5
	ds_write_b32 v4, a14 offset:8
	ds_write_b32 v0, a15 offset:64
	ds_write2_b32 v4, a4, a5 offset0:16 offset1:17
	ds_write_b32 v4, a6 offset:72
	v_add_u32_e32 v0, v1, v5
	ds_write_b32 v0, a7 offset:64
	ds_write2_b32 v4, a0, a1 offset0:32 offset1:33
	ds_write_b32 v4, a2 offset:136
	ds_write_b32 v0, a3 offset:128
	ds_write2_b32 v4, a8, a9 offset0:48 offset1:49
	ds_write_b32 v4, a10 offset:200
	ds_write_b32 v0, a11 offset:192
	v_mov_b32_e32 v0, 0x100
	v_lshl_add_u32 v1, v2, 2, v0
	s_movk_i32 s0, 0x108
	v_mad_u32_u24 v4, v3, s0, v1
	ds_read_b32 v5, v4 offset:64
	v_cmp_gt_u32_e32 vcc, 13, v3
	v_mov_b32_e32 v6, -1
	s_and_saveexec_b64 s[4:5], vcc
	s_cbranch_execz .LBB100_185
; %bb.184:
	v_lshl_add_u32 v0, v3, 2, v0
	ds_read_b32 v6, v0
.LBB100_185:
	s_or_b64 exec, exec, s[4:5]
	s_mul_hi_i32 s1, s18, s8
	s_mul_i32 s0, s18, s8
	s_lshl_b64 s[0:1], s[0:1], 2
	v_readlane_b32 s4, v94, 24
	s_mul_hi_i32 s3, s9, s45
	s_mul_i32 s2, s9, s45
	v_readlane_b32 s5, v94, 25
	s_add_u32 s4, s4, s0
	s_addc_u32 s5, s5, s1
	s_lshl_b64 s[0:1], s[2:3], 2
	s_add_u32 s2, s4, s0
	s_waitcnt lgkmcnt(0)
	v_cmp_lt_i32_e32 vcc, -1, v6
	v_mul_u32_u24_e32 v4, 0x108, v3
	v_add_u32_e32 v0, s6, v2
	s_addc_u32 s3, s5, s1
	s_and_b64 s[4:5], vcc, s[30:31]
	s_and_saveexec_b64 s[0:1], s[4:5]
	s_cbranch_execz .LBB100_187
; %bb.186:
	v_add_f32_e32 v2, 0, v5
	v_mul_lo_u32 v5, v6, s50
	v_mul_lo_u32 v6, v3, s45
	v_add3_u32 v6, v0, v6, v5
	v_mov_b32_e32 v7, 0
	v_lshlrev_b64 v[6:7], 2, v[6:7]
	v_mov_b32_e32 v5, s3
	v_add_co_u32_e32 v6, vcc, s2, v6
	v_addc_co_u32_e32 v7, vcc, v5, v7, vcc
	global_store_dword v[6:7], v2, off
.LBB100_187:
	s_or_b64 exec, exec, s[0:1]
	v_add_u32_e32 v1, v4, v1
	ds_read_b32 v2, v1 offset:328
	v_cmp_gt_u32_e32 vcc, 12, v3
	v_mov_b32_e32 v4, -1
	s_and_saveexec_b64 s[0:1], vcc
	s_cbranch_execz .LBB100_189
; %bb.188:
	v_mov_b32_e32 v4, 0x100
	v_lshl_add_u32 v4, v3, 2, v4
	ds_read_b32 v4, v4 offset:4
.LBB100_189:
	s_or_b64 exec, exec, s[0:1]
	v_readlane_b32 s0, v94, 0
	s_waitcnt lgkmcnt(0)
	v_cmp_lt_i32_e32 vcc, -1, v4
	v_readlane_b32 s1, v94, 1
	s_and_b64 s[4:5], vcc, s[0:1]
	s_and_saveexec_b64 s[0:1], s[4:5]
	s_cbranch_execz .LBB100_191
; %bb.190:
	v_mul_lo_u32 v4, v4, s50
	v_mul_lo_u32 v5, v72, s45
	v_add3_u32 v4, v0, v5, v4
	v_mov_b32_e32 v5, 0
	v_lshlrev_b64 v[4:5], 2, v[4:5]
	v_mov_b32_e32 v6, s3
	v_add_co_u32_e32 v4, vcc, s2, v4
	v_add_f32_e32 v2, 0, v2
	v_addc_co_u32_e32 v5, vcc, v6, v5, vcc
	global_store_dword v[4:5], v2, off
.LBB100_191:
	s_or_b64 exec, exec, s[0:1]
	ds_read_b32 v2, v1 offset:592
	v_cmp_gt_u32_e32 vcc, 11, v3
	v_mov_b32_e32 v4, -1
	s_and_saveexec_b64 s[0:1], vcc
	s_cbranch_execz .LBB100_193
; %bb.192:
	v_mov_b32_e32 v4, 0x100
	v_lshl_add_u32 v4, v3, 2, v4
	ds_read_b32 v4, v4 offset:8
.LBB100_193:
	s_or_b64 exec, exec, s[0:1]
	v_readlane_b32 s0, v94, 2
	s_waitcnt lgkmcnt(0)
	v_cmp_lt_i32_e32 vcc, -1, v4
	v_readlane_b32 s1, v94, 3
	s_and_b64 s[4:5], vcc, s[0:1]
	s_and_saveexec_b64 s[0:1], s[4:5]
	s_cbranch_execz .LBB100_195
; %bb.194:
	v_mul_lo_u32 v4, v4, s50
	v_mul_lo_u32 v5, v73, s45
	v_add3_u32 v4, v0, v5, v4
	v_mov_b32_e32 v5, 0
	v_lshlrev_b64 v[4:5], 2, v[4:5]
	v_mov_b32_e32 v6, s3
	v_add_co_u32_e32 v4, vcc, s2, v4
	v_add_f32_e32 v2, 0, v2
	v_addc_co_u32_e32 v5, vcc, v6, v5, vcc
	global_store_dword v[4:5], v2, off
.LBB100_195:
	s_or_b64 exec, exec, s[0:1]
	;; [unrolled: 31-line block ×11, first 2 shown]
	ds_read_b32 v1, v1 offset:3232
	v_cmp_eq_u32_e32 vcc, 0, v3
	v_mov_b32_e32 v2, -1
	s_and_saveexec_b64 s[0:1], vcc
	s_cbranch_execz .LBB100_233
; %bb.232:
	v_mov_b32_e32 v2, 0x100
	ds_read_b32 v2, v2 offset:48
.LBB100_233:
	s_or_b64 exec, exec, s[0:1]
	v_readlane_b32 s0, v94, 22
	s_waitcnt lgkmcnt(0)
	v_cmp_lt_i32_e32 vcc, -1, v2
	v_readlane_b32 s1, v94, 23
	s_and_b64 s[0:1], vcc, s[0:1]
	s_and_saveexec_b64 s[4:5], s[0:1]
	s_cbranch_execz .LBB100_235
; %bb.234:
	v_add_f32_e32 v3, 0, v1
	v_mul_lo_u32 v1, v2, s50
	v_mul_lo_u32 v2, v83, s45
	v_add3_u32 v0, v0, v2, v1
	v_mov_b32_e32 v1, 0
	v_lshlrev_b64 v[0:1], 2, v[0:1]
	v_mov_b32_e32 v2, s3
	v_add_co_u32_e32 v0, vcc, s2, v0
	v_addc_co_u32_e32 v1, vcc, v2, v1, vcc
	global_store_dword v[0:1], v3, off
.LBB100_235:
	s_endpgm
	.section	.rodata,"a",@progbits
	.p2align	6, 0x0
	.amdhsa_kernel _ZL9mul_mat_fI7__half2Li64ELi13ELi1ELb1EEvPKT_PKfPKiPfiiiiiiiiiiiiiiii
		.amdhsa_group_segment_fixed_size 256
		.amdhsa_private_segment_fixed_size 0
		.amdhsa_kernarg_size 352
		.amdhsa_user_sgpr_count 6
		.amdhsa_user_sgpr_private_segment_buffer 1
		.amdhsa_user_sgpr_dispatch_ptr 0
		.amdhsa_user_sgpr_queue_ptr 0
		.amdhsa_user_sgpr_kernarg_segment_ptr 1
		.amdhsa_user_sgpr_dispatch_id 0
		.amdhsa_user_sgpr_flat_scratch_init 0
		.amdhsa_user_sgpr_kernarg_preload_length 0
		.amdhsa_user_sgpr_kernarg_preload_offset 0
		.amdhsa_user_sgpr_private_segment_size 0
		.amdhsa_uses_dynamic_stack 0
		.amdhsa_system_sgpr_private_segment_wavefront_offset 0
		.amdhsa_system_sgpr_workgroup_id_x 1
		.amdhsa_system_sgpr_workgroup_id_y 1
		.amdhsa_system_sgpr_workgroup_id_z 1
		.amdhsa_system_sgpr_workgroup_info 0
		.amdhsa_system_vgpr_workitem_id 2
		.amdhsa_next_free_vgpr 112
		.amdhsa_next_free_sgpr 96
		.amdhsa_accum_offset 96
		.amdhsa_reserve_vcc 1
		.amdhsa_reserve_flat_scratch 0
		.amdhsa_float_round_mode_32 0
		.amdhsa_float_round_mode_16_64 0
		.amdhsa_float_denorm_mode_32 3
		.amdhsa_float_denorm_mode_16_64 3
		.amdhsa_dx10_clamp 1
		.amdhsa_ieee_mode 1
		.amdhsa_fp16_overflow 0
		.amdhsa_tg_split 0
		.amdhsa_exception_fp_ieee_invalid_op 0
		.amdhsa_exception_fp_denorm_src 0
		.amdhsa_exception_fp_ieee_div_zero 0
		.amdhsa_exception_fp_ieee_overflow 0
		.amdhsa_exception_fp_ieee_underflow 0
		.amdhsa_exception_fp_ieee_inexact 0
		.amdhsa_exception_int_div_zero 0
	.end_amdhsa_kernel
	.section	.text._ZL9mul_mat_fI7__half2Li64ELi13ELi1ELb1EEvPKT_PKfPKiPfiiiiiiiiiiiiiiii,"axG",@progbits,_ZL9mul_mat_fI7__half2Li64ELi13ELi1ELb1EEvPKT_PKfPKiPfiiiiiiiiiiiiiiii,comdat
.Lfunc_end100:
	.size	_ZL9mul_mat_fI7__half2Li64ELi13ELi1ELb1EEvPKT_PKfPKiPfiiiiiiiiiiiiiiii, .Lfunc_end100-_ZL9mul_mat_fI7__half2Li64ELi13ELi1ELb1EEvPKT_PKfPKiPfiiiiiiiiiiiiiiii
                                        ; -- End function
	.section	.AMDGPU.csdata,"",@progbits
; Kernel info:
; codeLenInByte = 13428
; NumSgprs: 100
; NumVgprs: 95
; NumAgprs: 16
; TotalNumVgprs: 112
; ScratchSize: 0
; MemoryBound: 0
; FloatMode: 240
; IeeeMode: 1
; LDSByteSize: 256 bytes/workgroup (compile time only)
; SGPRBlocks: 12
; VGPRBlocks: 13
; NumSGPRsForWavesPerEU: 100
; NumVGPRsForWavesPerEU: 112
; AccumOffset: 96
; Occupancy: 4
; WaveLimiterHint : 0
; COMPUTE_PGM_RSRC2:SCRATCH_EN: 0
; COMPUTE_PGM_RSRC2:USER_SGPR: 6
; COMPUTE_PGM_RSRC2:TRAP_HANDLER: 0
; COMPUTE_PGM_RSRC2:TGID_X_EN: 1
; COMPUTE_PGM_RSRC2:TGID_Y_EN: 1
; COMPUTE_PGM_RSRC2:TGID_Z_EN: 1
; COMPUTE_PGM_RSRC2:TIDIG_COMP_CNT: 2
; COMPUTE_PGM_RSRC3_GFX90A:ACCUM_OFFSET: 23
; COMPUTE_PGM_RSRC3_GFX90A:TG_SPLIT: 0
	.section	.text._ZL9mul_mat_fI7__half2Li64ELi13ELi1ELb0EEvPKT_PKfPKiPfiiiiiiiiiiiiiiii,"axG",@progbits,_ZL9mul_mat_fI7__half2Li64ELi13ELi1ELb0EEvPKT_PKfPKiPfiiiiiiiiiiiiiiii,comdat
	.globl	_ZL9mul_mat_fI7__half2Li64ELi13ELi1ELb0EEvPKT_PKfPKiPfiiiiiiiiiiiiiiii ; -- Begin function _ZL9mul_mat_fI7__half2Li64ELi13ELi1ELb0EEvPKT_PKfPKiPfiiiiiiiiiiiiiiii
	.p2align	8
	.type	_ZL9mul_mat_fI7__half2Li64ELi13ELi1ELb0EEvPKT_PKfPKiPfiiiiiiiiiiiiiiii,@function
_ZL9mul_mat_fI7__half2Li64ELi13ELi1ELb0EEvPKT_PKfPKiPfiiiiiiiiiiiiiiii: ; @_ZL9mul_mat_fI7__half2Li64ELi13ELi1ELb0EEvPKT_PKfPKiPfiiiiiiiiiiiiiiii
; %bb.0:
	s_load_dwordx8 s[12:19], s[4:5], 0x40
	s_load_dword s9, s[4:5], 0x20
	s_load_dwordx4 s[0:3], s[4:5], 0x2c
	v_bfe_u32 v88, v0, 10, 10
	v_lshlrev_b32_e32 v90, 6, v88
	v_and_b32_e32 v89, 0x3ff, v0
	s_waitcnt lgkmcnt(0)
	s_abs_i32 s27, s12
	s_abs_i32 s26, s16
	v_cvt_f32_u32_e32 v1, s27
	v_cvt_f32_u32_e32 v2, s26
	v_or_b32_e32 v92, v90, v89
	s_mov_b32 s22, 0
	v_rcp_iflag_f32_e32 v1, v1
	v_rcp_iflag_f32_e32 v2, v2
	s_ashr_i32 s28, s8, 31
	v_cmp_le_i32_e32 vcc, s9, v92
	v_mul_f32_e32 v1, 0x4f7ffffe, v1
	v_mul_f32_e32 v2, 0x4f7ffffe, v2
	v_cvt_u32_f32_e32 v1, v1
	v_cvt_u32_f32_e32 v2, v2
	v_and_b32_e32 v0, 15, v89
                                        ; implicit-def: $vgpr93
	v_readfirstlane_b32 s21, v1
	v_readfirstlane_b32 s20, v2
	s_and_saveexec_b64 s[10:11], vcc
	s_xor_b64 s[10:11], exec, s[10:11]
; %bb.1:
	v_mul_u32_u24_e32 v93, 0x108, v0
                                        ; implicit-def: $vgpr92
                                        ; implicit-def: $vgpr0
; %bb.2:
	s_or_saveexec_b64 s[24:25], s[10:11]
	s_load_dwordx2 s[10:11], s[4:5], 0x18
	s_lshl_b32 s3, s6, 6
	v_accvgpr_write_b32 a0, s22
	v_accvgpr_write_b32 a1, s22
	;; [unrolled: 1-line block ×16, first 2 shown]
	v_lshlrev_b32_e32 v91, 2, v89
	s_xor_b64 exec, exec, s[24:25]
	s_cbranch_execz .LBB101_6
; %bb.3:
	s_sub_i32 s6, 0, s27
	s_sub_i32 s22, 0, s26
	s_mul_i32 s6, s6, s21
	s_mul_i32 s22, s22, s20
	s_mul_hi_u32 s6, s21, s6
	s_mul_hi_u32 s22, s20, s22
	s_abs_i32 s29, s7
	s_add_i32 s6, s21, s6
	s_add_i32 s31, s20, s22
	s_load_dwordx4 s[20:23], s[4:5], 0x0
	s_mul_hi_u32 s4, s29, s6
	s_ashr_i32 s6, s7, 31
	s_ashr_i32 s12, s12, 31
	s_xor_b32 s6, s6, s12
	s_mul_i32 s12, s4, s27
	s_abs_i32 s30, s8
	s_sub_i32 s12, s29, s12
	s_mul_hi_u32 s5, s30, s31
	s_ashr_i32 s16, s16, 31
	s_add_i32 s29, s4, 1
	s_sub_i32 s31, s12, s27
	s_cmp_ge_u32 s12, s27
	s_cselect_b32 s4, s29, s4
	s_cselect_b32 s12, s31, s12
	s_add_i32 s29, s4, 1
	s_cmp_ge_u32 s12, s27
	s_cselect_b32 s4, s29, s4
	s_mul_i32 s12, s5, s26
	s_xor_b32 s4, s4, s6
	s_sub_i32 s12, s30, s12
	s_sub_i32 s6, s4, s6
	s_xor_b32 s4, s28, s16
	s_add_i32 s16, s5, 1
	s_sub_i32 s27, s12, s26
	s_cmp_ge_u32 s12, s26
	s_cselect_b32 s5, s16, s5
	s_cselect_b32 s12, s27, s12
	s_add_i32 s16, s5, 1
	s_cmp_ge_u32 s12, s26
	s_cselect_b32 s5, s16, s5
	s_xor_b32 s5, s5, s4
	s_sub_i32 s4, s5, s4
	s_mul_hi_i32 s5, s4, s17
	s_mul_i32 s4, s4, s17
	s_mul_i32 s12, s6, s13
	s_ashr_i32 s13, s12, 31
	s_lshl_b64 s[26:27], s[4:5], 2
	s_mul_i32 s16, s3, s0
	s_waitcnt lgkmcnt(0)
	s_add_u32 s6, s20, s26
	s_addc_u32 s29, s21, s27
	s_ashr_i32 s17, s16, 31
	s_lshl_b64 s[16:17], s[16:17], 2
	s_lshl_b64 s[12:13], s[12:13], 2
	s_mul_hi_i32 s5, s18, s8
	s_mul_i32 s4, s18, s8
	s_add_u32 s18, s12, s16
	s_addc_u32 s30, s13, s17
	s_mul_i32 s28, s7, s14
	s_add_u32 s6, s18, s6
	s_addc_u32 s73, s30, s29
	s_ashr_i32 s29, s28, 31
	s_lshl_b64 s[16:17], s[4:5], 2
	s_lshl_b64 s[4:5], s[28:29], 2
	s_add_u32 s22, s22, s4
	s_addc_u32 s23, s23, s5
	s_add_u32 s14, s22, s16
	s_movk_i32 s4, 0x1080
	s_addc_u32 s74, s23, s17
	v_mad_u32_u24 v1, v88, s4, 0
	s_ashr_i32 s5, s0, 31
	s_mov_b32 s4, s0
	v_mul_u32_u24_e32 v93, 0x108, v0
	v_lshrrev_b32_e32 v0, 1, v89
	s_ashr_i32 s13, s1, 31
	s_lshl_b64 s[4:5], s[4:5], 2
	v_and_b32_e32 v0, 0x1f8, v0
	s_add_u32 s18, s18, s26
	v_add3_u32 v95, v1, v93, v0
	v_lshlrev_b32_e32 v0, 8, v88
	s_addc_u32 s26, s30, s27
	v_add_u32_e32 v94, v1, v91
	v_mov_b32_e32 v1, s26
	v_add_co_u32_e32 v0, vcc, s18, v0
	v_addc_co_u32_e32 v1, vcc, 0, v1, vcc
	v_add_co_u32_e32 v0, vcc, v0, v91
	v_addc_co_u32_e32 v1, vcc, 0, v1, vcc
	v_mov_b32_e32 v2, s21
	v_add_co_u32_e32 v16, vcc, s20, v0
	v_addc_co_u32_e32 v17, vcc, v2, v1, vcc
	v_lshlrev_b32_e32 v0, 9, v88
	v_mov_b32_e32 v1, s17
	v_add_co_u32_e32 v0, vcc, s16, v0
	v_addc_co_u32_e32 v1, vcc, 0, v1, vcc
	v_lshlrev_b32_e32 v2, 3, v89
	v_add_co_u32_e32 v0, vcc, v0, v2
	s_mov_b32 s12, s1
	v_addc_co_u32_e32 v1, vcc, 0, v1, vcc
	s_lshl_b64 s[12:13], s[12:13], 3
	v_mov_b32_e32 v2, s23
	v_add_co_u32_e32 v18, vcc, s22, v0
	v_addc_co_u32_e32 v19, vcc, v2, v1, vcc
	s_mul_i32 s16, s0, 63
	s_lshl_b32 s17, s1, 1
	s_mul_i32 s18, s1, 3
	s_lshl_b32 s20, s1, 2
	s_mul_i32 s21, s1, 5
	s_mul_i32 s22, s1, 6
	;; [unrolled: 1-line block ×3, first 2 shown]
	s_lshl_b32 s26, s1, 3
	s_mul_i32 s27, s1, 9
	s_mul_i32 s28, s1, 10
	;; [unrolled: 1-line block ×4, first 2 shown]
	s_lshl_b32 s31, s0, 1
	s_mul_i32 s33, s0, 3
	s_lshl_b32 s34, s0, 2
	s_mul_i32 s35, s0, 5
	s_mul_i32 s36, s0, 6
	;; [unrolled: 1-line block ×3, first 2 shown]
	s_lshl_b32 s38, s0, 3
	s_mul_i32 s39, s0, 9
	s_mul_i32 s40, s0, 10
	;; [unrolled: 1-line block ×7, first 2 shown]
	s_lshl_b32 s46, s0, 4
	s_mul_i32 s47, s0, 17
	s_mul_i32 s48, s0, 18
	;; [unrolled: 1-line block ×15, first 2 shown]
	s_lshl_b32 s62, s0, 5
	s_mul_i32 s63, s0, 33
	s_mul_i32 s64, s0, 34
	;; [unrolled: 1-line block ×10, first 2 shown]
	v_mov_b32_e32 v96, s73
	s_mul_i32 s73, s0, 43
	v_mov_b32_e32 v97, s74
	s_mul_i32 s74, s0, 44
	v_mov_b32_e32 v98, 0
	v_accvgpr_write_b32 a15, 0
	v_accvgpr_write_b32 a14, 0
	;; [unrolled: 1-line block ×16, first 2 shown]
	v_mov_b32_e32 v99, s5
	v_mov_b32_e32 v100, s13
	s_mul_i32 s5, s0, 45
	s_mul_i32 s13, s0, 46
	;; [unrolled: 1-line block ×18, first 2 shown]
	s_mov_b64 s[0:1], 0
.LBB101_4:                              ; =>This Inner Loop Header: Depth=1
	global_load_dword v20, v[16:17], off
	v_add_u32_e32 v36, s46, v92
	v_ashrrev_i32_e32 v37, 31, v36
	v_lshlrev_b64 v[36:37], 2, v[36:37]
	v_add_u32_e32 v52, s62, v92
	v_ashrrev_i32_e32 v53, 31, v52
	v_lshlrev_b64 v[52:53], 2, v[52:53]
	v_add_u32_e32 v68, s76, v92
	v_ashrrev_i32_e32 v69, 31, v68
	v_lshlrev_b64 v[68:69], 2, v[68:69]
	v_accvgpr_read_b32 v0, a12
	v_accvgpr_read_b32 v4, a8
	;; [unrolled: 1-line block ×16, first 2 shown]
	v_accvgpr_write_b32 a0, v0
	v_accvgpr_write_b32 a4, v4
	;; [unrolled: 1-line block ×16, first 2 shown]
	s_waitcnt vmcnt(0)
	ds_write_b32 v94, v20
	v_add_co_u32_e32 v20, vcc, s4, v16
	v_addc_co_u32_e32 v21, vcc, v17, v99, vcc
	global_load_dword v20, v[20:21], off
	s_waitcnt vmcnt(0)
	ds_write_b32 v94, v20 offset:264
	v_add_u32_e32 v20, s31, v92
	v_ashrrev_i32_e32 v21, 31, v20
	v_lshlrev_b64 v[20:21], 2, v[20:21]
	v_add_co_u32_e32 v20, vcc, s6, v20
	v_addc_co_u32_e32 v21, vcc, v96, v21, vcc
	global_load_dword v20, v[20:21], off
	s_waitcnt vmcnt(0)
	ds_write_b32 v94, v20 offset:528
	v_add_u32_e32 v20, s33, v92
	v_ashrrev_i32_e32 v21, 31, v20
	v_lshlrev_b64 v[20:21], 2, v[20:21]
	v_add_co_u32_e32 v20, vcc, s6, v20
	v_addc_co_u32_e32 v21, vcc, v96, v21, vcc
	global_load_dword v20, v[20:21], off
	s_waitcnt vmcnt(0)
	ds_write_b32 v94, v20 offset:792
	v_add_u32_e32 v20, s34, v92
	v_ashrrev_i32_e32 v21, 31, v20
	v_lshlrev_b64 v[20:21], 2, v[20:21]
	v_add_co_u32_e32 v20, vcc, s6, v20
	v_addc_co_u32_e32 v21, vcc, v96, v21, vcc
	global_load_dword v20, v[20:21], off
	s_waitcnt vmcnt(0)
	ds_write_b32 v94, v20 offset:1056
	v_add_u32_e32 v20, s35, v92
	v_ashrrev_i32_e32 v21, 31, v20
	v_lshlrev_b64 v[20:21], 2, v[20:21]
	v_add_co_u32_e32 v20, vcc, s6, v20
	v_addc_co_u32_e32 v21, vcc, v96, v21, vcc
	global_load_dword v20, v[20:21], off
	s_waitcnt vmcnt(0)
	ds_write_b32 v94, v20 offset:1320
	v_add_u32_e32 v20, s36, v92
	v_ashrrev_i32_e32 v21, 31, v20
	v_lshlrev_b64 v[20:21], 2, v[20:21]
	v_add_co_u32_e32 v20, vcc, s6, v20
	v_addc_co_u32_e32 v21, vcc, v96, v21, vcc
	global_load_dword v20, v[20:21], off
	s_waitcnt vmcnt(0)
	ds_write_b32 v94, v20 offset:1584
	v_add_u32_e32 v20, s37, v92
	v_ashrrev_i32_e32 v21, 31, v20
	v_lshlrev_b64 v[20:21], 2, v[20:21]
	v_add_co_u32_e32 v20, vcc, s6, v20
	v_addc_co_u32_e32 v21, vcc, v96, v21, vcc
	global_load_dword v20, v[20:21], off
	s_waitcnt vmcnt(0)
	ds_write_b32 v94, v20 offset:1848
	v_add_u32_e32 v20, s38, v92
	v_ashrrev_i32_e32 v21, 31, v20
	v_lshlrev_b64 v[20:21], 2, v[20:21]
	v_add_co_u32_e32 v20, vcc, s6, v20
	v_addc_co_u32_e32 v21, vcc, v96, v21, vcc
	global_load_dword v20, v[20:21], off
	s_waitcnt vmcnt(0)
	ds_write_b32 v94, v20 offset:2112
	v_add_u32_e32 v20, s39, v92
	v_ashrrev_i32_e32 v21, 31, v20
	v_lshlrev_b64 v[20:21], 2, v[20:21]
	v_add_co_u32_e32 v20, vcc, s6, v20
	v_addc_co_u32_e32 v21, vcc, v96, v21, vcc
	global_load_dword v20, v[20:21], off
	s_waitcnt vmcnt(0)
	ds_write_b32 v94, v20 offset:2376
	v_add_u32_e32 v20, s40, v92
	v_ashrrev_i32_e32 v21, 31, v20
	v_lshlrev_b64 v[20:21], 2, v[20:21]
	v_add_co_u32_e32 v20, vcc, s6, v20
	v_addc_co_u32_e32 v21, vcc, v96, v21, vcc
	global_load_dword v20, v[20:21], off
	s_waitcnt vmcnt(0)
	ds_write_b32 v94, v20 offset:2640
	v_add_u32_e32 v20, s41, v92
	v_ashrrev_i32_e32 v21, 31, v20
	v_lshlrev_b64 v[20:21], 2, v[20:21]
	v_add_co_u32_e32 v20, vcc, s6, v20
	v_addc_co_u32_e32 v21, vcc, v96, v21, vcc
	global_load_dword v20, v[20:21], off
	s_waitcnt vmcnt(0)
	ds_write_b32 v94, v20 offset:2904
	v_add_u32_e32 v20, s42, v92
	v_ashrrev_i32_e32 v21, 31, v20
	v_lshlrev_b64 v[20:21], 2, v[20:21]
	v_add_co_u32_e32 v20, vcc, s6, v20
	v_addc_co_u32_e32 v21, vcc, v96, v21, vcc
	global_load_dword v20, v[20:21], off
	s_waitcnt vmcnt(0)
	ds_write_b32 v94, v20 offset:3168
	v_add_u32_e32 v20, s43, v92
	v_ashrrev_i32_e32 v21, 31, v20
	v_lshlrev_b64 v[20:21], 2, v[20:21]
	v_add_co_u32_e32 v20, vcc, s6, v20
	v_addc_co_u32_e32 v21, vcc, v96, v21, vcc
	global_load_dword v20, v[20:21], off
	s_waitcnt vmcnt(0)
	ds_write_b32 v94, v20 offset:3432
	v_add_u32_e32 v20, s44, v92
	v_ashrrev_i32_e32 v21, 31, v20
	v_lshlrev_b64 v[20:21], 2, v[20:21]
	v_add_co_u32_e32 v20, vcc, s6, v20
	v_addc_co_u32_e32 v21, vcc, v96, v21, vcc
	global_load_dword v20, v[20:21], off
	s_waitcnt vmcnt(0)
	ds_write_b32 v94, v20 offset:3696
	v_add_u32_e32 v20, s45, v92
	v_ashrrev_i32_e32 v21, 31, v20
	v_lshlrev_b64 v[20:21], 2, v[20:21]
	v_add_co_u32_e32 v20, vcc, s6, v20
	v_addc_co_u32_e32 v21, vcc, v96, v21, vcc
	global_load_dword v20, v[20:21], off
	v_add_co_u32_e32 v36, vcc, s6, v36
	v_addc_co_u32_e32 v37, vcc, v96, v37, vcc
	s_waitcnt vmcnt(0)
	ds_write_b32 v94, v20 offset:3960
	ds_read_b64 v[34:35], v95
	ds_read_b64 v[32:33], v95 offset:32
	ds_read_b64 v[30:31], v95 offset:64
	;; [unrolled: 1-line block ×7, first 2 shown]
	global_load_dword v36, v[36:37], off
	s_waitcnt vmcnt(0)
	ds_write_b32 v94, v36
	v_add_u32_e32 v36, s47, v92
	v_ashrrev_i32_e32 v37, 31, v36
	v_lshlrev_b64 v[36:37], 2, v[36:37]
	v_add_co_u32_e32 v36, vcc, s6, v36
	v_addc_co_u32_e32 v37, vcc, v96, v37, vcc
	global_load_dword v36, v[36:37], off
	s_waitcnt vmcnt(0)
	ds_write_b32 v94, v36 offset:264
	v_add_u32_e32 v36, s48, v92
	v_ashrrev_i32_e32 v37, 31, v36
	v_lshlrev_b64 v[36:37], 2, v[36:37]
	v_add_co_u32_e32 v36, vcc, s6, v36
	v_addc_co_u32_e32 v37, vcc, v96, v37, vcc
	global_load_dword v36, v[36:37], off
	s_waitcnt vmcnt(0)
	ds_write_b32 v94, v36 offset:528
	;; [unrolled: 8-line block ×14, first 2 shown]
	v_add_u32_e32 v36, s61, v92
	v_ashrrev_i32_e32 v37, 31, v36
	v_lshlrev_b64 v[36:37], 2, v[36:37]
	v_add_co_u32_e32 v36, vcc, s6, v36
	v_addc_co_u32_e32 v37, vcc, v96, v37, vcc
	global_load_dword v36, v[36:37], off
	v_add_co_u32_e32 v52, vcc, s6, v52
	v_addc_co_u32_e32 v53, vcc, v96, v53, vcc
	s_waitcnt vmcnt(0)
	ds_write_b32 v94, v36 offset:3960
	ds_read_b64 v[50:51], v95
	ds_read_b64 v[48:49], v95 offset:32
	ds_read_b64 v[46:47], v95 offset:64
	;; [unrolled: 1-line block ×7, first 2 shown]
	global_load_dword v52, v[52:53], off
	s_waitcnt vmcnt(0)
	ds_write_b32 v94, v52
	v_add_u32_e32 v52, s63, v92
	v_ashrrev_i32_e32 v53, 31, v52
	v_lshlrev_b64 v[52:53], 2, v[52:53]
	v_add_co_u32_e32 v52, vcc, s6, v52
	v_addc_co_u32_e32 v53, vcc, v96, v53, vcc
	global_load_dword v52, v[52:53], off
	s_waitcnt vmcnt(0)
	ds_write_b32 v94, v52 offset:264
	v_add_u32_e32 v52, s64, v92
	v_ashrrev_i32_e32 v53, 31, v52
	v_lshlrev_b64 v[52:53], 2, v[52:53]
	v_add_co_u32_e32 v52, vcc, s6, v52
	v_addc_co_u32_e32 v53, vcc, v96, v53, vcc
	global_load_dword v52, v[52:53], off
	s_waitcnt vmcnt(0)
	ds_write_b32 v94, v52 offset:528
	;; [unrolled: 8-line block ×14, first 2 shown]
	v_add_u32_e32 v52, s75, v92
	v_ashrrev_i32_e32 v53, 31, v52
	v_lshlrev_b64 v[52:53], 2, v[52:53]
	v_add_co_u32_e32 v52, vcc, s6, v52
	v_addc_co_u32_e32 v53, vcc, v96, v53, vcc
	global_load_dword v52, v[52:53], off
	v_add_co_u32_e32 v68, vcc, s6, v68
	v_addc_co_u32_e32 v69, vcc, v96, v69, vcc
	s_waitcnt vmcnt(0)
	ds_write_b32 v94, v52 offset:3960
	ds_read_b64 v[66:67], v95
	ds_read_b64 v[64:65], v95 offset:32
	ds_read_b64 v[62:63], v95 offset:64
	;; [unrolled: 1-line block ×7, first 2 shown]
	global_load_dword v68, v[68:69], off
	s_waitcnt vmcnt(0)
	ds_write_b32 v94, v68
	v_add_u32_e32 v68, s77, v92
	v_ashrrev_i32_e32 v69, 31, v68
	v_lshlrev_b64 v[68:69], 2, v[68:69]
	v_add_co_u32_e32 v68, vcc, s6, v68
	v_addc_co_u32_e32 v69, vcc, v96, v69, vcc
	global_load_dword v68, v[68:69], off
	s_waitcnt vmcnt(0)
	ds_write_b32 v94, v68 offset:264
	v_add_u32_e32 v68, s78, v92
	v_ashrrev_i32_e32 v69, 31, v68
	v_lshlrev_b64 v[68:69], 2, v[68:69]
	v_add_co_u32_e32 v68, vcc, s6, v68
	v_addc_co_u32_e32 v69, vcc, v96, v69, vcc
	global_load_dword v68, v[68:69], off
	s_waitcnt vmcnt(0)
	ds_write_b32 v94, v68 offset:528
	;; [unrolled: 8-line block ×15, first 2 shown]
	ds_read_b64 v[82:83], v95
	ds_read_b64 v[80:81], v95 offset:32
	ds_read_b64 v[78:79], v95 offset:64
	;; [unrolled: 1-line block ×7, first 2 shown]
	global_load_dwordx2 v[84:85], v[18:19], off
	s_waitcnt vmcnt(0)
	v_cvt_f16_f32_e32 v84, v84
	v_cvt_f16_f32_e32 v85, v85
	v_pack_b32_f16 v84, v84, v85
	ds_write_b32 v94, v84
	v_add_co_u32_e32 v84, vcc, s12, v18
	v_addc_co_u32_e32 v85, vcc, v19, v100, vcc
	global_load_dwordx2 v[84:85], v[84:85], off
	s_waitcnt vmcnt(0)
	v_cvt_f16_f32_e32 v84, v84
	v_cvt_f16_f32_e32 v85, v85
	v_pack_b32_f16 v84, v84, v85
	ds_write_b32 v94, v84 offset:264
	v_add_u32_e32 v84, s17, v92
	v_ashrrev_i32_e32 v85, 31, v84
	v_lshlrev_b64 v[84:85], 3, v[84:85]
	v_add_co_u32_e32 v84, vcc, s14, v84
	v_addc_co_u32_e32 v85, vcc, v97, v85, vcc
	global_load_dwordx2 v[84:85], v[84:85], off
	s_waitcnt vmcnt(0)
	v_cvt_f16_f32_e32 v84, v84
	v_cvt_f16_f32_e32 v85, v85
	v_pack_b32_f16 v84, v84, v85
	ds_write_b32 v94, v84 offset:528
	v_add_u32_e32 v84, s18, v92
	v_ashrrev_i32_e32 v85, 31, v84
	v_lshlrev_b64 v[84:85], 3, v[84:85]
	v_add_co_u32_e32 v84, vcc, s14, v84
	v_addc_co_u32_e32 v85, vcc, v97, v85, vcc
	global_load_dwordx2 v[84:85], v[84:85], off
	s_waitcnt vmcnt(0)
	v_cvt_f16_f32_e32 v84, v84
	v_cvt_f16_f32_e32 v85, v85
	v_pack_b32_f16 v84, v84, v85
	ds_write_b32 v94, v84 offset:792
	v_add_u32_e32 v84, s20, v92
	v_ashrrev_i32_e32 v85, 31, v84
	v_lshlrev_b64 v[84:85], 3, v[84:85]
	v_add_co_u32_e32 v84, vcc, s14, v84
	v_addc_co_u32_e32 v85, vcc, v97, v85, vcc
	global_load_dwordx2 v[84:85], v[84:85], off
	s_waitcnt vmcnt(0)
	v_cvt_f16_f32_e32 v84, v84
	v_cvt_f16_f32_e32 v85, v85
	v_pack_b32_f16 v84, v84, v85
	ds_write_b32 v94, v84 offset:1056
	v_add_u32_e32 v84, s21, v92
	v_ashrrev_i32_e32 v85, 31, v84
	v_lshlrev_b64 v[84:85], 3, v[84:85]
	v_add_co_u32_e32 v84, vcc, s14, v84
	v_addc_co_u32_e32 v85, vcc, v97, v85, vcc
	global_load_dwordx2 v[84:85], v[84:85], off
	s_waitcnt vmcnt(0)
	v_cvt_f16_f32_e32 v84, v84
	v_cvt_f16_f32_e32 v85, v85
	v_pack_b32_f16 v84, v84, v85
	ds_write_b32 v94, v84 offset:1320
	v_add_u32_e32 v84, s22, v92
	v_ashrrev_i32_e32 v85, 31, v84
	v_lshlrev_b64 v[84:85], 3, v[84:85]
	v_add_co_u32_e32 v84, vcc, s14, v84
	v_addc_co_u32_e32 v85, vcc, v97, v85, vcc
	global_load_dwordx2 v[84:85], v[84:85], off
	s_waitcnt vmcnt(0)
	v_cvt_f16_f32_e32 v84, v84
	v_cvt_f16_f32_e32 v85, v85
	v_pack_b32_f16 v84, v84, v85
	ds_write_b32 v94, v84 offset:1584
	v_add_u32_e32 v84, s23, v92
	v_ashrrev_i32_e32 v85, 31, v84
	v_lshlrev_b64 v[84:85], 3, v[84:85]
	v_add_co_u32_e32 v84, vcc, s14, v84
	v_addc_co_u32_e32 v85, vcc, v97, v85, vcc
	global_load_dwordx2 v[84:85], v[84:85], off
	s_waitcnt vmcnt(0)
	v_cvt_f16_f32_e32 v84, v84
	v_cvt_f16_f32_e32 v85, v85
	v_pack_b32_f16 v84, v84, v85
	ds_write_b32 v94, v84 offset:1848
	v_add_u32_e32 v84, s26, v92
	v_ashrrev_i32_e32 v85, 31, v84
	v_lshlrev_b64 v[84:85], 3, v[84:85]
	v_add_co_u32_e32 v84, vcc, s14, v84
	v_addc_co_u32_e32 v85, vcc, v97, v85, vcc
	global_load_dwordx2 v[84:85], v[84:85], off
	s_waitcnt vmcnt(0)
	v_cvt_f16_f32_e32 v84, v84
	v_cvt_f16_f32_e32 v85, v85
	v_pack_b32_f16 v84, v84, v85
	ds_write_b32 v94, v84 offset:2112
	v_add_u32_e32 v84, s27, v92
	v_ashrrev_i32_e32 v85, 31, v84
	v_lshlrev_b64 v[84:85], 3, v[84:85]
	v_add_co_u32_e32 v84, vcc, s14, v84
	v_addc_co_u32_e32 v85, vcc, v97, v85, vcc
	global_load_dwordx2 v[84:85], v[84:85], off
	s_waitcnt vmcnt(0)
	v_cvt_f16_f32_e32 v84, v84
	v_cvt_f16_f32_e32 v85, v85
	v_pack_b32_f16 v84, v84, v85
	ds_write_b32 v94, v84 offset:2376
	v_add_u32_e32 v84, s28, v92
	v_ashrrev_i32_e32 v85, 31, v84
	v_lshlrev_b64 v[84:85], 3, v[84:85]
	v_add_co_u32_e32 v84, vcc, s14, v84
	v_addc_co_u32_e32 v85, vcc, v97, v85, vcc
	global_load_dwordx2 v[84:85], v[84:85], off
	s_waitcnt vmcnt(0)
	v_cvt_f16_f32_e32 v84, v84
	v_cvt_f16_f32_e32 v85, v85
	v_pack_b32_f16 v84, v84, v85
	ds_write_b32 v94, v84 offset:2640
	v_add_u32_e32 v84, s29, v92
	v_ashrrev_i32_e32 v85, 31, v84
	v_lshlrev_b64 v[84:85], 3, v[84:85]
	v_add_co_u32_e32 v84, vcc, s14, v84
	v_addc_co_u32_e32 v85, vcc, v97, v85, vcc
	global_load_dwordx2 v[84:85], v[84:85], off
	s_waitcnt vmcnt(0)
	v_cvt_f16_f32_e32 v84, v84
	v_cvt_f16_f32_e32 v85, v85
	v_pack_b32_f16 v84, v84, v85
	ds_write_b32 v94, v84 offset:2904
	v_add_u32_e32 v84, s30, v92
	v_ashrrev_i32_e32 v85, 31, v84
	v_lshlrev_b64 v[84:85], 3, v[84:85]
	v_add_co_u32_e32 v84, vcc, s14, v84
	v_addc_co_u32_e32 v85, vcc, v97, v85, vcc
	global_load_dwordx2 v[84:85], v[84:85], off
	v_add_co_u32_e32 v16, vcc, 0x100, v16
	v_addc_co_u32_e32 v17, vcc, 0, v17, vcc
	v_add_co_u32_e32 v18, vcc, 0x200, v18
	v_add_u32_e32 v92, 64, v92
	v_addc_co_u32_e32 v19, vcc, 0, v19, vcc
	v_cmp_le_i32_e32 vcc, s9, v92
	s_or_b64 s[0:1], vcc, s[0:1]
	s_waitcnt vmcnt(0)
	v_cvt_f16_f32_e32 v84, v84
	v_cvt_f16_f32_e32 v85, v85
	v_pack_b32_f16 v84, v84, v85
	ds_write_b32 v94, v84 offset:3168
	ds_write_b32 v94, v98 offset:3432
	;; [unrolled: 1-line block ×4, first 2 shown]
	ds_read_b64 v[86:87], v95
	ds_read_b64 v[84:85], v95 offset:32
	s_waitcnt lgkmcnt(1)
	v_mfma_f32_16x16x16f16 a[0:3], v[34:35], v[86:87], a[0:3]
	ds_read_b64 v[0:1], v95 offset:64
	v_mfma_f32_16x16x16f16 a[4:7], v[50:51], v[86:87], a[4:7]
	v_mfma_f32_16x16x16f16 a[8:11], v[66:67], v[86:87], a[8:11]
	;; [unrolled: 1-line block ×3, first 2 shown]
	s_waitcnt lgkmcnt(1)
	v_mfma_f32_16x16x16f16 a[0:3], v[32:33], v[84:85], a[0:3]
	v_mfma_f32_16x16x16f16 a[4:7], v[48:49], v[84:85], a[4:7]
	;; [unrolled: 1-line block ×4, first 2 shown]
	s_waitcnt lgkmcnt(0)
	v_mfma_f32_16x16x16f16 a[0:3], v[30:31], v[0:1], a[0:3]
	v_mfma_f32_16x16x16f16 a[4:7], v[46:47], v[0:1], a[4:7]
	v_mfma_f32_16x16x16f16 a[8:11], v[62:63], v[0:1], a[8:11]
	v_mfma_f32_16x16x16f16 a[12:15], v[78:79], v[0:1], a[12:15]
	ds_read_b64 v[0:1], v95 offset:96
	s_waitcnt lgkmcnt(0)
	v_mfma_f32_16x16x16f16 a[0:3], v[28:29], v[0:1], a[0:3]
	v_mfma_f32_16x16x16f16 a[4:7], v[44:45], v[0:1], a[4:7]
	v_mfma_f32_16x16x16f16 a[8:11], v[60:61], v[0:1], a[8:11]
	v_mfma_f32_16x16x16f16 a[12:15], v[76:77], v[0:1], a[12:15]
	ds_read_b64 v[0:1], v95 offset:128
	;; [unrolled: 6-line block ×5, first 2 shown]
	s_waitcnt lgkmcnt(0)
	v_mfma_f32_16x16x16f16 a[12:15], v[20:21], v[0:1], a[0:3]
	v_mfma_f32_16x16x16f16 a[8:11], v[36:37], v[0:1], a[4:7]
	;; [unrolled: 1-line block ×4, first 2 shown]
	s_andn2_b64 exec, exec, s[0:1]
	s_cbranch_execnz .LBB101_4
; %bb.5:
	s_or_b64 exec, exec, s[0:1]
.LBB101_6:
	s_or_b64 exec, exec, s[24:25]
	v_lshlrev_b32_e32 v0, 2, v90
	v_or_b32_e32 v2, 12, v89
	v_add3_u32 v0, 0, v93, v0
	v_and_b32_e32 v1, 0x3f0, v89
	v_and_b32_e32 v2, 0x3fc, v2
	s_mul_hi_i32 s1, s19, s8
	s_mul_i32 s0, s19, s8
	v_add_u32_e32 v1, v0, v1
	v_add_u32_e32 v0, v0, v2
	s_lshl_b64 s[0:1], s[0:1], 2
	ds_write2_b32 v1, a12, a13 offset1:1
	ds_write_b32 v1, a14 offset:8
	ds_write_b32 v0, a15
	ds_write2_b32 v1, a8, a9 offset0:16 offset1:17
	ds_write_b32 v1, a10 offset:72
	ds_write_b32 v0, a11 offset:64
	ds_write2_b32 v1, a4, a5 offset0:32 offset1:33
	ds_write_b32 v1, a6 offset:136
	ds_write_b32 v0, a7 offset:128
	ds_write2_b32 v1, a0, a1 offset0:48 offset1:49
	ds_write_b32 v1, a2 offset:200
	ds_write_b32 v0, a3 offset:192
	v_mul_u32_u24_e32 v0, 0x108, v88
	s_waitcnt lgkmcnt(0)
	s_add_u32 s4, s10, s0
	s_mul_i32 s0, s7, s15
	v_add3_u32 v6, 0, v91, v0
	s_addc_u32 s5, s11, s1
	ds_read2_b32 v[0:1], v6 offset1:66
	s_ashr_i32 s1, s0, 31
	s_lshl_b64 s[0:1], s[0:1], 2
	v_mul_lo_u32 v2, v88, s2
	s_add_u32 s0, s4, s0
	v_add3_u32 v2, s3, v89, v2
	v_mov_b32_e32 v3, 0
	s_addc_u32 s1, s5, s1
	v_lshlrev_b64 v[4:5], 2, v[2:3]
	v_mov_b32_e32 v7, s1
	v_add_co_u32_e32 v4, vcc, s0, v4
	s_waitcnt lgkmcnt(0)
	v_add_f32_e32 v0, 0, v0
	v_addc_co_u32_e32 v5, vcc, v7, v5, vcc
	v_add_u32_e32 v2, s2, v2
	global_store_dword v[4:5], v0, off
	v_add_f32_e32 v7, 0, v1
	v_lshlrev_b64 v[0:1], 2, v[2:3]
	ds_read2_b32 v[4:5], v6 offset0:132 offset1:198
	v_mov_b32_e32 v8, s1
	v_add_co_u32_e32 v0, vcc, s0, v0
	v_addc_co_u32_e32 v1, vcc, v8, v1, vcc
	v_add_u32_e32 v2, s2, v2
	global_store_dword v[0:1], v7, off
	v_lshlrev_b64 v[0:1], 2, v[2:3]
	v_mov_b32_e32 v7, s1
	v_add_co_u32_e32 v0, vcc, s0, v0
	s_waitcnt lgkmcnt(0)
	v_add_f32_e32 v4, 0, v4
	v_addc_co_u32_e32 v1, vcc, v7, v1, vcc
	v_add_u32_e32 v2, s2, v2
	v_add_u32_e32 v9, 0x400, v6
	global_store_dword v[0:1], v4, off
	v_add_f32_e32 v7, 0, v5
	v_lshlrev_b64 v[0:1], 2, v[2:3]
	ds_read2_b32 v[4:5], v9 offset0:8 offset1:74
	v_add_co_u32_e32 v0, vcc, s0, v0
	v_addc_co_u32_e32 v1, vcc, v8, v1, vcc
	v_add_u32_e32 v2, s2, v2
	global_store_dword v[0:1], v7, off
	v_lshlrev_b64 v[0:1], 2, v[2:3]
	v_mov_b32_e32 v7, s1
	v_add_co_u32_e32 v0, vcc, s0, v0
	s_waitcnt lgkmcnt(0)
	v_add_f32_e32 v4, 0, v4
	v_addc_co_u32_e32 v1, vcc, v7, v1, vcc
	v_add_u32_e32 v2, s2, v2
	global_store_dword v[0:1], v4, off
	v_add_f32_e32 v7, 0, v5
	v_lshlrev_b64 v[0:1], 2, v[2:3]
	ds_read2_b32 v[4:5], v9 offset0:140 offset1:206
	v_add_co_u32_e32 v0, vcc, s0, v0
	v_addc_co_u32_e32 v1, vcc, v8, v1, vcc
	v_add_u32_e32 v2, s2, v2
	global_store_dword v[0:1], v7, off
	v_lshlrev_b64 v[0:1], 2, v[2:3]
	v_mov_b32_e32 v7, s1
	v_add_co_u32_e32 v0, vcc, s0, v0
	s_waitcnt lgkmcnt(0)
	v_add_f32_e32 v4, 0, v4
	v_addc_co_u32_e32 v1, vcc, v7, v1, vcc
	v_add_u32_e32 v2, s2, v2
	v_add_u32_e32 v9, 0x800, v6
	global_store_dword v[0:1], v4, off
	v_add_f32_e32 v7, 0, v5
	v_lshlrev_b64 v[0:1], 2, v[2:3]
	ds_read2_b32 v[4:5], v9 offset0:16 offset1:82
	v_add_co_u32_e32 v0, vcc, s0, v0
	v_addc_co_u32_e32 v1, vcc, v8, v1, vcc
	v_add_u32_e32 v2, s2, v2
	global_store_dword v[0:1], v7, off
	v_lshlrev_b64 v[0:1], 2, v[2:3]
	v_mov_b32_e32 v7, s1
	v_add_co_u32_e32 v0, vcc, s0, v0
	s_waitcnt lgkmcnt(0)
	v_add_f32_e32 v4, 0, v4
	v_addc_co_u32_e32 v1, vcc, v7, v1, vcc
	v_add_u32_e32 v2, s2, v2
	global_store_dword v[0:1], v4, off
	v_add_f32_e32 v7, 0, v5
	v_lshlrev_b64 v[0:1], 2, v[2:3]
	ds_read2_b32 v[4:5], v9 offset0:148 offset1:214
	v_add_co_u32_e32 v0, vcc, s0, v0
	v_addc_co_u32_e32 v1, vcc, v8, v1, vcc
	v_add_u32_e32 v2, s2, v2
	global_store_dword v[0:1], v7, off
	v_lshlrev_b64 v[0:1], 2, v[2:3]
	v_mov_b32_e32 v7, s1
	v_add_co_u32_e32 v0, vcc, s0, v0
	s_waitcnt lgkmcnt(0)
	v_add_f32_e32 v4, 0, v4
	v_addc_co_u32_e32 v1, vcc, v7, v1, vcc
	v_add_u32_e32 v2, s2, v2
	global_store_dword v[0:1], v4, off
	v_lshlrev_b64 v[0:1], 2, v[2:3]
	ds_read_b32 v6, v6 offset:3168
	v_add_f32_e32 v4, 0, v5
	v_mov_b32_e32 v5, s1
	v_add_co_u32_e32 v0, vcc, s0, v0
	v_addc_co_u32_e32 v1, vcc, v5, v1, vcc
	v_add_u32_e32 v2, s2, v2
	global_store_dword v[0:1], v4, off
	v_lshlrev_b64 v[0:1], 2, v[2:3]
	v_mov_b32_e32 v2, s1
	v_add_co_u32_e32 v0, vcc, s0, v0
	s_waitcnt lgkmcnt(0)
	v_add_f32_e32 v4, 0, v6
	v_addc_co_u32_e32 v1, vcc, v2, v1, vcc
	global_store_dword v[0:1], v4, off
	s_endpgm
	.section	.rodata,"a",@progbits
	.p2align	6, 0x0
	.amdhsa_kernel _ZL9mul_mat_fI7__half2Li64ELi13ELi1ELb0EEvPKT_PKfPKiPfiiiiiiiiiiiiiiii
		.amdhsa_group_segment_fixed_size 0
		.amdhsa_private_segment_fixed_size 0
		.amdhsa_kernarg_size 96
		.amdhsa_user_sgpr_count 6
		.amdhsa_user_sgpr_private_segment_buffer 1
		.amdhsa_user_sgpr_dispatch_ptr 0
		.amdhsa_user_sgpr_queue_ptr 0
		.amdhsa_user_sgpr_kernarg_segment_ptr 1
		.amdhsa_user_sgpr_dispatch_id 0
		.amdhsa_user_sgpr_flat_scratch_init 0
		.amdhsa_user_sgpr_kernarg_preload_length 0
		.amdhsa_user_sgpr_kernarg_preload_offset 0
		.amdhsa_user_sgpr_private_segment_size 0
		.amdhsa_uses_dynamic_stack 0
		.amdhsa_system_sgpr_private_segment_wavefront_offset 0
		.amdhsa_system_sgpr_workgroup_id_x 1
		.amdhsa_system_sgpr_workgroup_id_y 1
		.amdhsa_system_sgpr_workgroup_id_z 1
		.amdhsa_system_sgpr_workgroup_info 0
		.amdhsa_system_vgpr_workitem_id 1
		.amdhsa_next_free_vgpr 128
		.amdhsa_next_free_sgpr 91
		.amdhsa_accum_offset 104
		.amdhsa_reserve_vcc 1
		.amdhsa_reserve_flat_scratch 0
		.amdhsa_float_round_mode_32 0
		.amdhsa_float_round_mode_16_64 0
		.amdhsa_float_denorm_mode_32 3
		.amdhsa_float_denorm_mode_16_64 3
		.amdhsa_dx10_clamp 1
		.amdhsa_ieee_mode 1
		.amdhsa_fp16_overflow 0
		.amdhsa_tg_split 0
		.amdhsa_exception_fp_ieee_invalid_op 0
		.amdhsa_exception_fp_denorm_src 0
		.amdhsa_exception_fp_ieee_div_zero 0
		.amdhsa_exception_fp_ieee_overflow 0
		.amdhsa_exception_fp_ieee_underflow 0
		.amdhsa_exception_fp_ieee_inexact 0
		.amdhsa_exception_int_div_zero 0
	.end_amdhsa_kernel
	.section	.text._ZL9mul_mat_fI7__half2Li64ELi13ELi1ELb0EEvPKT_PKfPKiPfiiiiiiiiiiiiiiii,"axG",@progbits,_ZL9mul_mat_fI7__half2Li64ELi13ELi1ELb0EEvPKT_PKfPKiPfiiiiiiiiiiiiiiii,comdat
.Lfunc_end101:
	.size	_ZL9mul_mat_fI7__half2Li64ELi13ELi1ELb0EEvPKT_PKfPKiPfiiiiiiiiiiiiiiii, .Lfunc_end101-_ZL9mul_mat_fI7__half2Li64ELi13ELi1ELb0EEvPKT_PKfPKiPfiiiiiiiiiiiiiiii
                                        ; -- End function
	.section	.AMDGPU.csdata,"",@progbits
; Kernel info:
; codeLenInByte = 6392
; NumSgprs: 95
; NumVgprs: 101
; NumAgprs: 24
; TotalNumVgprs: 128
; ScratchSize: 0
; MemoryBound: 0
; FloatMode: 240
; IeeeMode: 1
; LDSByteSize: 0 bytes/workgroup (compile time only)
; SGPRBlocks: 11
; VGPRBlocks: 15
; NumSGPRsForWavesPerEU: 95
; NumVGPRsForWavesPerEU: 128
; AccumOffset: 104
; Occupancy: 4
; WaveLimiterHint : 0
; COMPUTE_PGM_RSRC2:SCRATCH_EN: 0
; COMPUTE_PGM_RSRC2:USER_SGPR: 6
; COMPUTE_PGM_RSRC2:TRAP_HANDLER: 0
; COMPUTE_PGM_RSRC2:TGID_X_EN: 1
; COMPUTE_PGM_RSRC2:TGID_Y_EN: 1
; COMPUTE_PGM_RSRC2:TGID_Z_EN: 1
; COMPUTE_PGM_RSRC2:TIDIG_COMP_CNT: 1
; COMPUTE_PGM_RSRC3_GFX90A:ACCUM_OFFSET: 25
; COMPUTE_PGM_RSRC3_GFX90A:TG_SPLIT: 0
	.section	.text._ZL13mul_mat_f_idsI7__half2Li64ELi13ELi2EEvPKT_PKfPKiS7_S7_Pfiiiiiiiiiiiiii15HIP_vector_typeIjLj3EESA_,"axG",@progbits,_ZL13mul_mat_f_idsI7__half2Li64ELi13ELi2EEvPKT_PKfPKiS7_S7_Pfiiiiiiiiiiiiii15HIP_vector_typeIjLj3EESA_,comdat
	.globl	_ZL13mul_mat_f_idsI7__half2Li64ELi13ELi2EEvPKT_PKfPKiS7_S7_Pfiiiiiiiiiiiiii15HIP_vector_typeIjLj3EESA_ ; -- Begin function _ZL13mul_mat_f_idsI7__half2Li64ELi13ELi2EEvPKT_PKfPKiS7_S7_Pfiiiiiiiiiiiiii15HIP_vector_typeIjLj3EESA_
	.p2align	8
	.type	_ZL13mul_mat_f_idsI7__half2Li64ELi13ELi2EEvPKT_PKfPKiS7_S7_Pfiiiiiiiiiiiiii15HIP_vector_typeIjLj3EESA_,@function
_ZL13mul_mat_f_idsI7__half2Li64ELi13ELi2EEvPKT_PKfPKiS7_S7_Pfiiiiiiiiiiiiii15HIP_vector_typeIjLj3EESA_: ; @_ZL13mul_mat_f_idsI7__half2Li64ELi13ELi2EEvPKT_PKfPKiS7_S7_Pfiiiiiiiiiiiiii15HIP_vector_typeIjLj3EESA_
; %bb.0:
	s_load_dwordx2 s[0:1], s[4:5], 0x20
	s_mov_b32 s34, s7
	s_ashr_i32 s35, s7, 31
	s_lshl_b64 s[2:3], s[34:35], 2
	s_waitcnt lgkmcnt(0)
	s_add_u32 s0, s0, s2
	s_addc_u32 s1, s1, s3
	s_load_dwordx2 s[26:27], s[0:1], 0x0
	s_waitcnt lgkmcnt(0)
	s_sub_i32 s33, s27, s26
	s_add_i32 s0, s33, 12
	s_mul_hi_i32 s0, s0, 0x4ec4ec4f
	s_lshr_b32 s1, s0, 31
	s_ashr_i32 s0, s0, 2
	s_add_i32 s0, s0, s1
	s_cmp_ge_i32 s8, s0
	s_cbranch_scc1 .LBB102_68
; %bb.1:
	v_bfe_u32 v92, v0, 10, 10
	v_lshlrev_b32_e32 v94, 6, v92
	v_and_b32_e32 v93, 0x3ff, v0
	s_load_dwordx4 s[12:15], s[4:5], 0x30
	s_load_dwordx2 s[20:21], s[4:5], 0x40
	s_load_dwordx4 s[0:3], s[4:5], 0x4c
	s_load_dwordx4 s[16:19], s[4:5], 0x68
	s_load_dwordx2 s[24:25], s[4:5], 0x78
	v_add_u32_e32 v96, v94, v93
	s_ashr_i32 s27, s26, 31
	s_waitcnt lgkmcnt(0)
	v_cmp_le_i32_e32 vcc, s12, v96
	v_and_b32_e32 v95, 15, v93
                                        ; implicit-def: $sgpr3
	s_and_saveexec_b64 s[10:11], vcc
	s_xor_b64 s[10:11], exec, s[10:11]
; %bb.2:
	v_and_b32_e32 v95, 15, v93
	s_mov_b32 s3, 0
                                        ; implicit-def: $vgpr96
; %bb.3:
	s_or_saveexec_b64 s[22:23], s[10:11]
	s_load_dwordx2 s[10:11], s[4:5], 0x18
                                        ; implicit-def: $vgpr103 : SGPR spill to VGPR lane
	s_lshl_b32 s7, s6, 6
	s_mul_i32 s6, s8, 13
	v_accvgpr_write_b32 a0, s3
	v_accvgpr_write_b32 a1, s3
	s_waitcnt lgkmcnt(0)
	v_writelane_b32 v103, s10, 0
	v_writelane_b32 v103, s11, 1
	s_load_dwordx2 s[10:11], s[4:5], 0x28
	v_accvgpr_write_b32 a2, s3
	v_accvgpr_write_b32 a3, s3
	;; [unrolled: 1-line block ×4, first 2 shown]
	s_waitcnt lgkmcnt(0)
	v_writelane_b32 v103, s10, 2
	v_writelane_b32 v103, s11, 3
	v_accvgpr_write_b32 a6, s3
	v_accvgpr_write_b32 a7, s3
	;; [unrolled: 1-line block ×10, first 2 shown]
	v_writelane_b32 v103, s22, 4
	v_writelane_b32 v103, s23, 5
	s_xor_b64 exec, exec, s[22:23]
	s_cbranch_execz .LBB102_46
; %bb.4:
	v_writelane_b32 v103, s24, 6
	v_writelane_b32 v103, s25, 7
	s_load_dwordx4 s[8:11], s[4:5], 0x0
	s_load_dwordx2 s[22:23], s[4:5], 0x10
	s_mul_i32 s4, s34, s0
	s_mul_i32 s24, s7, s15
	s_ashr_i32 s5, s4, 31
	s_ashr_i32 s25, s24, 31
	s_lshl_b64 s[24:25], s[24:25], 2
	s_lshl_b64 s[4:5], s[4:5], 2
	s_add_u32 s3, s4, s24
	s_addc_u32 s24, s5, s25
	v_writelane_b32 v103, s7, 8
	s_waitcnt lgkmcnt(0)
	s_add_u32 s0, s3, s8
	s_addc_u32 s25, s24, s9
	v_writelane_b32 v103, s26, 9
	s_lshl_b64 s[4:5], s[26:27], 2
	v_writelane_b32 v103, s27, 10
	s_add_u32 s26, s22, s4
	s_addc_u32 s27, s23, s5
	s_movk_i32 s4, 0x1080
	s_cmp_lt_i32 s6, s33
	v_mad_u32_u24 v0, v92, s4, 0
	s_cselect_b64 s[4:5], -1, 0
	s_ashr_i32 s7, s6, 31
	s_lshl_b64 s[22:23], s[6:7], 2
	s_add_u32 s34, s26, s22
	s_addc_u32 s35, s27, s23
	s_add_i32 s7, s6, 1
	s_cmp_lt_i32 s7, s33
	s_cselect_b64 s[36:37], -1, 0
	s_add_i32 s7, s6, 2
	s_cmp_lt_i32 s7, s33
	s_cselect_b64 s[38:39], -1, 0
	;; [unrolled: 3-line block ×3, first 2 shown]
	s_add_i32 s7, s6, 4
	s_cmp_lt_i32 s7, s33
	v_lshrrev_b32_e32 v3, 1, v93
	s_cselect_b64 s[42:43], -1, 0
	s_add_i32 s7, s6, 5
	v_lshlrev_b32_e32 v1, 2, v93
	v_mul_u32_u24_e32 v2, 0x108, v95
	v_and_b32_e32 v3, 0x1f8, v3
	s_cmp_lt_i32 s7, s33
	v_add_u32_e32 v97, v0, v1
	v_add3_u32 v98, v0, v2, v3
	s_cselect_b64 s[44:45], -1, 0
	s_add_i32 s7, s6, 6
	v_lshlrev_b32_e32 v0, 8, v92
	s_cmp_lt_i32 s7, s33
	v_add_co_u32_e32 v0, vcc, s3, v0
	s_mul_i32 s3, s15, 3
	s_cselect_b64 s[46:47], -1, 0
	s_add_i32 s7, s6, 7
	v_writelane_b32 v103, s3, 11
	s_mul_i32 s3, s15, 5
	s_cmp_lt_i32 s7, s33
	v_writelane_b32 v103, s3, 12
	s_mul_i32 s3, s15, 6
	s_cselect_b64 s[48:49], -1, 0
	s_add_i32 s7, s6, 8
	v_writelane_b32 v103, s3, 13
	s_mul_i32 s3, s15, 7
	s_cmp_lt_i32 s7, s33
	v_writelane_b32 v103, s3, 14
	;; [unrolled: 7-line block ×4, first 2 shown]
	s_mul_i32 s3, s15, 13
	s_cselect_b64 s[54:55], -1, 0
	s_add_i32 s7, s6, 11
	v_writelane_b32 v103, s3, 19
	s_mul_i32 s3, s15, 14
	s_cmp_lt_i32 s7, s33
	v_mov_b32_e32 v2, s24
	v_writelane_b32 v103, s3, 20
	s_mul_i32 s3, s15, 15
	s_cselect_b64 s[56:57], -1, 0
	s_add_i32 s7, s6, 12
	v_addc_co_u32_e32 v2, vcc, 0, v2, vcc
	v_writelane_b32 v103, s3, 21
	s_mul_i32 s3, s15, 17
	s_cmp_lt_i32 s7, s33
	v_add_co_u32_e32 v0, vcc, v0, v1
	v_writelane_b32 v103, s3, 22
	s_mul_i32 s3, s15, 18
	s_cselect_b64 s[58:59], -1, 0
	s_ashr_i32 s23, s15, 31
	s_mov_b32 s22, s15
	v_addc_co_u32_e32 v1, vcc, 0, v2, vcc
	v_writelane_b32 v103, s3, 23
	s_mul_i32 s3, s15, 19
	s_lshl_b64 s[60:61], s[22:23], 2
	v_mov_b32_e32 v2, s9
	v_add_co_u32_e32 v0, vcc, s8, v0
	v_writelane_b32 v103, s3, 24
	s_mul_i32 s3, s15, 20
	v_addc_co_u32_e32 v1, vcc, v2, v1, vcc
	s_lshl_b32 s7, s15, 1
	s_lshl_b32 s63, s15, 2
	;; [unrolled: 1-line block ×4, first 2 shown]
	v_writelane_b32 v103, s3, 25
	s_mul_i32 s80, s15, 21
	s_mul_i32 s81, s15, 22
	;; [unrolled: 1-line block ×9, first 2 shown]
	v_mov_b32_e32 v99, s25
	s_mul_i32 s89, s15, 30
	v_mov_b32_e32 v100, 0
	v_accvgpr_write_b32 a15, 0
	v_accvgpr_write_b32 a14, 0
	;; [unrolled: 1-line block ×16, first 2 shown]
	v_mov_b32_e32 v101, s61
	s_mul_i32 s61, s15, 31
	s_lshl_b32 s90, s15, 5
	s_mul_i32 s91, s15, 33
	s_mul_i32 s92, s15, 34
	;; [unrolled: 1-line block ×31, first 2 shown]
	s_mov_b64 s[8:9], 0
	s_branch .LBB102_6
.LBB102_5:                              ;   in Loop: Header=BB102_6 Depth=1
	s_waitcnt vmcnt(0)
	v_cvt_f16_f32_e32 v66, v66
	v_cvt_f16_f32_e32 v67, v67
	;; [unrolled: 1-line block ×4, first 2 shown]
	v_add_co_u32_e32 v0, vcc, 0x200, v0
	v_pack_b32_f16 v66, v66, v67
	v_cvt_f16_f32_e32 v67, v68
	v_cvt_f16_f32_e32 v68, v69
	;; [unrolled: 1-line block ×4, first 2 shown]
	v_pack_b32_f16 v70, v70, v71
	ds_write2_b32 v97, v66, v70 offset1:66
	v_pack_b32_f16 v66, v67, v68
	v_pack_b32_f16 v67, v69, v74
	v_cvt_f16_f32_e32 v68, v72
	v_cvt_f16_f32_e32 v69, v73
	ds_write2_b32 v97, v66, v67 offset0:132 offset1:198
	v_cvt_f16_f32_e32 v66, v78
	v_cvt_f16_f32_e32 v67, v79
	v_pack_b32_f16 v68, v68, v69
	v_cvt_f16_f32_e32 v69, v76
	v_cvt_f16_f32_e32 v70, v77
	v_pack_b32_f16 v66, v66, v67
	v_add_u32_e32 v67, 0x400, v97
	ds_write2_b32 v67, v68, v66 offset0:8 offset1:74
	v_pack_b32_f16 v66, v69, v70
	v_cvt_f16_f32_e32 v68, v82
	v_cvt_f16_f32_e32 v69, v83
	;; [unrolled: 1-line block ×6, first 2 shown]
	v_pack_b32_f16 v68, v68, v69
	ds_write2_b32 v67, v66, v68 offset0:140 offset1:206
	v_pack_b32_f16 v66, v70, v71
	v_pack_b32_f16 v67, v72, v73
	v_add_u32_e32 v68, 0x800, v97
	ds_write2_b32 v68, v66, v67 offset0:16 offset1:82
	v_cvt_f16_f32_e32 v66, v84
	v_cvt_f16_f32_e32 v67, v85
	;; [unrolled: 1-line block ×6, first 2 shown]
	v_pack_b32_f16 v66, v66, v67
	v_pack_b32_f16 v67, v69, v70
	ds_write2_b32 v68, v66, v67 offset0:148 offset1:214
	v_pack_b32_f16 v66, v71, v72
	v_add_u32_e32 v67, 0xc00, v97
	ds_write2_b32 v67, v66, v100 offset0:24 offset1:90
	ds_write2_b32 v67, v100, v100 offset0:156 offset1:222
	ds_read2_b64 v[66:69], v98 offset1:4
	s_waitcnt lgkmcnt(0)
	v_mfma_f32_16x16x16f16 a[0:3], v[16:17], v[66:67], a[0:3]
	v_add_u32_e32 v96, 0x80, v96
	v_addc_co_u32_e32 v1, vcc, 0, v1, vcc
	v_cmp_le_i32_e32 vcc, s12, v96
	s_or_b64 s[8:9], vcc, s[8:9]
	v_mfma_f32_16x16x16f16 a[4:7], v[34:35], v[66:67], a[4:7]
	v_mfma_f32_16x16x16f16 a[8:11], v[48:49], v[66:67], a[8:11]
	;; [unrolled: 1-line block ×4, first 2 shown]
	ds_read2_b64 v[14:17], v98 offset0:8 offset1:12
	v_mfma_f32_16x16x16f16 a[4:7], v[30:31], v[68:69], a[4:7]
	v_mfma_f32_16x16x16f16 a[8:11], v[46:47], v[68:69], a[8:11]
	;; [unrolled: 1-line block ×3, first 2 shown]
	s_waitcnt lgkmcnt(0)
	v_mfma_f32_16x16x16f16 a[0:3], v[10:11], v[14:15], a[0:3]
	v_mfma_f32_16x16x16f16 a[4:7], v[28:29], v[14:15], a[4:7]
	;; [unrolled: 1-line block ×8, first 2 shown]
	ds_read2_b64 v[14:17], v98 offset0:16 offset1:20
	s_waitcnt lgkmcnt(0)
	v_mfma_f32_16x16x16f16 a[0:3], v[12:13], v[14:15], a[0:3]
	v_mfma_f32_16x16x16f16 a[4:7], v[24:25], v[14:15], a[4:7]
	;; [unrolled: 1-line block ×5, first 2 shown]
	ds_read2_b64 v[6:9], v98 offset0:24 offset1:28
	v_mfma_f32_16x16x16f16 a[4:7], v[22:23], v[16:17], a[4:7]
	v_mfma_f32_16x16x16f16 a[8:11], v[38:39], v[16:17], a[8:11]
	;; [unrolled: 1-line block ×3, first 2 shown]
	s_waitcnt lgkmcnt(0)
	v_mfma_f32_16x16x16f16 a[0:3], v[4:5], v[6:7], a[0:3]
	v_mfma_f32_16x16x16f16 a[4:7], v[20:21], v[6:7], a[4:7]
	v_mfma_f32_16x16x16f16 a[8:11], v[36:37], v[6:7], a[8:11]
	v_mfma_f32_16x16x16f16 a[12:15], v[52:53], v[6:7], a[12:15]
	v_mfma_f32_16x16x16f16 a[0:3], v[2:3], v[8:9], a[0:3]
	v_mfma_f32_16x16x16f16 a[4:7], v[18:19], v[8:9], a[4:7]
	v_mfma_f32_16x16x16f16 a[8:11], v[32:33], v[8:9], a[8:11]
	v_mfma_f32_16x16x16f16 a[12:15], v[50:51], v[8:9], a[12:15]
	s_andn2_b64 exec, exec, s[8:9]
	s_cbranch_execz .LBB102_45
.LBB102_6:                              ; =>This Inner Loop Header: Depth=1
	v_add_co_u32_e32 v2, vcc, s60, v0
	v_addc_co_u32_e32 v3, vcc, v1, v101, vcc
	global_load_dword v18, v[0:1], off
	global_load_dword v19, v[2:3], off
	v_add_u32_e32 v2, s7, v96
	v_ashrrev_i32_e32 v3, 31, v2
	v_readlane_b32 s79, v103, 11
	v_lshlrev_b64 v[2:3], 2, v[2:3]
	v_add_u32_e32 v4, s79, v96
	v_add_co_u32_e32 v2, vcc, s0, v2
	v_ashrrev_i32_e32 v5, 31, v4
	v_addc_co_u32_e32 v3, vcc, v99, v3, vcc
	v_lshlrev_b64 v[4:5], 2, v[4:5]
	v_add_u32_e32 v6, s63, v96
	v_add_co_u32_e32 v4, vcc, s0, v4
	v_ashrrev_i32_e32 v7, 31, v6
	v_readlane_b32 s79, v103, 12
	v_addc_co_u32_e32 v5, vcc, v99, v5, vcc
	v_lshlrev_b64 v[6:7], 2, v[6:7]
	v_add_u32_e32 v8, s79, v96
	v_add_co_u32_e32 v6, vcc, s0, v6
	v_ashrrev_i32_e32 v9, 31, v8
	v_readlane_b32 s79, v103, 13
	;; [unrolled: 6-line block ×3, first 2 shown]
	v_addc_co_u32_e32 v9, vcc, v99, v9, vcc
	v_lshlrev_b64 v[10:11], 2, v[10:11]
	v_add_u32_e32 v12, s79, v96
	v_add_co_u32_e32 v10, vcc, s0, v10
	v_ashrrev_i32_e32 v13, 31, v12
	v_addc_co_u32_e32 v11, vcc, v99, v11, vcc
	v_lshlrev_b64 v[12:13], 2, v[12:13]
	v_add_u32_e32 v14, s67, v96
	v_add_co_u32_e32 v12, vcc, s0, v12
	v_ashrrev_i32_e32 v15, 31, v14
	v_readlane_b32 s79, v103, 15
	v_addc_co_u32_e32 v13, vcc, v99, v13, vcc
	v_lshlrev_b64 v[14:15], 2, v[14:15]
	v_add_u32_e32 v16, s79, v96
	v_add_co_u32_e32 v14, vcc, s0, v14
	v_ashrrev_i32_e32 v17, 31, v16
	v_addc_co_u32_e32 v15, vcc, v99, v15, vcc
	v_lshlrev_b64 v[16:17], 2, v[16:17]
	v_add_co_u32_e32 v16, vcc, s0, v16
	v_readlane_b32 s79, v103, 16
	v_addc_co_u32_e32 v17, vcc, v99, v17, vcc
	global_load_dword v20, v[2:3], off
	global_load_dword v21, v[4:5], off
	;; [unrolled: 1-line block ×6, first 2 shown]
	s_nop 0
	global_load_dword v14, v[14:15], off
	s_nop 0
	global_load_dword v15, v[16:17], off
	v_add_u32_e32 v2, s79, v96
	v_ashrrev_i32_e32 v3, 31, v2
	v_readlane_b32 s79, v103, 17
	v_lshlrev_b64 v[2:3], 2, v[2:3]
	v_add_u32_e32 v4, s79, v96
	v_add_co_u32_e32 v2, vcc, s0, v2
	v_ashrrev_i32_e32 v5, 31, v4
	v_readlane_b32 s79, v103, 18
	v_addc_co_u32_e32 v3, vcc, v99, v3, vcc
	v_lshlrev_b64 v[4:5], 2, v[4:5]
	v_add_u32_e32 v6, s79, v96
	v_add_co_u32_e32 v4, vcc, s0, v4
	v_ashrrev_i32_e32 v7, 31, v6
	v_readlane_b32 s79, v103, 19
	v_addc_co_u32_e32 v5, vcc, v99, v5, vcc
	;; [unrolled: 6-line block ×4, first 2 shown]
	v_lshlrev_b64 v[10:11], 2, v[10:11]
	v_add_u32_e32 v12, s79, v96
	v_add_co_u32_e32 v10, vcc, s0, v10
	v_ashrrev_i32_e32 v13, 31, v12
	v_addc_co_u32_e32 v11, vcc, v99, v11, vcc
	v_lshlrev_b64 v[12:13], 2, v[12:13]
	v_add_co_u32_e32 v12, vcc, s0, v12
	v_addc_co_u32_e32 v13, vcc, v99, v13, vcc
	global_load_dword v16, v[2:3], off
	global_load_dword v17, v[4:5], off
	s_nop 0
	global_load_dword v6, v[6:7], off
	s_nop 0
	;; [unrolled: 2-line block ×3, first 2 shown]
	global_load_dword v8, v[10:11], off
	global_load_dword v9, v[12:13], off
	v_add_u32_e32 v2, s75, v96
	v_ashrrev_i32_e32 v3, 31, v2
	v_readlane_b32 s79, v103, 22
	v_lshlrev_b64 v[2:3], 2, v[2:3]
	v_add_u32_e32 v4, s79, v96
	v_add_co_u32_e32 v2, vcc, s0, v2
	v_ashrrev_i32_e32 v5, 31, v4
	v_addc_co_u32_e32 v3, vcc, v99, v3, vcc
	v_lshlrev_b64 v[4:5], 2, v[4:5]
	s_waitcnt vmcnt(15)
	ds_write_b32 v97, v18
	s_waitcnt vmcnt(14)
	ds_write_b32 v97, v19 offset:264
	s_waitcnt vmcnt(13)
	ds_write_b32 v97, v20 offset:528
	;; [unrolled: 2-line block ×9, first 2 shown]
	v_add_co_u32_e32 v4, vcc, s0, v4
	v_readlane_b32 s79, v103, 23
	v_addc_co_u32_e32 v5, vcc, v99, v5, vcc
	global_load_dword v18, v[2:3], off
	global_load_dword v19, v[4:5], off
	v_add_u32_e32 v2, s79, v96
	v_ashrrev_i32_e32 v3, 31, v2
	v_readlane_b32 s79, v103, 24
	v_lshlrev_b64 v[2:3], 2, v[2:3]
	v_add_u32_e32 v4, s79, v96
	v_add_co_u32_e32 v2, vcc, s0, v2
	v_ashrrev_i32_e32 v5, 31, v4
	v_readlane_b32 s79, v103, 25
	s_waitcnt vmcnt(7)
	ds_write_b32 v97, v16 offset:2640
	s_waitcnt vmcnt(6)
	ds_write_b32 v97, v17 offset:2904
	;; [unrolled: 2-line block ×6, first 2 shown]
	v_addc_co_u32_e32 v3, vcc, v99, v3, vcc
	v_lshlrev_b64 v[4:5], 2, v[4:5]
	v_add_u32_e32 v6, s79, v96
	v_add_co_u32_e32 v4, vcc, s0, v4
	v_ashrrev_i32_e32 v7, 31, v6
	v_addc_co_u32_e32 v5, vcc, v99, v5, vcc
	v_lshlrev_b64 v[6:7], 2, v[6:7]
	v_add_u32_e32 v8, s80, v96
	v_add_co_u32_e32 v6, vcc, s0, v6
	v_ashrrev_i32_e32 v9, 31, v8
	v_addc_co_u32_e32 v7, vcc, v99, v7, vcc
	v_lshlrev_b64 v[8:9], 2, v[8:9]
	v_add_u32_e32 v10, s81, v96
	v_add_co_u32_e32 v8, vcc, s0, v8
	v_ashrrev_i32_e32 v11, 31, v10
	v_addc_co_u32_e32 v9, vcc, v99, v9, vcc
	v_lshlrev_b64 v[10:11], 2, v[10:11]
	v_add_u32_e32 v12, s82, v96
	v_add_co_u32_e32 v10, vcc, s0, v10
	v_ashrrev_i32_e32 v13, 31, v12
	v_addc_co_u32_e32 v11, vcc, v99, v11, vcc
	v_lshlrev_b64 v[12:13], 2, v[12:13]
	v_add_u32_e32 v14, s83, v96
	v_add_co_u32_e32 v12, vcc, s0, v12
	v_ashrrev_i32_e32 v15, 31, v14
	v_addc_co_u32_e32 v13, vcc, v99, v13, vcc
	v_lshlrev_b64 v[14:15], 2, v[14:15]
	v_add_u32_e32 v16, s84, v96
	v_add_co_u32_e32 v14, vcc, s0, v14
	v_ashrrev_i32_e32 v17, 31, v16
	v_addc_co_u32_e32 v15, vcc, v99, v15, vcc
	v_lshlrev_b64 v[16:17], 2, v[16:17]
	v_add_co_u32_e32 v16, vcc, s0, v16
	v_addc_co_u32_e32 v17, vcc, v99, v17, vcc
	global_load_dword v24, v[2:3], off
	global_load_dword v25, v[4:5], off
	global_load_dword v26, v[6:7], off
	global_load_dword v27, v[8:9], off
	global_load_dword v28, v[10:11], off
	global_load_dword v29, v[12:13], off
	global_load_dword v30, v[14:15], off
	global_load_dword v31, v[16:17], off
	v_add_u32_e32 v2, s85, v96
	v_ashrrev_i32_e32 v3, 31, v2
	v_lshlrev_b64 v[2:3], 2, v[2:3]
	v_add_u32_e32 v4, s86, v96
	v_add_co_u32_e32 v2, vcc, s0, v2
	v_ashrrev_i32_e32 v5, 31, v4
	v_addc_co_u32_e32 v3, vcc, v99, v3, vcc
	v_lshlrev_b64 v[4:5], 2, v[4:5]
	v_add_u32_e32 v6, s87, v96
	v_add_co_u32_e32 v4, vcc, s0, v4
	v_ashrrev_i32_e32 v7, 31, v6
	v_addc_co_u32_e32 v5, vcc, v99, v5, vcc
	v_lshlrev_b64 v[6:7], 2, v[6:7]
	v_add_u32_e32 v8, s88, v96
	v_add_co_u32_e32 v6, vcc, s0, v6
	v_ashrrev_i32_e32 v9, 31, v8
	v_addc_co_u32_e32 v7, vcc, v99, v7, vcc
	v_lshlrev_b64 v[8:9], 2, v[8:9]
	v_add_u32_e32 v10, s89, v96
	v_add_co_u32_e32 v8, vcc, s0, v8
	v_ashrrev_i32_e32 v11, 31, v10
	v_addc_co_u32_e32 v9, vcc, v99, v9, vcc
	v_lshlrev_b64 v[10:11], 2, v[10:11]
	v_add_u32_e32 v12, s61, v96
	v_add_co_u32_e32 v10, vcc, s0, v10
	v_ashrrev_i32_e32 v13, 31, v12
	v_addc_co_u32_e32 v11, vcc, v99, v11, vcc
	v_lshlrev_b64 v[12:13], 2, v[12:13]
	v_add_u32_e32 v14, s90, v96
	v_add_co_u32_e32 v12, vcc, s0, v12
	v_ashrrev_i32_e32 v15, 31, v14
	v_addc_co_u32_e32 v13, vcc, v99, v13, vcc
	v_lshlrev_b64 v[14:15], 2, v[14:15]
	v_add_u32_e32 v16, s91, v96
	v_add_co_u32_e32 v14, vcc, s0, v14
	v_ashrrev_i32_e32 v17, 31, v16
	v_addc_co_u32_e32 v15, vcc, v99, v15, vcc
	v_lshlrev_b64 v[16:17], 2, v[16:17]
	v_add_co_u32_e32 v16, vcc, s0, v16
	v_addc_co_u32_e32 v17, vcc, v99, v17, vcc
	global_load_dword v32, v[2:3], off
	global_load_dword v33, v[4:5], off
	global_load_dword v34, v[6:7], off
	global_load_dword v35, v[8:9], off
	global_load_dword v36, v[10:11], off
	global_load_dword v37, v[12:13], off
	global_load_dword v38, v[14:15], off
	global_load_dword v39, v[16:17], off
	v_add_u32_e32 v2, s92, v96
	v_ashrrev_i32_e32 v3, 31, v2
	v_lshlrev_b64 v[2:3], 2, v[2:3]
	v_add_u32_e32 v4, s93, v96
	v_add_co_u32_e32 v2, vcc, s0, v2
	v_ashrrev_i32_e32 v5, 31, v4
	;; [unrolled: 48-line block ×5, first 2 shown]
	v_addc_co_u32_e32 v3, vcc, v99, v3, vcc
	v_lshlrev_b64 v[4:5], 2, v[4:5]
	v_add_u32_e32 v6, s76, v96
	v_add_co_u32_e32 v4, vcc, s0, v4
	v_ashrrev_i32_e32 v7, 31, v6
	v_addc_co_u32_e32 v5, vcc, v99, v5, vcc
	v_lshlrev_b64 v[6:7], 2, v[6:7]
	v_add_co_u32_e32 v8, vcc, s0, v6
	v_add_u32_e32 v6, s77, v96
	v_addc_co_u32_e32 v9, vcc, v99, v7, vcc
	v_ashrrev_i32_e32 v7, 31, v6
	v_lshlrev_b64 v[6:7], 2, v[6:7]
	v_add_co_u32_e32 v12, vcc, s0, v6
	v_add_u32_e32 v6, s78, v96
	v_addc_co_u32_e32 v13, vcc, v99, v7, vcc
	v_ashrrev_i32_e32 v7, 31, v6
	;; [unrolled: 5-line block ×3, first 2 shown]
	v_lshlrev_b64 v[6:7], 2, v[6:7]
	v_add_co_u32_e32 v22, vcc, s0, v6
	v_addc_co_u32_e32 v23, vcc, v99, v7, vcc
	ds_read_b64 v[16:17], v98
	ds_read_b64 v[14:15], v98 offset:32
	ds_read_b64 v[10:11], v98 offset:64
	;; [unrolled: 1-line block ×3, first 2 shown]
	global_load_dword v64, v[2:3], off
	global_load_dword v65, v[4:5], off
	;; [unrolled: 1-line block ×6, first 2 shown]
	ds_read_b64 v[12:13], v98 offset:128
	ds_read_b64 v[8:9], v98 offset:160
	ds_read_b64 v[4:5], v98 offset:192
	ds_read_b64 v[2:3], v98 offset:224
	s_waitcnt vmcnt(47)
	ds_write_b32 v97, v18
	s_waitcnt vmcnt(46)
	ds_write_b32 v97, v19 offset:264
	s_waitcnt vmcnt(45)
	ds_write_b32 v97, v24 offset:528
	s_waitcnt vmcnt(44)
	ds_write_b32 v97, v25 offset:792
	s_waitcnt vmcnt(43)
	ds_write_b32 v97, v26 offset:1056
	s_waitcnt vmcnt(42)
	ds_write_b32 v97, v27 offset:1320
	s_waitcnt vmcnt(41)
	ds_write_b32 v97, v28 offset:1584
	s_waitcnt vmcnt(40)
	ds_write_b32 v97, v29 offset:1848
	s_waitcnt vmcnt(39)
	ds_write_b32 v97, v30 offset:2112
	s_waitcnt vmcnt(38)
	ds_write_b32 v97, v31 offset:2376
	s_waitcnt vmcnt(37)
	ds_write_b32 v97, v32 offset:2640
	s_waitcnt vmcnt(36)
	ds_write_b32 v97, v33 offset:2904
	s_waitcnt vmcnt(35)
	ds_write_b32 v97, v34 offset:3168
	s_waitcnt vmcnt(34)
	ds_write_b32 v97, v35 offset:3432
	s_waitcnt vmcnt(33)
	ds_write_b32 v97, v36 offset:3696
	s_waitcnt vmcnt(32)
	ds_write_b32 v97, v37 offset:3960
	ds_read_b64 v[34:35], v98
	ds_read_b64 v[30:31], v98 offset:32
	ds_read_b64 v[28:29], v98 offset:64
	ds_read_b64 v[26:27], v98 offset:96
	ds_read_b64 v[24:25], v98 offset:128
	ds_read_b64 v[22:23], v98 offset:160
	ds_read_b64 v[20:21], v98 offset:192
	ds_read_b64 v[18:19], v98 offset:224
	s_waitcnt vmcnt(31)
	ds_write_b32 v97, v38
	s_waitcnt vmcnt(30)
	ds_write_b32 v97, v39 offset:264
	s_waitcnt vmcnt(29)
	ds_write_b32 v97, v40 offset:528
	s_waitcnt vmcnt(28)
	ds_write_b32 v97, v41 offset:792
	s_waitcnt vmcnt(27)
	ds_write_b32 v97, v42 offset:1056
	s_waitcnt vmcnt(26)
	ds_write_b32 v97, v43 offset:1320
	s_waitcnt vmcnt(25)
	ds_write_b32 v97, v44 offset:1584
	s_waitcnt vmcnt(24)
	ds_write_b32 v97, v45 offset:1848
	s_waitcnt vmcnt(23)
	ds_write_b32 v97, v46 offset:2112
	s_waitcnt vmcnt(22)
	ds_write_b32 v97, v47 offset:2376
	s_waitcnt vmcnt(21)
	ds_write_b32 v97, v48 offset:2640
	s_waitcnt vmcnt(20)
	ds_write_b32 v97, v49 offset:2904
	s_waitcnt vmcnt(19)
	ds_write_b32 v97, v50 offset:3168
	s_waitcnt vmcnt(18)
	ds_write_b32 v97, v51 offset:3432
	s_waitcnt vmcnt(17)
	ds_write_b32 v97, v52 offset:3696
	s_waitcnt vmcnt(16)
	ds_write_b32 v97, v53 offset:3960
	ds_read_b64 v[48:49], v98
	ds_read_b64 v[46:47], v98 offset:32
	ds_read_b64 v[44:45], v98 offset:64
	ds_read_b64 v[42:43], v98 offset:96
	;; [unrolled: 40-line block ×3, first 2 shown]
	ds_read_b64 v[60:61], v98 offset:128
	ds_read_b64 v[56:57], v98 offset:160
	;; [unrolled: 1-line block ×4, first 2 shown]
	s_andn2_b64 vcc, exec, s[4:5]
	v_mov_b32_e32 v66, 0
	v_mov_b32_e32 v67, 0
	s_cbranch_vccnz .LBB102_9
; %bb.7:                                ;   in Loop: Header=BB102_6 Depth=1
	s_load_dword vcc_lo, s[34:35], 0x0
	v_mov_b32_e32 v67, 0
	v_mov_b32_e32 v66, 0
	s_waitcnt lgkmcnt(0)
	s_mul_hi_u32 vcc_hi, vcc_lo, s16
	s_add_i32 vcc_hi, vcc_lo, vcc_hi
	s_lshr_b32 s79, vcc_hi, s17
	s_cmp_ge_i32 s79, s13
	s_cbranch_scc1 .LBB102_9
; %bb.8:                                ;   in Loop: Header=BB102_6 Depth=1
	s_mul_i32 vcc_hi, s79, s18
	s_sub_i32 vcc_lo, vcc_lo, vcc_hi
	s_mul_i32 s79, s79, s20
	s_mul_i32 vcc_lo, vcc_lo, s1
	v_add_u32_e32 v66, s79, v96
	v_lshl_add_u32 v66, v66, 1, vcc_lo
	v_ashrrev_i32_e32 v67, 31, v66
	v_lshlrev_b64 v[66:67], 2, v[66:67]
	v_mov_b32_e32 v68, s11
	v_add_co_u32_e32 v66, vcc, s10, v66
	v_addc_co_u32_e32 v67, vcc, v68, v67, vcc
	global_load_dwordx2 v[66:67], v[66:67], off
.LBB102_9:                              ;   in Loop: Header=BB102_6 Depth=1
	s_andn2_b64 vcc, exec, s[36:37]
	v_mov_b32_e32 v68, 0
	v_mov_b32_e32 v70, 0
	v_mov_b32_e32 v71, 0
	s_cbranch_vccnz .LBB102_12
; %bb.10:                               ;   in Loop: Header=BB102_6 Depth=1
	s_load_dword vcc_lo, s[34:35], 0x4
	v_mov_b32_e32 v71, 0
	v_mov_b32_e32 v70, 0
	s_waitcnt lgkmcnt(0)
	s_mul_hi_u32 s79, vcc_lo, s16
	s_add_i32 s79, vcc_lo, s79
	s_lshr_b32 vcc_hi, s79, s17
	s_cmp_ge_i32 vcc_hi, s13
	s_cbranch_scc1 .LBB102_12
; %bb.11:                               ;   in Loop: Header=BB102_6 Depth=1
	s_mul_i32 s79, vcc_hi, s18
	s_sub_i32 s79, vcc_lo, s79
	s_mul_i32 vcc_hi, vcc_hi, s20
	s_mul_i32 s79, s79, s1
	v_add_u32_e32 v69, vcc_hi, v96
	v_lshl_add_u32 v70, v69, 1, s79
	v_ashrrev_i32_e32 v71, 31, v70
	v_lshlrev_b64 v[70:71], 2, v[70:71]
	v_mov_b32_e32 v69, s11
	v_add_co_u32_e32 v70, vcc, s10, v70
	v_addc_co_u32_e32 v71, vcc, v69, v71, vcc
	global_load_dwordx2 v[70:71], v[70:71], off
.LBB102_12:                             ;   in Loop: Header=BB102_6 Depth=1
	s_andn2_b64 vcc, exec, s[38:39]
	v_mov_b32_e32 v69, 0
	s_cbranch_vccnz .LBB102_15
; %bb.13:                               ;   in Loop: Header=BB102_6 Depth=1
	s_load_dword vcc_lo, s[34:35], 0x8
	v_mov_b32_e32 v69, 0
	v_mov_b32_e32 v68, 0
	s_waitcnt lgkmcnt(0)
	s_mul_hi_u32 s79, vcc_lo, s16
	s_add_i32 s79, vcc_lo, s79
	s_lshr_b32 vcc_hi, s79, s17
	s_cmp_ge_i32 vcc_hi, s13
	s_cbranch_scc1 .LBB102_15
; %bb.14:                               ;   in Loop: Header=BB102_6 Depth=1
	s_mul_i32 s79, vcc_hi, s18
	s_sub_i32 s79, vcc_lo, s79
	s_mul_i32 vcc_hi, vcc_hi, s20
	s_mul_i32 s79, s79, s1
	v_add_u32_e32 v68, vcc_hi, v96
	v_lshl_add_u32 v68, v68, 1, s79
	v_ashrrev_i32_e32 v69, 31, v68
	v_lshlrev_b64 v[68:69], 2, v[68:69]
	v_mov_b32_e32 v72, s11
	v_add_co_u32_e32 v68, vcc, s10, v68
	v_addc_co_u32_e32 v69, vcc, v72, v69, vcc
	global_load_dwordx2 v[68:69], v[68:69], off
.LBB102_15:                             ;   in Loop: Header=BB102_6 Depth=1
	s_andn2_b64 vcc, exec, s[40:41]
	v_mov_b32_e32 v72, 0
	v_mov_b32_e32 v74, 0
	v_mov_b32_e32 v75, 0
	s_cbranch_vccnz .LBB102_18
; %bb.16:                               ;   in Loop: Header=BB102_6 Depth=1
	s_load_dword vcc_lo, s[34:35], 0xc
	v_mov_b32_e32 v75, 0
	v_mov_b32_e32 v74, 0
	s_waitcnt lgkmcnt(0)
	s_mul_hi_u32 s79, vcc_lo, s16
	s_add_i32 s79, vcc_lo, s79
	s_lshr_b32 vcc_hi, s79, s17
	s_cmp_ge_i32 vcc_hi, s13
	s_cbranch_scc1 .LBB102_18
; %bb.17:                               ;   in Loop: Header=BB102_6 Depth=1
	s_mul_i32 s79, vcc_hi, s18
	s_sub_i32 s79, vcc_lo, s79
	s_mul_i32 vcc_hi, vcc_hi, s20
	s_mul_i32 s79, s79, s1
	v_add_u32_e32 v73, vcc_hi, v96
	v_lshl_add_u32 v74, v73, 1, s79
	v_ashrrev_i32_e32 v75, 31, v74
	v_lshlrev_b64 v[74:75], 2, v[74:75]
	v_mov_b32_e32 v73, s11
	v_add_co_u32_e32 v74, vcc, s10, v74
	v_addc_co_u32_e32 v75, vcc, v73, v75, vcc
	global_load_dwordx2 v[74:75], v[74:75], off
.LBB102_18:                             ;   in Loop: Header=BB102_6 Depth=1
	s_andn2_b64 vcc, exec, s[42:43]
	v_mov_b32_e32 v73, 0
	s_cbranch_vccnz .LBB102_21
; %bb.19:                               ;   in Loop: Header=BB102_6 Depth=1
	s_load_dword vcc_lo, s[34:35], 0x10
	v_mov_b32_e32 v73, 0
	v_mov_b32_e32 v72, 0
	s_waitcnt lgkmcnt(0)
	s_mul_hi_u32 s79, vcc_lo, s16
	s_add_i32 s79, vcc_lo, s79
	s_lshr_b32 vcc_hi, s79, s17
	s_cmp_ge_i32 vcc_hi, s13
	s_cbranch_scc1 .LBB102_21
; %bb.20:                               ;   in Loop: Header=BB102_6 Depth=1
	s_mul_i32 s79, vcc_hi, s18
	s_sub_i32 s79, vcc_lo, s79
	s_mul_i32 vcc_hi, vcc_hi, s20
	s_mul_i32 s79, s79, s1
	v_add_u32_e32 v72, vcc_hi, v96
	v_lshl_add_u32 v72, v72, 1, s79
	v_ashrrev_i32_e32 v73, 31, v72
	v_lshlrev_b64 v[72:73], 2, v[72:73]
	v_mov_b32_e32 v76, s11
	v_add_co_u32_e32 v72, vcc, s10, v72
	v_addc_co_u32_e32 v73, vcc, v76, v73, vcc
	global_load_dwordx2 v[72:73], v[72:73], off
.LBB102_21:                             ;   in Loop: Header=BB102_6 Depth=1
	;; [unrolled: 56-line block ×5, first 2 shown]
	s_andn2_b64 vcc, exec, s[56:57]
	v_mov_b32_e32 v88, 0
	v_mov_b32_e32 v90, 0
	;; [unrolled: 1-line block ×3, first 2 shown]
	s_cbranch_vccnz .LBB102_42
; %bb.40:                               ;   in Loop: Header=BB102_6 Depth=1
	s_load_dword vcc_lo, s[34:35], 0x2c
	v_mov_b32_e32 v91, 0
	v_mov_b32_e32 v90, 0
	s_waitcnt lgkmcnt(0)
	s_mul_hi_u32 s79, vcc_lo, s16
	s_add_i32 s79, vcc_lo, s79
	s_lshr_b32 vcc_hi, s79, s17
	s_cmp_ge_i32 vcc_hi, s13
	s_cbranch_scc1 .LBB102_42
; %bb.41:                               ;   in Loop: Header=BB102_6 Depth=1
	s_mul_i32 s79, vcc_hi, s18
	s_sub_i32 s79, vcc_lo, s79
	s_mul_i32 vcc_hi, vcc_hi, s20
	s_mul_i32 s79, s79, s1
	v_add_u32_e32 v89, vcc_hi, v96
	v_lshl_add_u32 v90, v89, 1, s79
	v_ashrrev_i32_e32 v91, 31, v90
	v_lshlrev_b64 v[90:91], 2, v[90:91]
	v_mov_b32_e32 v89, s11
	v_add_co_u32_e32 v90, vcc, s10, v90
	v_addc_co_u32_e32 v91, vcc, v89, v91, vcc
	global_load_dwordx2 v[90:91], v[90:91], off
.LBB102_42:                             ;   in Loop: Header=BB102_6 Depth=1
	s_andn2_b64 vcc, exec, s[58:59]
	v_mov_b32_e32 v89, 0
	s_cbranch_vccnz .LBB102_5
; %bb.43:                               ;   in Loop: Header=BB102_6 Depth=1
	s_load_dword vcc_lo, s[34:35], 0x30
	v_mov_b32_e32 v89, 0
	v_mov_b32_e32 v88, 0
	s_waitcnt lgkmcnt(0)
	s_mul_hi_u32 s79, vcc_lo, s16
	s_add_i32 s79, vcc_lo, s79
	s_lshr_b32 vcc_hi, s79, s17
	s_cmp_ge_i32 vcc_hi, s13
	s_cbranch_scc1 .LBB102_5
; %bb.44:                               ;   in Loop: Header=BB102_6 Depth=1
	s_mul_i32 s79, vcc_hi, s18
	s_sub_i32 s79, vcc_lo, s79
	s_mul_i32 vcc_hi, vcc_hi, s20
	s_mul_i32 s79, s79, s1
	v_add_u32_e32 v88, vcc_hi, v96
	v_lshl_add_u32 v88, v88, 1, s79
	v_ashrrev_i32_e32 v89, 31, v88
	v_lshlrev_b64 v[88:89], 2, v[88:89]
	v_mov_b32_e32 v102, s11
	v_add_co_u32_e32 v88, vcc, s10, v88
	v_addc_co_u32_e32 v89, vcc, v102, v89, vcc
	global_load_dwordx2 v[88:89], v[88:89], off
	s_branch .LBB102_5
.LBB102_45:
	s_or_b64 exec, exec, s[8:9]
	v_readlane_b32 s24, v103, 6
	v_readlane_b32 s26, v103, 9
	;; [unrolled: 1-line block ×5, first 2 shown]
.LBB102_46:
	v_readlane_b32 s0, v103, 4
	v_readlane_b32 s1, v103, 5
	s_or_b64 exec, exec, s[0:1]
	s_lshl_b64 s[0:1], s[26:27], 2
	v_readlane_b32 s4, v103, 0
	v_mul_u32_u24_e32 v0, 0x208, v95
	v_lshlrev_b32_e32 v1, 2, v94
	v_or_b32_e32 v2, 12, v93
	v_readlane_b32 s5, v103, 1
	s_add_u32 s3, s4, s0
	v_add3_u32 v0, 0, v0, v1
	v_and_b32_e32 v1, 0x3f0, v93
	v_and_b32_e32 v2, 0x3fc, v2
	s_addc_u32 s8, s5, s1
	v_add_u32_e32 v1, v0, v1
	v_add_u32_e32 v0, v0, v2
	s_barrier
	ds_write2_b32 v1, a0, a1 offset1:1
	ds_write_b32 v1, a2 offset:8
	ds_write_b32 v0, a3
	ds_write2_b32 v1, a4, a5 offset0:16 offset1:17
	ds_write_b32 v1, a6 offset:72
	ds_write_b32 v0, a7 offset:64
	ds_write2_b32 v1, a8, a9 offset0:32 offset1:33
	ds_write_b32 v1, a10 offset:136
	ds_write_b32 v0, a11 offset:128
	;; [unrolled: 3-line block ×3, first 2 shown]
	s_cmp_gt_i32 s14, 0
	v_add_u32_e32 v0, s6, v92
	s_cselect_b64 s[4:5], -1, 0
	v_cmp_gt_i32_e64 s[0:1], s33, v0
	v_cmp_gt_u32_e32 vcc, 13, v92
	s_and_b64 s[0:1], s[4:5], s[0:1]
	v_lshl_add_u32 v5, v93, 2, 0
	v_add_u32_e32 v4, s7, v93
	v_mul_u32_u24_e32 v6, 0x208, v92
	s_and_b64 s[10:11], vcc, s[0:1]
	s_waitcnt lgkmcnt(0)
	s_barrier
	s_and_saveexec_b64 s[0:1], s[10:11]
	v_readlane_b32 s14, v103, 2
	v_readlane_b32 s15, v103, 3
	s_cbranch_execz .LBB102_49
; %bb.47:
	v_ashrrev_i32_e32 v1, 31, v0
	v_lshlrev_b64 v[2:3], 2, v[0:1]
	v_mov_b32_e32 v1, s8
	v_add_co_u32_e32 v2, vcc, s3, v2
	v_addc_co_u32_e32 v3, vcc, v1, v3, vcc
	global_load_dword v1, v[2:3], off
	s_waitcnt vmcnt(0)
	v_mul_hi_u32 v2, v1, s19
	v_add_u32_e32 v2, v1, v2
	v_lshrrev_b32_e32 v2, s24, v2
	v_cmp_gt_i32_e32 vcc, s13, v2
	s_and_b64 exec, exec, vcc
	s_cbranch_execz .LBB102_49
; %bb.48:
	v_add_u32_e32 v3, v5, v6
	ds_read2st64_b32 v[8:9], v3 offset1:1
	v_mul_lo_u32 v3, v2, s25
	v_sub_u32_e32 v1, v1, v3
	v_mul_lo_u32 v2, v2, s21
	v_mul_lo_u32 v1, v1, s2
	s_waitcnt lgkmcnt(0)
	v_add_f32_e32 v3, 0, v8
	v_add_f32_e32 v7, v3, v9
	v_add3_u32 v2, v4, v2, v1
	v_mov_b32_e32 v3, 0
	v_lshlrev_b64 v[2:3], 2, v[2:3]
	v_mov_b32_e32 v1, s15
	v_add_co_u32_e32 v2, vcc, s14, v2
	v_addc_co_u32_e32 v3, vcc, v1, v3, vcc
	global_store_dword v[2:3], v7, off
.LBB102_49:
	s_or_b64 exec, exec, s[0:1]
	v_add_u32_e32 v1, 2, v0
	v_cmp_gt_i32_e64 s[0:1], s33, v1
	v_cmp_gt_u32_e32 vcc, 11, v92
	s_and_b64 s[0:1], s[4:5], s[0:1]
	s_and_b64 s[10:11], vcc, s[0:1]
	s_and_saveexec_b64 s[0:1], s[10:11]
	s_cbranch_execz .LBB102_52
; %bb.50:
	s_ashr_i32 s7, s6, 31
	v_mov_b32_e32 v1, s7
	v_add_co_u32_e32 v2, vcc, s6, v92
	v_addc_co_u32_e32 v3, vcc, 0, v1, vcc
	v_lshlrev_b64 v[2:3], 2, v[2:3]
	v_mov_b32_e32 v1, s8
	v_add_co_u32_e32 v2, vcc, s3, v2
	v_addc_co_u32_e32 v3, vcc, v1, v3, vcc
	global_load_dword v1, v[2:3], off offset:8
	v_mov_b32_e32 v3, 0
	s_waitcnt vmcnt(0)
	v_mul_hi_u32 v2, v1, s19
	v_add_u32_e32 v2, v1, v2
	v_lshrrev_b32_e32 v2, s24, v2
	v_cmp_gt_i32_e32 vcc, s13, v2
	s_and_b64 exec, exec, vcc
	s_cbranch_execz .LBB102_52
; %bb.51:
	v_add_u32_e32 v7, v6, v5
	v_add_u32_e32 v7, 16, v7
	ds_read2st64_b32 v[8:9], v7 offset0:4 offset1:5
	v_mul_lo_u32 v7, v2, s25
	v_sub_u32_e32 v1, v1, v7
	v_mul_lo_u32 v2, v2, s21
	v_mul_lo_u32 v1, v1, s2
	v_add3_u32 v2, v4, v2, v1
	v_lshlrev_b64 v[2:3], 2, v[2:3]
	s_waitcnt lgkmcnt(0)
	v_add_f32_e32 v7, 0, v8
	v_mov_b32_e32 v1, s15
	v_add_co_u32_e32 v2, vcc, s14, v2
	v_add_f32_e32 v7, v7, v9
	v_addc_co_u32_e32 v3, vcc, v1, v3, vcc
	global_store_dword v[2:3], v7, off
.LBB102_52:
	s_or_b64 exec, exec, s[0:1]
	v_add_u32_e32 v1, 4, v0
	v_cmp_gt_i32_e64 s[0:1], s33, v1
	v_cmp_gt_u32_e32 vcc, 9, v92
	s_and_b64 s[0:1], s[4:5], s[0:1]
	s_and_b64 s[10:11], vcc, s[0:1]
	s_and_saveexec_b64 s[0:1], s[10:11]
	s_cbranch_execz .LBB102_55
; %bb.53:
	s_ashr_i32 s7, s6, 31
	v_mov_b32_e32 v1, s7
	v_add_co_u32_e32 v2, vcc, s6, v92
	v_addc_co_u32_e32 v3, vcc, 0, v1, vcc
	v_lshlrev_b64 v[2:3], 2, v[2:3]
	v_mov_b32_e32 v1, s8
	v_add_co_u32_e32 v2, vcc, s3, v2
	v_addc_co_u32_e32 v3, vcc, v1, v3, vcc
	global_load_dword v1, v[2:3], off offset:16
	v_mov_b32_e32 v3, 0
	s_waitcnt vmcnt(0)
	v_mul_hi_u32 v2, v1, s19
	v_add_u32_e32 v2, v1, v2
	v_lshrrev_b32_e32 v2, s24, v2
	v_cmp_gt_i32_e32 vcc, s13, v2
	s_and_b64 exec, exec, vcc
	s_cbranch_execz .LBB102_55
; %bb.54:
	v_add_u32_e32 v7, v5, v6
	v_add_u32_e32 v7, 32, v7
	ds_read2st64_b32 v[8:9], v7 offset0:8 offset1:9
	v_mul_lo_u32 v7, v2, s25
	v_sub_u32_e32 v1, v1, v7
	v_mul_lo_u32 v2, v2, s21
	v_mul_lo_u32 v1, v1, s2
	v_add3_u32 v2, v4, v2, v1
	v_lshlrev_b64 v[2:3], 2, v[2:3]
	s_waitcnt lgkmcnt(0)
	v_add_f32_e32 v7, 0, v8
	v_mov_b32_e32 v1, s15
	v_add_co_u32_e32 v2, vcc, s14, v2
	v_add_f32_e32 v7, v7, v9
	v_addc_co_u32_e32 v3, vcc, v1, v3, vcc
	global_store_dword v[2:3], v7, off
.LBB102_55:
	;; [unrolled: 44-line block ×5, first 2 shown]
	s_or_b64 exec, exec, s[0:1]
	v_cmp_eq_u32_e32 vcc, 0, v92
	s_and_saveexec_b64 s[0:1], vcc
	s_cbranch_execz .LBB102_68
; %bb.65:
	s_add_i32 s0, s6, 12
	s_cmp_ge_i32 s0, s33
	s_cselect_b64 s[0:1], -1, 0
	s_xor_b64 s[4:5], s[4:5], -1
	s_or_b64 s[0:1], s[4:5], s[0:1]
	s_and_b64 vcc, exec, s[0:1]
	s_cbranch_vccnz .LBB102_68
; %bb.66:
	s_ashr_i32 s7, s6, 31
	s_lshl_b64 s[0:1], s[6:7], 2
	s_add_u32 s0, s3, s0
	s_addc_u32 s1, s8, s1
	s_load_dword s0, s[0:1], 0x30
	s_waitcnt lgkmcnt(0)
	s_mul_hi_u32 s1, s0, s19
	s_add_i32 s1, s0, s1
	s_lshr_b32 s1, s1, s24
	s_cmp_ge_i32 s1, s13
	s_cbranch_scc1 .LBB102_68
; %bb.67:
	v_add_u32_e32 v0, 0x60, v5
	ds_read2st64_b32 v[0:1], v0 offset0:24 offset1:25
	s_mul_i32 s3, s1, s25
	s_sub_i32 s0, s0, s3
	s_mul_i32 s1, s1, s21
	s_mul_i32 s0, s0, s2
	s_waitcnt lgkmcnt(0)
	v_add_f32_e32 v0, 0, v0
	s_add_i32 s0, s0, s1
	v_add_f32_e32 v2, v0, v1
	v_add_u32_e32 v0, s0, v4
	v_mov_b32_e32 v1, 0
	v_lshlrev_b64 v[0:1], 2, v[0:1]
	v_mov_b32_e32 v3, s15
	v_add_co_u32_e32 v0, vcc, s14, v0
	v_addc_co_u32_e32 v1, vcc, v3, v1, vcc
	global_store_dword v[0:1], v2, off
.LBB102_68:
	s_endpgm
	.section	.rodata,"a",@progbits
	.p2align	6, 0x0
	.amdhsa_kernel _ZL13mul_mat_f_idsI7__half2Li64ELi13ELi2EEvPKT_PKfPKiS7_S7_Pfiiiiiiiiiiiiii15HIP_vector_typeIjLj3EESA_
		.amdhsa_group_segment_fixed_size 0
		.amdhsa_private_segment_fixed_size 0
		.amdhsa_kernarg_size 128
		.amdhsa_user_sgpr_count 6
		.amdhsa_user_sgpr_private_segment_buffer 1
		.amdhsa_user_sgpr_dispatch_ptr 0
		.amdhsa_user_sgpr_queue_ptr 0
		.amdhsa_user_sgpr_kernarg_segment_ptr 1
		.amdhsa_user_sgpr_dispatch_id 0
		.amdhsa_user_sgpr_flat_scratch_init 0
		.amdhsa_user_sgpr_kernarg_preload_length 0
		.amdhsa_user_sgpr_kernarg_preload_offset 0
		.amdhsa_user_sgpr_private_segment_size 0
		.amdhsa_uses_dynamic_stack 0
		.amdhsa_system_sgpr_private_segment_wavefront_offset 0
		.amdhsa_system_sgpr_workgroup_id_x 1
		.amdhsa_system_sgpr_workgroup_id_y 1
		.amdhsa_system_sgpr_workgroup_id_z 1
		.amdhsa_system_sgpr_workgroup_info 0
		.amdhsa_system_vgpr_workitem_id 1
		.amdhsa_next_free_vgpr 120
		.amdhsa_next_free_sgpr 96
		.amdhsa_accum_offset 104
		.amdhsa_reserve_vcc 1
		.amdhsa_reserve_flat_scratch 0
		.amdhsa_float_round_mode_32 0
		.amdhsa_float_round_mode_16_64 0
		.amdhsa_float_denorm_mode_32 3
		.amdhsa_float_denorm_mode_16_64 3
		.amdhsa_dx10_clamp 1
		.amdhsa_ieee_mode 1
		.amdhsa_fp16_overflow 0
		.amdhsa_tg_split 0
		.amdhsa_exception_fp_ieee_invalid_op 0
		.amdhsa_exception_fp_denorm_src 0
		.amdhsa_exception_fp_ieee_div_zero 0
		.amdhsa_exception_fp_ieee_overflow 0
		.amdhsa_exception_fp_ieee_underflow 0
		.amdhsa_exception_fp_ieee_inexact 0
		.amdhsa_exception_int_div_zero 0
	.end_amdhsa_kernel
	.section	.text._ZL13mul_mat_f_idsI7__half2Li64ELi13ELi2EEvPKT_PKfPKiS7_S7_Pfiiiiiiiiiiiiii15HIP_vector_typeIjLj3EESA_,"axG",@progbits,_ZL13mul_mat_f_idsI7__half2Li64ELi13ELi2EEvPKT_PKfPKiS7_S7_Pfiiiiiiiiiiiiii15HIP_vector_typeIjLj3EESA_,comdat
.Lfunc_end102:
	.size	_ZL13mul_mat_f_idsI7__half2Li64ELi13ELi2EEvPKT_PKfPKiS7_S7_Pfiiiiiiiiiiiiii15HIP_vector_typeIjLj3EESA_, .Lfunc_end102-_ZL13mul_mat_f_idsI7__half2Li64ELi13ELi2EEvPKT_PKfPKiS7_S7_Pfiiiiiiiiiiiiii15HIP_vector_typeIjLj3EESA_
                                        ; -- End function
	.section	.AMDGPU.csdata,"",@progbits
; Kernel info:
; codeLenInByte = 8316
; NumSgprs: 100
; NumVgprs: 104
; NumAgprs: 16
; TotalNumVgprs: 120
; ScratchSize: 0
; MemoryBound: 0
; FloatMode: 240
; IeeeMode: 1
; LDSByteSize: 0 bytes/workgroup (compile time only)
; SGPRBlocks: 12
; VGPRBlocks: 14
; NumSGPRsForWavesPerEU: 100
; NumVGPRsForWavesPerEU: 120
; AccumOffset: 104
; Occupancy: 4
; WaveLimiterHint : 1
; COMPUTE_PGM_RSRC2:SCRATCH_EN: 0
; COMPUTE_PGM_RSRC2:USER_SGPR: 6
; COMPUTE_PGM_RSRC2:TRAP_HANDLER: 0
; COMPUTE_PGM_RSRC2:TGID_X_EN: 1
; COMPUTE_PGM_RSRC2:TGID_Y_EN: 1
; COMPUTE_PGM_RSRC2:TGID_Z_EN: 1
; COMPUTE_PGM_RSRC2:TIDIG_COMP_CNT: 1
; COMPUTE_PGM_RSRC3_GFX90A:ACCUM_OFFSET: 25
; COMPUTE_PGM_RSRC3_GFX90A:TG_SPLIT: 0
	.section	.text._ZL9mul_mat_fI7__half2Li64ELi13ELi2ELb1EEvPKT_PKfPKiPfiiiiiiiiiiiiiiii,"axG",@progbits,_ZL9mul_mat_fI7__half2Li64ELi13ELi2ELb1EEvPKT_PKfPKiPfiiiiiiiiiiiiiiii,comdat
	.globl	_ZL9mul_mat_fI7__half2Li64ELi13ELi2ELb1EEvPKT_PKfPKiPfiiiiiiiiiiiiiiii ; -- Begin function _ZL9mul_mat_fI7__half2Li64ELi13ELi2ELb1EEvPKT_PKfPKiPfiiiiiiiiiiiiiiii
	.p2align	8
	.type	_ZL9mul_mat_fI7__half2Li64ELi13ELi2ELb1EEvPKT_PKfPKiPfiiiiiiiiiiiiiiii,@function
_ZL9mul_mat_fI7__half2Li64ELi13ELi2ELb1EEvPKT_PKfPKiPfiiiiiiiiiiiiiiii: ; @_ZL9mul_mat_fI7__half2Li64ELi13ELi2ELb1EEvPKT_PKfPKiPfiiiiiiiiiiiiiiii
; %bb.0:
	s_load_dwordx8 s[24:31], s[4:5], 0x20
	v_bfe_u32 v3, v0, 10, 10
	s_waitcnt lgkmcnt(0)
	s_add_i32 s0, s25, 12
	s_mul_hi_i32 s0, s0, 0x4ec4ec4f
	s_lshr_b32 s1, s0, 31
	s_ashr_i32 s0, s0, 2
	s_add_i32 s0, s0, s1
	v_cvt_f32_u32_e32 v1, s0
	s_load_dwordx4 s[36:39], s[4:5], 0x44
	s_load_dword s1, s[4:5], 0x64
	s_add_u32 s34, s4, 0x60
	s_addc_u32 s35, s5, 0
	v_rcp_iflag_f32_e32 v1, v1
	s_sub_i32 s2, 0, s0
	v_mul_f32_e32 v1, 0x4f7ffffe, v1
	v_cvt_u32_f32_e32 v1, v1
	v_readfirstlane_b32 s3, v1
	s_mul_i32 s2, s2, s3
	s_mul_hi_u32 s2, s3, s2
	s_add_i32 s3, s3, s2
	s_waitcnt lgkmcnt(0)
	s_mul_hi_u32 s2, s1, s3
	s_mul_i32 s3, s2, s0
	s_sub_i32 s1, s1, s3
	s_add_i32 s9, s2, 1
	s_sub_i32 s3, s1, s0
	s_cmp_ge_u32 s1, s0
	s_cselect_b32 s2, s9, s2
	s_cselect_b32 s1, s3, s1
	s_add_i32 s3, s2, 1
	s_cmp_ge_u32 s1, s0
	s_cselect_b32 s10, s3, s2
	v_cvt_f32_u32_e32 v1, s10
	s_abs_i32 s33, s39
	v_cvt_f32_u32_e32 v2, s33
	s_load_dwordx2 s[0:1], s[4:5], 0x10
	v_rcp_iflag_f32_e32 v1, v1
	s_sub_i32 s2, 0, s10
	v_rcp_iflag_f32_e32 v2, v2
	v_mul_f32_e32 v1, 0x4f7ffffe, v1
	v_cvt_u32_f32_e32 v1, v1
	v_mul_f32_e32 v2, 0x4f7ffffe, v2
	v_cvt_u32_f32_e32 v4, v2
	v_and_b32_e32 v2, 0x3ff, v0
	v_readfirstlane_b32 s3, v1
	s_mul_i32 s2, s2, s3
	s_mul_hi_u32 s2, s3, s2
	s_add_i32 s3, s3, s2
	v_readfirstlane_b32 s9, v4
	s_mul_hi_u32 s11, s7, s3
	v_cmp_eq_u32_e32 vcc, 0, v2
	s_and_saveexec_b64 s[2:3], vcc
	s_cbranch_execz .LBB103_2
; %bb.1:
	v_mov_b32_e32 v1, 0x100
	v_lshl_add_u32 v1, v3, 2, v1
	v_mov_b32_e32 v4, -1
	ds_write_b32 v1, v4
.LBB103_2:
	s_or_b64 exec, exec, s[2:3]
	s_mul_i32 s2, s11, s10
	s_sub_i32 s2, s7, s2
	s_add_i32 s3, s11, 1
	s_sub_i32 s12, s2, s10
	s_cmp_ge_u32 s2, s10
	s_cselect_b32 s3, s3, s11
	s_cselect_b32 s2, s12, s2
	s_add_i32 s11, s3, 1
	s_cmp_ge_u32 s2, s10
	s_cselect_b32 s2, s11, s3
	s_mul_i32 s3, s2, s10
	s_mul_i32 s60, s2, 13
	s_sub_i32 s7, s7, s3
	s_mul_hi_i32 s3, s60, s31
	s_mul_i32 s2, s60, s31
	s_lshl_b64 s[2:3], s[2:3], 2
	s_waitcnt lgkmcnt(0)
	s_add_u32 s0, s0, s2
	v_add_u32_e32 v1, s60, v3
	s_addc_u32 s1, s1, s3
	v_cmp_gt_i32_e64 s[16:17], s26, v2
	v_cmp_gt_i32_e64 s[48:49], s25, v1
	v_mov_b32_e32 v1, 0
	s_and_saveexec_b64 s[12:13], s[48:49]
	s_cbranch_execz .LBB103_10
; %bb.3:
	v_mov_b32_e32 v1, 0
	s_and_saveexec_b64 s[14:15], s[16:17]
	s_cbranch_execz .LBB103_9
; %bb.4:
	v_mul_lo_u32 v4, v3, s31
	v_ashrrev_i32_e32 v5, 31, v4
	v_lshlrev_b64 v[4:5], 2, v[4:5]
	v_mov_b32_e32 v1, s1
	v_add_co_u32_e64 v6, s[2:3], s0, v4
	v_addc_co_u32_e64 v7, s[2:3], v1, v5, s[2:3]
	v_mov_b32_e32 v1, 0x100
	v_lshl_add_u32 v8, v3, 2, v1
	v_mul_lo_u32 v4, v2, s30
	s_lshl_b32 s22, s30, 6
	s_mov_b64 s[18:19], 0
	v_mov_b32_e32 v1, 0
	v_mov_b32_e32 v9, v2
	s_branch .LBB103_6
.LBB103_5:                              ;   in Loop: Header=BB103_6 Depth=1
	s_or_b64 exec, exec, s[20:21]
	v_add_u32_e32 v9, 64, v9
	v_cmp_le_i32_e64 s[10:11], s26, v9
	s_xor_b64 s[2:3], s[2:3], -1
	s_or_b64 s[2:3], s[2:3], s[10:11]
	s_and_b64 s[2:3], exec, s[2:3]
	s_or_b64 s[18:19], s[2:3], s[18:19]
	v_add_u32_e32 v4, s22, v4
	s_andn2_b64 exec, exec, s[18:19]
	s_cbranch_execz .LBB103_8
.LBB103_6:                              ; =>This Inner Loop Header: Depth=1
	v_ashrrev_i32_e32 v5, 31, v4
	v_lshlrev_b64 v[10:11], 2, v[4:5]
	v_add_co_u32_e64 v10, s[2:3], v6, v10
	v_addc_co_u32_e64 v11, s[2:3], v7, v11, s[2:3]
	global_load_dword v5, v[10:11], off
	s_waitcnt vmcnt(0)
	v_cmp_ne_u32_e64 s[2:3], s7, v5
	v_cmp_eq_u32_e64 s[10:11], s7, v5
	s_and_saveexec_b64 s[20:21], s[10:11]
	s_cbranch_execz .LBB103_5
; %bb.7:                                ;   in Loop: Header=BB103_6 Depth=1
	v_mov_b32_e32 v1, 1
	ds_write_b32 v8, v9
	s_branch .LBB103_5
.LBB103_8:
	s_or_b64 exec, exec, s[18:19]
.LBB103_9:
	s_or_b64 exec, exec, s[14:15]
.LBB103_10:
	s_or_b64 exec, exec, s[12:13]
	s_and_saveexec_b64 s[2:3], vcc
	s_cbranch_execz .LBB103_12
; %bb.11:
	v_mov_b32_e32 v4, 0x100
	v_lshl_add_u32 v4, v3, 2, v4
	v_mov_b32_e32 v5, -1
	ds_write_b32 v4, v5 offset:8
.LBB103_12:
	s_or_b64 exec, exec, s[2:3]
	v_add_u32_e32 v72, 2, v3
	v_add_u32_e32 v4, s60, v72
	v_cmp_gt_i32_e64 s[2:3], s25, v4
	s_mov_b64 s[14:15], exec
                                        ; implicit-def: $vgpr88 : SGPR spill to VGPR lane
	v_writelane_b32 v88, s2, 0
	v_writelane_b32 v88, s3, 1
	s_and_b64 s[2:3], s[14:15], s[2:3]
	s_mov_b64 exec, s[2:3]
	s_cbranch_execz .LBB103_20
; %bb.13:
	s_and_saveexec_b64 s[18:19], s[16:17]
	s_cbranch_execz .LBB103_19
; %bb.14:
	v_mul_lo_u32 v4, v72, s31
	v_ashrrev_i32_e32 v5, 31, v4
	v_lshlrev_b64 v[4:5], 2, v[4:5]
	v_mov_b32_e32 v7, s1
	v_add_co_u32_e64 v6, s[10:11], s0, v4
	v_mov_b32_e32 v4, 0x100
	v_addc_co_u32_e64 v7, s[10:11], v7, v5, s[10:11]
	v_lshl_add_u32 v8, v3, 2, v4
	v_mul_lo_u32 v4, v2, s30
	s_lshl_b32 s2, s30, 6
	s_mov_b64 s[20:21], 0
	v_mov_b32_e32 v9, v2
	s_branch .LBB103_16
.LBB103_15:                             ;   in Loop: Header=BB103_16 Depth=1
	s_or_b64 exec, exec, s[22:23]
	v_add_u32_e32 v9, 64, v9
	v_cmp_le_i32_e64 s[12:13], s26, v9
	s_xor_b64 s[10:11], s[10:11], -1
	s_or_b64 s[10:11], s[10:11], s[12:13]
	s_and_b64 s[10:11], exec, s[10:11]
	s_or_b64 s[20:21], s[10:11], s[20:21]
	v_add_u32_e32 v4, s2, v4
	s_andn2_b64 exec, exec, s[20:21]
	s_cbranch_execz .LBB103_18
.LBB103_16:                             ; =>This Inner Loop Header: Depth=1
	v_ashrrev_i32_e32 v5, 31, v4
	v_lshlrev_b64 v[10:11], 2, v[4:5]
	v_add_co_u32_e64 v10, s[10:11], v6, v10
	v_addc_co_u32_e64 v11, s[10:11], v7, v11, s[10:11]
	global_load_dword v5, v[10:11], off
	s_waitcnt vmcnt(0)
	v_cmp_ne_u32_e64 s[10:11], s7, v5
	v_cmp_eq_u32_e64 s[12:13], s7, v5
	s_and_saveexec_b64 s[22:23], s[12:13]
	s_cbranch_execz .LBB103_15
; %bb.17:                               ;   in Loop: Header=BB103_16 Depth=1
	v_mov_b32_e32 v1, 1
	ds_write_b32 v8, v9 offset:8
	s_branch .LBB103_15
.LBB103_18:
	s_or_b64 exec, exec, s[20:21]
.LBB103_19:
	s_or_b64 exec, exec, s[18:19]
.LBB103_20:
	s_or_b64 exec, exec, s[14:15]
	s_and_saveexec_b64 s[10:11], vcc
	s_cbranch_execz .LBB103_22
; %bb.21:
	v_mov_b32_e32 v4, 0x100
	v_lshl_add_u32 v4, v3, 2, v4
	v_mov_b32_e32 v5, -1
	ds_write_b32 v4, v5 offset:16
.LBB103_22:
	s_or_b64 exec, exec, s[10:11]
	v_add_u32_e32 v73, 4, v3
	v_add_u32_e32 v4, s60, v73
	v_cmp_gt_i32_e64 s[2:3], s25, v4
	s_mov_b64 s[18:19], exec
	v_writelane_b32 v88, s2, 2
	v_writelane_b32 v88, s3, 3
	s_and_b64 s[2:3], s[18:19], s[2:3]
	s_mov_b64 exec, s[2:3]
	s_cbranch_execz .LBB103_30
; %bb.23:
	s_and_saveexec_b64 s[20:21], s[16:17]
	s_cbranch_execz .LBB103_29
; %bb.24:
	v_mul_lo_u32 v4, v73, s31
	v_ashrrev_i32_e32 v5, 31, v4
	v_lshlrev_b64 v[4:5], 2, v[4:5]
	v_mov_b32_e32 v7, s1
	v_add_co_u32_e64 v6, s[10:11], s0, v4
	v_mov_b32_e32 v4, 0x100
	v_addc_co_u32_e64 v7, s[10:11], v7, v5, s[10:11]
	v_lshl_add_u32 v8, v3, 2, v4
	v_mul_lo_u32 v4, v2, s30
	s_lshl_b32 s2, s30, 6
	s_mov_b64 s[22:23], 0
	v_mov_b32_e32 v9, v2
	s_branch .LBB103_26
.LBB103_25:                             ;   in Loop: Header=BB103_26 Depth=1
	s_or_b64 exec, exec, s[40:41]
	v_add_u32_e32 v9, 64, v9
	v_cmp_le_i32_e64 s[12:13], s26, v9
	s_xor_b64 s[10:11], s[10:11], -1
	s_or_b64 s[10:11], s[10:11], s[12:13]
	s_and_b64 s[10:11], exec, s[10:11]
	s_or_b64 s[22:23], s[10:11], s[22:23]
	v_add_u32_e32 v4, s2, v4
	s_andn2_b64 exec, exec, s[22:23]
	s_cbranch_execz .LBB103_28
.LBB103_26:                             ; =>This Inner Loop Header: Depth=1
	v_ashrrev_i32_e32 v5, 31, v4
	v_lshlrev_b64 v[10:11], 2, v[4:5]
	v_add_co_u32_e64 v10, s[10:11], v6, v10
	v_addc_co_u32_e64 v11, s[10:11], v7, v11, s[10:11]
	global_load_dword v5, v[10:11], off
	s_waitcnt vmcnt(0)
	v_cmp_ne_u32_e64 s[10:11], s7, v5
	v_cmp_eq_u32_e64 s[12:13], s7, v5
	s_and_saveexec_b64 s[40:41], s[12:13]
	s_cbranch_execz .LBB103_25
; %bb.27:                               ;   in Loop: Header=BB103_26 Depth=1
	v_mov_b32_e32 v1, 1
	ds_write_b32 v8, v9 offset:16
	s_branch .LBB103_25
.LBB103_28:
	s_or_b64 exec, exec, s[22:23]
.LBB103_29:
	s_or_b64 exec, exec, s[20:21]
.LBB103_30:
	s_or_b64 exec, exec, s[18:19]
	s_and_saveexec_b64 s[10:11], vcc
	s_cbranch_execz .LBB103_32
; %bb.31:
	v_mov_b32_e32 v4, 0x100
	v_lshl_add_u32 v4, v3, 2, v4
	v_mov_b32_e32 v5, -1
	ds_write_b32 v4, v5 offset:24
.LBB103_32:
	s_or_b64 exec, exec, s[10:11]
	v_add_u32_e32 v74, 6, v3
	v_add_u32_e32 v4, s60, v74
	v_cmp_gt_i32_e64 s[2:3], s25, v4
	s_mov_b64 s[18:19], exec
	v_writelane_b32 v88, s2, 4
	v_writelane_b32 v88, s3, 5
	s_and_b64 s[2:3], s[18:19], s[2:3]
	s_mov_b64 exec, s[2:3]
	s_cbranch_execz .LBB103_40
; %bb.33:
	s_and_saveexec_b64 s[22:23], s[16:17]
	s_cbranch_execz .LBB103_39
; %bb.34:
	v_mul_lo_u32 v4, v74, s31
	v_ashrrev_i32_e32 v5, 31, v4
	v_lshlrev_b64 v[4:5], 2, v[4:5]
	v_mov_b32_e32 v7, s1
	v_add_co_u32_e64 v6, s[10:11], s0, v4
	v_mov_b32_e32 v4, 0x100
	v_addc_co_u32_e64 v7, s[10:11], v7, v5, s[10:11]
	v_lshl_add_u32 v8, v3, 2, v4
	v_mul_lo_u32 v4, v2, s30
	s_lshl_b32 s2, s30, 6
	s_mov_b64 s[40:41], 0
	v_mov_b32_e32 v9, v2
	s_branch .LBB103_36
.LBB103_35:                             ;   in Loop: Header=BB103_36 Depth=1
	s_or_b64 exec, exec, s[42:43]
	v_add_u32_e32 v9, 64, v9
	v_cmp_le_i32_e64 s[12:13], s26, v9
	s_xor_b64 s[10:11], s[10:11], -1
	s_or_b64 s[10:11], s[10:11], s[12:13]
	s_and_b64 s[10:11], exec, s[10:11]
	s_or_b64 s[40:41], s[10:11], s[40:41]
	v_add_u32_e32 v4, s2, v4
	s_andn2_b64 exec, exec, s[40:41]
	s_cbranch_execz .LBB103_38
.LBB103_36:                             ; =>This Inner Loop Header: Depth=1
	v_ashrrev_i32_e32 v5, 31, v4
	v_lshlrev_b64 v[10:11], 2, v[4:5]
	v_add_co_u32_e64 v10, s[10:11], v6, v10
	v_addc_co_u32_e64 v11, s[10:11], v7, v11, s[10:11]
	global_load_dword v5, v[10:11], off
	s_waitcnt vmcnt(0)
	v_cmp_ne_u32_e64 s[10:11], s7, v5
	v_cmp_eq_u32_e64 s[12:13], s7, v5
	s_and_saveexec_b64 s[42:43], s[12:13]
	s_cbranch_execz .LBB103_35
; %bb.37:                               ;   in Loop: Header=BB103_36 Depth=1
	v_mov_b32_e32 v1, 1
	ds_write_b32 v8, v9 offset:24
	s_branch .LBB103_35
.LBB103_38:
	s_or_b64 exec, exec, s[40:41]
.LBB103_39:
	s_or_b64 exec, exec, s[22:23]
.LBB103_40:
	s_or_b64 exec, exec, s[18:19]
	s_and_saveexec_b64 s[10:11], vcc
	s_cbranch_execz .LBB103_42
; %bb.41:
	v_mov_b32_e32 v4, 0x100
	v_lshl_add_u32 v4, v3, 2, v4
	v_mov_b32_e32 v5, -1
	ds_write_b32 v4, v5 offset:32
.LBB103_42:
	s_or_b64 exec, exec, s[10:11]
	v_add_u32_e32 v75, 8, v3
	v_add_u32_e32 v4, s60, v75
	v_cmp_gt_i32_e64 s[2:3], s25, v4
	s_mov_b64 s[22:23], exec
	v_writelane_b32 v88, s2, 6
	v_writelane_b32 v88, s3, 7
	s_and_b64 s[2:3], s[22:23], s[2:3]
	s_mov_b64 exec, s[2:3]
	s_cbranch_execz .LBB103_50
; %bb.43:
	s_and_saveexec_b64 s[40:41], s[16:17]
	s_cbranch_execz .LBB103_49
; %bb.44:
	v_mul_lo_u32 v4, v75, s31
	v_ashrrev_i32_e32 v5, 31, v4
	v_lshlrev_b64 v[4:5], 2, v[4:5]
	v_mov_b32_e32 v7, s1
	v_add_co_u32_e64 v6, s[10:11], s0, v4
	v_mov_b32_e32 v4, 0x100
	v_addc_co_u32_e64 v7, s[10:11], v7, v5, s[10:11]
	v_lshl_add_u32 v8, v3, 2, v4
	v_mul_lo_u32 v4, v2, s30
	s_lshl_b32 s2, s30, 6
	s_mov_b64 s[42:43], 0
	v_mov_b32_e32 v9, v2
	s_branch .LBB103_46
.LBB103_45:                             ;   in Loop: Header=BB103_46 Depth=1
	s_or_b64 exec, exec, s[44:45]
	v_add_u32_e32 v9, 64, v9
	v_cmp_le_i32_e64 s[12:13], s26, v9
	s_xor_b64 s[10:11], s[10:11], -1
	s_or_b64 s[10:11], s[10:11], s[12:13]
	s_and_b64 s[10:11], exec, s[10:11]
	s_or_b64 s[42:43], s[10:11], s[42:43]
	v_add_u32_e32 v4, s2, v4
	s_andn2_b64 exec, exec, s[42:43]
	s_cbranch_execz .LBB103_48
.LBB103_46:                             ; =>This Inner Loop Header: Depth=1
	v_ashrrev_i32_e32 v5, 31, v4
	v_lshlrev_b64 v[10:11], 2, v[4:5]
	v_add_co_u32_e64 v10, s[10:11], v6, v10
	v_addc_co_u32_e64 v11, s[10:11], v7, v11, s[10:11]
	global_load_dword v5, v[10:11], off
	s_waitcnt vmcnt(0)
	v_cmp_ne_u32_e64 s[10:11], s7, v5
	v_cmp_eq_u32_e64 s[12:13], s7, v5
	s_and_saveexec_b64 s[44:45], s[12:13]
	s_cbranch_execz .LBB103_45
; %bb.47:                               ;   in Loop: Header=BB103_46 Depth=1
	v_mov_b32_e32 v1, 1
	ds_write_b32 v8, v9 offset:32
	s_branch .LBB103_45
.LBB103_48:
	s_or_b64 exec, exec, s[42:43]
.LBB103_49:
	s_or_b64 exec, exec, s[40:41]
.LBB103_50:
	s_or_b64 exec, exec, s[22:23]
	s_sub_i32 s2, 0, s33
	s_and_saveexec_b64 s[10:11], vcc
	s_cbranch_execz .LBB103_52
; %bb.51:
	v_mov_b32_e32 v4, 0x100
	v_lshl_add_u32 v4, v3, 2, v4
	v_mov_b32_e32 v5, -1
	ds_write_b32 v4, v5 offset:40
.LBB103_52:
	s_or_b64 exec, exec, s[10:11]
	v_add_u32_e32 v76, 10, v3
	s_mul_i32 s2, s2, s9
	v_add_u32_e32 v4, s60, v76
	v_cmp_gt_i32_e64 s[10:11], s25, v4
	s_mov_b64 s[40:41], exec
	v_writelane_b32 v88, s10, 8
	v_writelane_b32 v88, s11, 9
	s_and_b64 s[10:11], s[40:41], s[10:11]
	s_mov_b64 exec, s[10:11]
	s_cbranch_execz .LBB103_60
; %bb.53:
	s_and_saveexec_b64 s[42:43], s[16:17]
	s_cbranch_execz .LBB103_59
; %bb.54:
	v_mul_lo_u32 v4, v76, s31
	v_ashrrev_i32_e32 v5, 31, v4
	v_lshlrev_b64 v[4:5], 2, v[4:5]
	v_mov_b32_e32 v7, s1
	v_add_co_u32_e64 v6, s[12:13], s0, v4
	v_mov_b32_e32 v4, 0x100
	v_addc_co_u32_e64 v7, s[12:13], v7, v5, s[12:13]
	v_lshl_add_u32 v8, v3, 2, v4
	v_mul_lo_u32 v4, v2, s30
	s_lshl_b32 s3, s30, 6
	s_mov_b64 s[44:45], 0
	v_mov_b32_e32 v9, v2
	s_branch .LBB103_56
.LBB103_55:                             ;   in Loop: Header=BB103_56 Depth=1
	s_or_b64 exec, exec, s[46:47]
	v_add_u32_e32 v9, 64, v9
	v_cmp_le_i32_e64 s[22:23], s26, v9
	s_xor_b64 s[10:11], s[12:13], -1
	s_or_b64 s[10:11], s[10:11], s[22:23]
	s_and_b64 s[10:11], exec, s[10:11]
	s_or_b64 s[44:45], s[10:11], s[44:45]
	v_add_u32_e32 v4, s3, v4
	s_andn2_b64 exec, exec, s[44:45]
	s_cbranch_execz .LBB103_58
.LBB103_56:                             ; =>This Inner Loop Header: Depth=1
	v_ashrrev_i32_e32 v5, 31, v4
	v_lshlrev_b64 v[10:11], 2, v[4:5]
	v_add_co_u32_e64 v10, s[12:13], v6, v10
	v_addc_co_u32_e64 v11, s[12:13], v7, v11, s[12:13]
	global_load_dword v5, v[10:11], off
	s_waitcnt vmcnt(0)
	v_cmp_ne_u32_e64 s[12:13], s7, v5
	v_cmp_eq_u32_e64 s[22:23], s7, v5
	s_and_saveexec_b64 s[46:47], s[22:23]
	s_cbranch_execz .LBB103_55
; %bb.57:                               ;   in Loop: Header=BB103_56 Depth=1
	v_mov_b32_e32 v1, 1
	ds_write_b32 v8, v9 offset:40
	s_branch .LBB103_55
.LBB103_58:
	s_or_b64 exec, exec, s[44:45]
.LBB103_59:
	s_or_b64 exec, exec, s[42:43]
.LBB103_60:
	s_or_b64 exec, exec, s[40:41]
	s_mul_hi_u32 s3, s9, s2
	s_and_saveexec_b64 s[12:13], vcc
	s_cbranch_execz .LBB103_62
; %bb.61:
	v_mov_b32_e32 v4, 0x100
	v_lshl_add_u32 v4, v3, 2, v4
	v_mov_b32_e32 v5, -1
	ds_write_b32 v4, v5 offset:48
.LBB103_62:
	s_or_b64 exec, exec, s[12:13]
	s_load_dwordx4 s[12:15], s[4:5], 0x54
	v_add_u32_e32 v77, 12, v3
	s_abs_i32 s2, s8
	s_add_i32 s9, s9, s3
	v_add_u32_e32 v4, s60, v77
	v_cmp_gt_i32_e64 s[10:11], s25, v4
	s_mov_b64 s[22:23], exec
	v_writelane_b32 v88, s10, 10
	v_writelane_b32 v88, s11, 11
	s_and_b64 s[10:11], s[22:23], s[10:11]
	s_mov_b64 exec, s[10:11]
	s_cbranch_execz .LBB103_70
; %bb.63:
	s_and_saveexec_b64 s[44:45], s[16:17]
	s_cbranch_execz .LBB103_69
; %bb.64:
	v_mul_lo_u32 v4, v77, s31
	v_ashrrev_i32_e32 v5, 31, v4
	v_lshlrev_b64 v[4:5], 2, v[4:5]
	v_mov_b32_e32 v7, s1
	v_add_co_u32_e32 v6, vcc, s0, v4
	v_mov_b32_e32 v4, 0x100
	v_addc_co_u32_e32 v7, vcc, v7, v5, vcc
	v_lshl_add_u32 v8, v3, 2, v4
	v_mul_lo_u32 v4, v2, s30
	s_lshl_b32 s0, s30, 6
	s_mov_b64 s[30:31], 0
	v_mov_b32_e32 v9, v2
	s_branch .LBB103_66
.LBB103_65:                             ;   in Loop: Header=BB103_66 Depth=1
	s_or_b64 exec, exec, s[46:47]
	v_add_u32_e32 v9, 64, v9
	v_cmp_le_i32_e64 s[16:17], s26, v9
	s_xor_b64 s[10:11], vcc, -1
	s_or_b64 s[10:11], s[10:11], s[16:17]
	s_and_b64 s[10:11], exec, s[10:11]
	s_or_b64 s[30:31], s[10:11], s[30:31]
	v_add_u32_e32 v4, s0, v4
	s_andn2_b64 exec, exec, s[30:31]
	s_cbranch_execz .LBB103_68
.LBB103_66:                             ; =>This Inner Loop Header: Depth=1
	v_ashrrev_i32_e32 v5, 31, v4
	v_lshlrev_b64 v[10:11], 2, v[4:5]
	v_add_co_u32_e32 v10, vcc, v6, v10
	v_addc_co_u32_e32 v11, vcc, v7, v11, vcc
	global_load_dword v5, v[10:11], off
	s_waitcnt vmcnt(0)
	v_cmp_ne_u32_e32 vcc, s7, v5
	v_cmp_eq_u32_e64 s[16:17], s7, v5
	s_and_saveexec_b64 s[46:47], s[16:17]
	s_cbranch_execz .LBB103_65
; %bb.67:                               ;   in Loop: Header=BB103_66 Depth=1
	v_mov_b32_e32 v1, 1
	ds_write_b32 v8, v9 offset:48
	s_branch .LBB103_65
.LBB103_68:
	s_or_b64 exec, exec, s[30:31]
.LBB103_69:
	s_or_b64 exec, exec, s[44:45]
.LBB103_70:
	s_or_b64 exec, exec, s[22:23]
	s_load_dwordx2 s[10:11], s[34:35], 0xc
	s_load_dwordx4 s[44:47], s[4:5], 0x0
	s_load_dwordx2 s[0:1], s[4:5], 0x18
	v_cmp_ne_u32_e32 vcc, 0, v1
	v_cndmask_b32_e64 v1, 0, 1, vcc
                                        ; kill: killed $sgpr4 killed $sgpr5
	s_waitcnt lgkmcnt(0)
	s_lshr_b32 s4, s10, 16
	s_and_b32 s3, s10, 0xffff
	v_or_b32_dpp v1, v1, v1 row_shl:1 row_mask:0xf bank_mask:0xf bound_ctrl:1
	v_writelane_b32 v88, s0, 12
	s_mul_i32 s5, s4, s3
	v_or_b32_dpp v1, v1, v1 row_shl:2 row_mask:0xf bank_mask:0xf bound_ctrl:1
	v_writelane_b32 v88, s1, 13
	s_and_b32 s1, s11, 0xffff
	v_or_b32_dpp v1, v1, v1 row_shl:4 row_mask:0xf bank_mask:0xf bound_ctrl:1
	s_bfe_i32 s5, s5, 0x180000
	s_mul_i32 s1, s5, s1
	v_or_b32_dpp v1, v1, v1 row_shl:8 row_mask:0xf bank_mask:0xf bound_ctrl:1
	s_add_i32 s5, s1, 63
	s_bitcmp1_b32 exec_hi, 0
	v_mov_b32_dpp v4, v1 wave_shl:1 row_mask:0xf bank_mask:0xf bound_ctrl:1
	s_mul_hi_u32 s0, s2, s9
                                        ; kill: killed $sgpr34 killed $sgpr35
	s_nop 0
	v_or_b32_dpp v1, v4, v1 row_mirror row_mask:0xf bank_mask:0xf bound_ctrl:1
	v_readlane_b32 s1, v1, 32
	s_cselect_b32 s1, s1, 0
	v_readlane_b32 s9, v1, 0
	s_or_b32 s1, s1, s9
	s_andn2_b32 s5, s5, 63
	s_cmp_lg_u32 s5, 64
	v_mov_b32_e32 v1, s1
	s_cbranch_scc0 .LBB103_77
; %bb.71:
	v_bfe_u32 v0, v0, 20, 10
	v_mbcnt_lo_u32_b32 v1, -1, 0
	v_mad_u32_u24 v0, v0, s4, v3
	v_mbcnt_hi_u32_b32 v4, -1, v1
	v_mad_u64_u32 v[0:1], s[4:5], v0, s3, v[2:3]
	v_lshrrev_b32_e32 v1, 6, v0
	v_or_b32_e32 v1, v4, v1
	v_cmp_eq_u32_e32 vcc, 0, v1
	s_and_saveexec_b64 s[4:5], vcc
	s_cbranch_execz .LBB103_73
; %bb.72:
	v_mov_b32_e32 v1, 0
	v_mov_b32_e32 v5, s1
	ds_write_b32 v1, v5
.LBB103_73:
	s_or_b64 exec, exec, s[4:5]
	v_cmp_eq_u32_e32 vcc, 0, v4
	v_cmp_lt_u32_e64 s[4:5], 63, v0
	s_and_b64 s[10:11], s[4:5], vcc
	s_waitcnt lgkmcnt(0)
	s_barrier
	s_and_saveexec_b64 s[4:5], s[10:11]
	s_cbranch_execz .LBB103_76
; %bb.74:
	v_mbcnt_lo_u32_b32 v0, exec_lo, 0
	v_mbcnt_hi_u32_b32 v0, exec_hi, v0
	v_cmp_eq_u32_e32 vcc, 0, v0
	s_and_b64 exec, exec, vcc
	s_cbranch_execz .LBB103_76
; %bb.75:
	v_mov_b32_e32 v0, 0
	v_mov_b32_e32 v1, s1
	ds_or_b32 v0, v1
.LBB103_76:
	s_or_b64 exec, exec, s[4:5]
	v_mov_b32_e32 v0, 0
	s_waitcnt lgkmcnt(0)
	s_barrier
	ds_read_b32 v1, v0
	s_waitcnt lgkmcnt(0)
	s_barrier
.LBB103_77:
	v_cmp_ne_u32_e32 vcc, 0, v1
	s_ashr_i32 s1, s8, 31
	s_ashr_i32 s3, s39, 31
	s_cbranch_vccz .LBB103_150
; %bb.78:
	v_lshlrev_b32_e32 v78, 6, v3
	v_add_u32_e32 v80, v78, v2
	v_cmp_le_i32_e32 vcc, s24, v80
	v_and_b32_e32 v79, 15, v2
                                        ; implicit-def: $sgpr9
	s_and_saveexec_b64 s[4:5], vcc
	s_xor_b64 s[4:5], exec, s[4:5]
; %bb.79:
	v_and_b32_e32 v79, 15, v2
	s_mov_b32 s9, 0
                                        ; implicit-def: $vgpr80
; %bb.80:
	s_or_saveexec_b64 s[4:5], s[4:5]
	s_lshl_b32 s6, s6, 6
	v_accvgpr_write_b32 a8, s9
	v_accvgpr_write_b32 a9, s9
	;; [unrolled: 1-line block ×16, first 2 shown]
	v_writelane_b32 v88, s4, 14
	v_writelane_b32 v88, s5, 15
	s_xor_b64 exec, exec, s[4:5]
	s_cbranch_execz .LBB103_123
; %bb.81:
	s_xor_b32 s1, s1, s3
	s_mul_i32 s3, s0, s33
	s_sub_i32 s2, s2, s3
	s_add_i32 s3, s0, 1
	s_sub_i32 s4, s2, s33
	s_cmp_ge_u32 s2, s33
	s_cselect_b32 s0, s3, s0
	s_cselect_b32 s2, s4, s2
	s_add_i32 s3, s0, 1
	s_cmp_ge_u32 s2, s33
	s_cselect_b32 s0, s3, s0
	s_xor_b32 s0, s0, s1
	s_sub_i32 s0, s0, s1
	s_mul_hi_i32 s1, s0, s12
	s_mul_i32 s0, s0, s12
	s_mul_i32 s2, s7, s36
	v_writelane_b32 v88, s48, 16
	s_ashr_i32 s3, s2, 31
	s_lshl_b64 s[0:1], s[0:1], 2
	v_writelane_b32 v88, s49, 17
	s_add_u32 s5, s44, s0
	v_writelane_b32 v88, s6, 18
	s_mul_i32 s4, s6, s27
	s_addc_u32 s6, s45, s1
	s_lshl_b64 s[2:3], s[2:3], 2
	s_add_u32 s7, s5, s2
	s_addc_u32 s6, s6, s3
	s_ashr_i32 s5, s4, 31
	s_lshl_b64 s[4:5], s[4:5], 2
	s_add_u32 s36, s7, s4
	s_addc_u32 s10, s6, s5
	s_movk_i32 s6, 0x1080
	v_mov_b32_e32 v81, 0x100
	v_writelane_b32 v88, s8, 19
	v_mad_u32_u24 v0, v3, s6, v81
	s_mul_hi_i32 s7, s13, s8
	v_writelane_b32 v88, s12, 20
	s_mul_i32 s6, s13, s8
	s_mul_hi_i32 s9, s28, s60
	s_mul_i32 s8, s28, s60
	s_lshl_b64 s[8:9], s[8:9], 3
	s_lshl_b64 s[6:7], s[6:7], 2
	s_add_u32 s6, s46, s6
	s_addc_u32 s7, s47, s7
	s_add_u32 s39, s6, s8
	s_addc_u32 s43, s7, s9
	s_cmp_lt_i32 s60, s25
	s_cselect_b64 s[6:7], -1, 0
	s_add_i32 s8, s60, 1
	s_cmp_lt_i32 s8, s25
	v_writelane_b32 v88, s13, 21
	s_cselect_b64 s[22:23], -1, 0
	s_add_i32 s8, s60, 2
	v_writelane_b32 v88, s14, 22
	s_cmp_lt_i32 s8, s25
	v_writelane_b32 v88, s15, 23
	s_cselect_b64 s[30:31], -1, 0
	s_lshl_b32 s8, s28, 2
	v_writelane_b32 v88, s8, 24
	s_add_i32 s8, s60, 3
	s_cmp_lt_i32 s8, s25
	s_cselect_b64 s[34:35], -1, 0
	s_add_i32 s8, s60, 4
	s_cmp_lt_i32 s8, s25
	s_cselect_b64 s[40:41], -1, 0
	s_lshl_b32 s8, s28, 3
	v_writelane_b32 v88, s8, 25
	s_add_i32 s8, s60, 5
	s_cmp_lt_i32 s8, s25
	s_cselect_b64 s[46:47], -1, 0
	s_add_i32 s8, s60, 6
	s_cmp_lt_i32 s8, s25
	s_mul_i32 s8, s28, 6
	s_cselect_b64 s[48:49], -1, 0
	v_writelane_b32 v88, s8, 26
	s_add_i32 s8, s60, 7
	s_cmp_lt_i32 s8, s25
	s_cselect_b64 s[50:51], -1, 0
	s_add_i32 s8, s60, 8
	s_cmp_lt_i32 s8, s25
	s_cselect_b64 s[52:53], -1, 0
	s_lshl_b32 s8, s28, 4
	v_writelane_b32 v88, s8, 27
	s_add_i32 s8, s60, 9
	s_cmp_lt_i32 s8, s25
	s_cselect_b64 s[54:55], -1, 0
	s_add_i32 s8, s60, 10
	s_cmp_lt_i32 s8, s25
	s_mul_i32 s8, s28, 10
	s_cselect_b64 s[56:57], -1, 0
	v_writelane_b32 v88, s8, 28
	s_add_i32 s8, s60, 11
	s_cmp_lt_i32 s8, s25
	s_cselect_b64 s[58:59], -1, 0
	s_add_i32 s8, s60, 12
	v_writelane_b32 v88, s60, 29
	s_cmp_lt_i32 s8, s25
	s_mul_i32 s8, s28, 12
	s_cselect_b64 s[60:61], -1, 0
	v_writelane_b32 v88, s8, 30
	s_ashr_i32 s9, s27, 31
	s_mov_b32 s8, s27
	s_lshl_b64 s[62:63], s[8:9], 2
	s_add_u32 s0, s0, s4
	v_lshrrev_b32_e32 v4, 1, v2
	s_addc_u32 s1, s1, s5
	v_mul_u32_u24_e32 v1, 0x108, v79
	v_and_b32_e32 v4, 0x1f8, v4
	s_add_u32 s0, s0, s2
	v_lshl_add_u32 v82, v2, 2, v0
	v_add3_u32 v83, v0, v1, v4
	v_lshlrev_b32_e32 v0, 1, v2
	s_addc_u32 s1, s1, s3
	v_lshl_add_u32 v84, v3, 7, v0
	v_lshlrev_b32_e32 v0, 2, v80
	s_add_u32 s0, s44, s0
	v_add_co_u32_e32 v0, vcc, s0, v0
	s_mul_i32 s0, s28, 24
	v_writelane_b32 v88, s0, 31
	s_mul_i32 s0, s28, 22
	v_writelane_b32 v88, s0, 32
	s_mul_i32 s0, s28, 20
	v_writelane_b32 v88, s0, 33
	s_mul_i32 s0, s28, 18
	v_writelane_b32 v88, s0, 34
	s_mul_i32 s0, s28, 14
	s_addc_u32 s1, s45, s1
	v_writelane_b32 v88, s0, 35
	s_lshl_b32 s0, s28, 1
	v_writelane_b32 v88, s0, 36
	s_mul_i32 s0, s27, 3
	v_writelane_b32 v88, s0, 37
	s_mul_i32 s0, s27, 5
	v_mov_b32_e32 v1, s1
	v_writelane_b32 v88, s0, 38
	s_mul_i32 s0, s27, 6
	v_addc_co_u32_e32 v1, vcc, 0, v1, vcc
	s_lshl_b32 s72, s27, 1
	s_lshl_b32 s74, s27, 2
	v_writelane_b32 v88, s0, 39
	s_mul_i32 s77, s27, 7
	s_lshl_b32 s78, s27, 3
	s_mul_i32 s79, s27, 9
	s_mul_i32 s80, s27, 10
	;; [unrolled: 1-line block ×7, first 2 shown]
	s_lshl_b32 s86, s27, 4
	v_mov_b32_e32 v85, s10
	s_mul_i32 s87, s27, 17
	v_mov_b32_e32 v86, 0
	v_accvgpr_write_b32 a15, 0
	v_accvgpr_write_b32 a14, 0
	;; [unrolled: 1-line block ×16, first 2 shown]
	v_mov_b32_e32 v87, s63
	s_mul_i32 s63, s27, 18
	s_mul_i32 s88, s27, 19
	s_mul_i32 s89, s27, 20
	s_mul_i32 s90, s27, 21
	s_mul_i32 s91, s27, 22
	s_mul_i32 s92, s27, 23
	s_mul_i32 s93, s27, 24
	s_mul_i32 s94, s27, 25
	s_mul_i32 s95, s27, 26
	s_mul_i32 s16, s27, 27
	s_mul_i32 s17, s27, 28
	s_mul_i32 s33, s27, 29
	s_mul_i32 s42, s27, 30
	s_mul_i32 s0, s27, 31
	s_lshl_b32 s1, s27, 5
	s_mul_i32 s12, s27, 33
	s_mul_i32 s13, s27, 34
	;; [unrolled: 1-line block ×31, first 2 shown]
	s_mov_b64 s[26:27], 0
	s_branch .LBB103_83
.LBB103_82:                             ;   in Loop: Header=BB103_83 Depth=1
	s_waitcnt vmcnt(0)
	v_cvt_f16_f32_e32 v68, v68
	v_cvt_f16_f32_e32 v69, v69
	v_add_u32_e32 v70, 0xc00, v82
	ds_write2_b32 v70, v86, v86 offset0:172 offset1:238
	v_add_co_u32_e32 v0, vcc, 0x200, v0
	v_pack_b32_f16 v68, v68, v69
	ds_write2_b32 v70, v68, v86 offset0:40 offset1:106
	ds_read2_b64 v[68:71], v83 offset0:8 offset1:12
	v_add_u32_e32 v80, 0x80, v80
	v_addc_co_u32_e32 v1, vcc, 0, v1, vcc
	s_waitcnt lgkmcnt(0)
	v_mfma_f32_16x16x16f16 a[12:15], v[18:19], v[68:69], a[12:15]
	v_cmp_le_i32_e32 vcc, s24, v80
	v_add_u32_e32 v84, 0x100, v84
	s_or_b64 s[26:27], vcc, s[26:27]
	v_mfma_f32_16x16x16f16 a[4:7], v[36:37], v[68:69], a[4:7]
	v_mfma_f32_16x16x16f16 a[0:3], v[50:51], v[68:69], a[0:3]
	;; [unrolled: 1-line block ×4, first 2 shown]
	ds_read2_b64 v[16:19], v83 offset0:16 offset1:20
	v_mfma_f32_16x16x16f16 a[4:7], v[34:35], v[70:71], a[4:7]
	v_mfma_f32_16x16x16f16 a[0:3], v[48:49], v[70:71], a[0:3]
	;; [unrolled: 1-line block ×3, first 2 shown]
	s_waitcnt lgkmcnt(0)
	v_mfma_f32_16x16x16f16 a[12:15], v[12:13], v[16:17], a[12:15]
	v_mfma_f32_16x16x16f16 a[4:7], v[30:31], v[16:17], a[4:7]
	;; [unrolled: 1-line block ×8, first 2 shown]
	ds_read2_b64 v[16:19], v83 offset0:24 offset1:28
	s_waitcnt lgkmcnt(0)
	v_mfma_f32_16x16x16f16 a[12:15], v[14:15], v[16:17], a[12:15]
	v_mfma_f32_16x16x16f16 a[4:7], v[26:27], v[16:17], a[4:7]
	;; [unrolled: 1-line block ×5, first 2 shown]
	ds_read2_b64 v[8:11], v83 offset0:32 offset1:36
	v_mfma_f32_16x16x16f16 a[4:7], v[24:25], v[18:19], a[4:7]
	v_mfma_f32_16x16x16f16 a[0:3], v[40:41], v[18:19], a[0:3]
	;; [unrolled: 1-line block ×3, first 2 shown]
	s_waitcnt lgkmcnt(0)
	v_mfma_f32_16x16x16f16 a[12:15], v[6:7], v[8:9], a[12:15]
	v_mfma_f32_16x16x16f16 a[4:7], v[22:23], v[8:9], a[4:7]
	v_mfma_f32_16x16x16f16 a[0:3], v[38:39], v[8:9], a[0:3]
	v_mfma_f32_16x16x16f16 a[8:11], v[54:55], v[8:9], a[8:11]
	v_mfma_f32_16x16x16f16 a[12:15], v[4:5], v[10:11], a[12:15]
	v_mfma_f32_16x16x16f16 a[4:7], v[20:21], v[10:11], a[4:7]
	v_mfma_f32_16x16x16f16 a[0:3], v[32:33], v[10:11], a[0:3]
	v_mfma_f32_16x16x16f16 a[8:11], v[52:53], v[10:11], a[8:11]
	s_andn2_b64 exec, exec, s[26:27]
	s_cbranch_execz .LBB103_122
.LBB103_83:                             ; =>This Inner Loop Header: Depth=1
	v_add_co_u32_e32 v4, vcc, s62, v0
	v_addc_co_u32_e32 v5, vcc, v1, v87, vcc
	global_load_dword v20, v[0:1], off
	global_load_dword v21, v[4:5], off
	v_add_u32_e32 v4, s72, v80
	v_ashrrev_i32_e32 v5, 31, v4
	v_lshlrev_b64 v[4:5], 2, v[4:5]
	v_add_co_u32_e32 v4, vcc, s36, v4
	v_addc_co_u32_e32 v5, vcc, v85, v5, vcc
	v_readlane_b32 vcc_lo, v88, 37
	v_add_u32_e32 v6, vcc_lo, v80
	v_ashrrev_i32_e32 v7, 31, v6
	v_lshlrev_b64 v[6:7], 2, v[6:7]
	v_add_u32_e32 v8, s74, v80
	v_add_co_u32_e32 v6, vcc, s36, v6
	v_ashrrev_i32_e32 v9, 31, v8
	v_addc_co_u32_e32 v7, vcc, v85, v7, vcc
	v_lshlrev_b64 v[8:9], 2, v[8:9]
	v_add_co_u32_e32 v8, vcc, s36, v8
	v_addc_co_u32_e32 v9, vcc, v85, v9, vcc
	v_readlane_b32 vcc_lo, v88, 38
	v_add_u32_e32 v10, vcc_lo, v80
	v_ashrrev_i32_e32 v11, 31, v10
	v_lshlrev_b64 v[10:11], 2, v[10:11]
	v_add_co_u32_e32 v10, vcc, s36, v10
	v_addc_co_u32_e32 v11, vcc, v85, v11, vcc
	v_readlane_b32 vcc_lo, v88, 39
	v_add_u32_e32 v12, vcc_lo, v80
	v_ashrrev_i32_e32 v13, 31, v12
	v_lshlrev_b64 v[12:13], 2, v[12:13]
	v_add_u32_e32 v14, s77, v80
	v_add_co_u32_e32 v12, vcc, s36, v12
	v_ashrrev_i32_e32 v15, 31, v14
	v_addc_co_u32_e32 v13, vcc, v85, v13, vcc
	v_lshlrev_b64 v[14:15], 2, v[14:15]
	v_add_u32_e32 v16, s78, v80
	v_add_co_u32_e32 v14, vcc, s36, v14
	v_ashrrev_i32_e32 v17, 31, v16
	v_addc_co_u32_e32 v15, vcc, v85, v15, vcc
	;; [unrolled: 5-line block ×3, first 2 shown]
	v_lshlrev_b64 v[18:19], 2, v[18:19]
	v_add_co_u32_e32 v18, vcc, s36, v18
	v_addc_co_u32_e32 v19, vcc, v85, v19, vcc
	global_load_dword v22, v[4:5], off
	global_load_dword v23, v[6:7], off
	;; [unrolled: 1-line block ×6, first 2 shown]
	s_nop 0
	global_load_dword v16, v[16:17], off
	s_nop 0
	global_load_dword v17, v[18:19], off
	v_add_u32_e32 v4, s80, v80
	v_ashrrev_i32_e32 v5, 31, v4
	v_lshlrev_b64 v[4:5], 2, v[4:5]
	v_add_u32_e32 v6, s81, v80
	v_add_co_u32_e32 v4, vcc, s36, v4
	v_ashrrev_i32_e32 v7, 31, v6
	v_addc_co_u32_e32 v5, vcc, v85, v5, vcc
	v_lshlrev_b64 v[6:7], 2, v[6:7]
	v_add_u32_e32 v8, s82, v80
	v_add_co_u32_e32 v6, vcc, s36, v6
	v_ashrrev_i32_e32 v9, 31, v8
	v_addc_co_u32_e32 v7, vcc, v85, v7, vcc
	;; [unrolled: 5-line block ×5, first 2 shown]
	v_lshlrev_b64 v[14:15], 2, v[14:15]
	v_add_co_u32_e32 v14, vcc, s36, v14
	v_addc_co_u32_e32 v15, vcc, v85, v15, vcc
	global_load_dword v18, v[4:5], off
	global_load_dword v19, v[6:7], off
	s_nop 0
	global_load_dword v8, v[8:9], off
	s_nop 0
	global_load_dword v9, v[10:11], off
	s_nop 0
	global_load_dword v10, v[12:13], off
	global_load_dword v11, v[14:15], off
	v_add_u32_e32 v4, s86, v80
	v_ashrrev_i32_e32 v5, 31, v4
	v_lshlrev_b64 v[4:5], 2, v[4:5]
	v_add_u32_e32 v6, s87, v80
	v_add_co_u32_e32 v4, vcc, s36, v4
	v_ashrrev_i32_e32 v7, 31, v6
	v_addc_co_u32_e32 v5, vcc, v85, v5, vcc
	v_lshlrev_b64 v[6:7], 2, v[6:7]
	s_waitcnt vmcnt(15)
	ds_write_b32 v82, v20 offset:64
	s_waitcnt vmcnt(14)
	ds_write_b32 v82, v21 offset:328
	;; [unrolled: 2-line block ×10, first 2 shown]
	v_add_co_u32_e32 v6, vcc, s36, v6
	v_addc_co_u32_e32 v7, vcc, v85, v7, vcc
	global_load_dword v20, v[4:5], off
	global_load_dword v21, v[6:7], off
	v_add_u32_e32 v4, s63, v80
	v_ashrrev_i32_e32 v5, 31, v4
	v_lshlrev_b64 v[4:5], 2, v[4:5]
	v_add_u32_e32 v6, s88, v80
	v_add_co_u32_e32 v4, vcc, s36, v4
	v_ashrrev_i32_e32 v7, 31, v6
	s_waitcnt vmcnt(7)
	ds_write_b32 v82, v18 offset:2704
	s_waitcnt vmcnt(6)
	ds_write_b32 v82, v19 offset:2968
	;; [unrolled: 2-line block ×6, first 2 shown]
	v_addc_co_u32_e32 v5, vcc, v85, v5, vcc
	v_lshlrev_b64 v[6:7], 2, v[6:7]
	v_add_u32_e32 v8, s89, v80
	v_add_co_u32_e32 v6, vcc, s36, v6
	v_ashrrev_i32_e32 v9, 31, v8
	v_addc_co_u32_e32 v7, vcc, v85, v7, vcc
	v_lshlrev_b64 v[8:9], 2, v[8:9]
	v_add_u32_e32 v10, s90, v80
	v_add_co_u32_e32 v8, vcc, s36, v8
	v_ashrrev_i32_e32 v11, 31, v10
	v_addc_co_u32_e32 v9, vcc, v85, v9, vcc
	v_lshlrev_b64 v[10:11], 2, v[10:11]
	v_add_u32_e32 v12, s91, v80
	v_add_co_u32_e32 v10, vcc, s36, v10
	v_ashrrev_i32_e32 v13, 31, v12
	v_addc_co_u32_e32 v11, vcc, v85, v11, vcc
	v_lshlrev_b64 v[12:13], 2, v[12:13]
	v_add_u32_e32 v14, s92, v80
	v_add_co_u32_e32 v12, vcc, s36, v12
	v_ashrrev_i32_e32 v15, 31, v14
	v_addc_co_u32_e32 v13, vcc, v85, v13, vcc
	v_lshlrev_b64 v[14:15], 2, v[14:15]
	v_add_u32_e32 v16, s93, v80
	v_add_co_u32_e32 v14, vcc, s36, v14
	v_ashrrev_i32_e32 v17, 31, v16
	v_addc_co_u32_e32 v15, vcc, v85, v15, vcc
	v_lshlrev_b64 v[16:17], 2, v[16:17]
	v_add_u32_e32 v18, s94, v80
	v_add_co_u32_e32 v16, vcc, s36, v16
	v_ashrrev_i32_e32 v19, 31, v18
	v_addc_co_u32_e32 v17, vcc, v85, v17, vcc
	v_lshlrev_b64 v[18:19], 2, v[18:19]
	v_add_co_u32_e32 v18, vcc, s36, v18
	v_addc_co_u32_e32 v19, vcc, v85, v19, vcc
	global_load_dword v26, v[4:5], off
	global_load_dword v27, v[6:7], off
	global_load_dword v28, v[8:9], off
	global_load_dword v29, v[10:11], off
	global_load_dword v30, v[12:13], off
	global_load_dword v31, v[14:15], off
	global_load_dword v32, v[16:17], off
	global_load_dword v33, v[18:19], off
	v_add_u32_e32 v4, s95, v80
	v_ashrrev_i32_e32 v5, 31, v4
	v_lshlrev_b64 v[4:5], 2, v[4:5]
	v_add_u32_e32 v6, s16, v80
	v_add_co_u32_e32 v4, vcc, s36, v4
	v_ashrrev_i32_e32 v7, 31, v6
	v_addc_co_u32_e32 v5, vcc, v85, v5, vcc
	v_lshlrev_b64 v[6:7], 2, v[6:7]
	v_add_u32_e32 v8, s17, v80
	v_add_co_u32_e32 v6, vcc, s36, v6
	v_ashrrev_i32_e32 v9, 31, v8
	v_addc_co_u32_e32 v7, vcc, v85, v7, vcc
	v_lshlrev_b64 v[8:9], 2, v[8:9]
	v_add_u32_e32 v10, s33, v80
	v_add_co_u32_e32 v8, vcc, s36, v8
	v_ashrrev_i32_e32 v11, 31, v10
	v_addc_co_u32_e32 v9, vcc, v85, v9, vcc
	v_lshlrev_b64 v[10:11], 2, v[10:11]
	v_add_u32_e32 v12, s42, v80
	v_add_co_u32_e32 v10, vcc, s36, v10
	v_ashrrev_i32_e32 v13, 31, v12
	v_addc_co_u32_e32 v11, vcc, v85, v11, vcc
	v_lshlrev_b64 v[12:13], 2, v[12:13]
	v_add_u32_e32 v14, s0, v80
	v_add_co_u32_e32 v12, vcc, s36, v12
	v_ashrrev_i32_e32 v15, 31, v14
	v_addc_co_u32_e32 v13, vcc, v85, v13, vcc
	v_lshlrev_b64 v[14:15], 2, v[14:15]
	v_add_u32_e32 v16, s1, v80
	v_add_co_u32_e32 v14, vcc, s36, v14
	v_ashrrev_i32_e32 v17, 31, v16
	v_addc_co_u32_e32 v15, vcc, v85, v15, vcc
	v_lshlrev_b64 v[16:17], 2, v[16:17]
	v_add_u32_e32 v18, s12, v80
	v_add_co_u32_e32 v16, vcc, s36, v16
	v_ashrrev_i32_e32 v19, 31, v18
	v_addc_co_u32_e32 v17, vcc, v85, v17, vcc
	v_lshlrev_b64 v[18:19], 2, v[18:19]
	v_add_co_u32_e32 v18, vcc, s36, v18
	v_addc_co_u32_e32 v19, vcc, v85, v19, vcc
	global_load_dword v34, v[4:5], off
	global_load_dword v35, v[6:7], off
	global_load_dword v36, v[8:9], off
	global_load_dword v37, v[10:11], off
	global_load_dword v38, v[12:13], off
	global_load_dword v39, v[14:15], off
	global_load_dword v40, v[16:17], off
	global_load_dword v41, v[18:19], off
	v_add_u32_e32 v4, s13, v80
	v_ashrrev_i32_e32 v5, 31, v4
	v_lshlrev_b64 v[4:5], 2, v[4:5]
	v_add_u32_e32 v6, s2, v80
	v_add_co_u32_e32 v4, vcc, s36, v4
	v_ashrrev_i32_e32 v7, 31, v6
	;; [unrolled: 48-line block ×5, first 2 shown]
	v_addc_co_u32_e32 v5, vcc, v85, v5, vcc
	v_lshlrev_b64 v[6:7], 2, v[6:7]
	v_add_u32_e32 v8, s9, v80
	v_add_co_u32_e32 v6, vcc, s36, v6
	v_ashrrev_i32_e32 v9, 31, v8
	v_addc_co_u32_e32 v7, vcc, v85, v7, vcc
	v_lshlrev_b64 v[8:9], 2, v[8:9]
	v_add_co_u32_e32 v10, vcc, s36, v8
	v_add_u32_e32 v8, s73, v80
	v_addc_co_u32_e32 v11, vcc, v85, v9, vcc
	v_ashrrev_i32_e32 v9, 31, v8
	v_lshlrev_b64 v[8:9], 2, v[8:9]
	v_add_co_u32_e32 v14, vcc, s36, v8
	v_add_u32_e32 v8, s75, v80
	v_addc_co_u32_e32 v15, vcc, v85, v9, vcc
	v_ashrrev_i32_e32 v9, 31, v8
	;; [unrolled: 5-line block ×3, first 2 shown]
	v_lshlrev_b64 v[8:9], 2, v[8:9]
	v_add_co_u32_e32 v24, vcc, s36, v8
	v_addc_co_u32_e32 v25, vcc, v85, v9, vcc
	ds_read_b64 v[18:19], v83 offset:64
	ds_read_b64 v[16:17], v83 offset:96
	;; [unrolled: 1-line block ×4, first 2 shown]
	global_load_dword v66, v[4:5], off
	global_load_dword v67, v[6:7], off
	;; [unrolled: 1-line block ×6, first 2 shown]
	ds_read_b64 v[14:15], v83 offset:192
	ds_read_b64 v[10:11], v83 offset:224
	ds_read_b64 v[6:7], v83 offset:256
	ds_read_b64 v[4:5], v83 offset:288
	s_waitcnt vmcnt(47)
	ds_write_b32 v82, v20 offset:64
	s_waitcnt vmcnt(46)
	ds_write_b32 v82, v21 offset:328
	s_waitcnt vmcnt(45)
	ds_write_b32 v82, v26 offset:592
	s_waitcnt vmcnt(44)
	ds_write_b32 v82, v27 offset:856
	s_waitcnt vmcnt(43)
	ds_write_b32 v82, v28 offset:1120
	s_waitcnt vmcnt(42)
	ds_write_b32 v82, v29 offset:1384
	s_waitcnt vmcnt(41)
	ds_write_b32 v82, v30 offset:1648
	s_waitcnt vmcnt(40)
	ds_write_b32 v82, v31 offset:1912
	s_waitcnt vmcnt(39)
	ds_write_b32 v82, v32 offset:2176
	s_waitcnt vmcnt(38)
	ds_write_b32 v82, v33 offset:2440
	s_waitcnt vmcnt(37)
	ds_write_b32 v82, v34 offset:2704
	s_waitcnt vmcnt(36)
	ds_write_b32 v82, v35 offset:2968
	s_waitcnt vmcnt(35)
	ds_write_b32 v82, v36 offset:3232
	s_waitcnt vmcnt(34)
	ds_write_b32 v82, v37 offset:3496
	s_waitcnt vmcnt(33)
	ds_write_b32 v82, v38 offset:3760
	s_waitcnt vmcnt(32)
	ds_write_b32 v82, v39 offset:4024
	ds_read_b64 v[36:37], v83 offset:64
	ds_read_b64 v[34:35], v83 offset:96
	ds_read_b64 v[30:31], v83 offset:128
	ds_read_b64 v[28:29], v83 offset:160
	ds_read_b64 v[26:27], v83 offset:192
	ds_read_b64 v[24:25], v83 offset:224
	ds_read_b64 v[22:23], v83 offset:256
	ds_read_b64 v[20:21], v83 offset:288
	s_waitcnt vmcnt(31)
	ds_write_b32 v82, v40 offset:64
	s_waitcnt vmcnt(30)
	ds_write_b32 v82, v41 offset:328
	s_waitcnt vmcnt(29)
	ds_write_b32 v82, v42 offset:592
	s_waitcnt vmcnt(28)
	ds_write_b32 v82, v43 offset:856
	s_waitcnt vmcnt(27)
	ds_write_b32 v82, v44 offset:1120
	s_waitcnt vmcnt(26)
	ds_write_b32 v82, v45 offset:1384
	s_waitcnt vmcnt(25)
	ds_write_b32 v82, v46 offset:1648
	s_waitcnt vmcnt(24)
	ds_write_b32 v82, v47 offset:1912
	s_waitcnt vmcnt(23)
	ds_write_b32 v82, v48 offset:2176
	s_waitcnt vmcnt(22)
	ds_write_b32 v82, v49 offset:2440
	s_waitcnt vmcnt(21)
	ds_write_b32 v82, v50 offset:2704
	s_waitcnt vmcnt(20)
	ds_write_b32 v82, v51 offset:2968
	s_waitcnt vmcnt(19)
	ds_write_b32 v82, v52 offset:3232
	s_waitcnt vmcnt(18)
	ds_write_b32 v82, v53 offset:3496
	s_waitcnt vmcnt(17)
	ds_write_b32 v82, v54 offset:3760
	s_waitcnt vmcnt(16)
	ds_write_b32 v82, v55 offset:4024
	ds_read_b64 v[50:51], v83 offset:64
	ds_read_b64 v[48:49], v83 offset:96
	ds_read_b64 v[46:47], v83 offset:128
	ds_read_b64 v[44:45], v83 offset:160
	;; [unrolled: 40-line block ×3, first 2 shown]
	ds_read_b64 v[62:63], v83 offset:192
	ds_read_b64 v[58:59], v83 offset:224
	;; [unrolled: 1-line block ×4, first 2 shown]
	s_andn2_b64 vcc, exec, s[6:7]
	v_mov_b32_e32 v68, 0
	v_mov_b32_e32 v69, 0
	s_cbranch_vccnz .LBB103_86
; %bb.84:                               ;   in Loop: Header=BB103_83 Depth=1
	ds_read_b32 v70, v81
	v_mov_b32_e32 v69, 0
	v_mov_b32_e32 v68, 0
	s_waitcnt lgkmcnt(0)
	v_cmp_gt_i32_e32 vcc, 0, v70
	s_cbranch_vccnz .LBB103_86
; %bb.85:                               ;   in Loop: Header=BB103_83 Depth=1
	v_mul_lo_u32 v68, v70, s37
	v_add_u32_e32 v68, v84, v68
	v_ashrrev_i32_e32 v69, 31, v68
	v_lshlrev_b64 v[68:69], 2, v[68:69]
	v_mov_b32_e32 v70, s43
	v_add_co_u32_e32 v68, vcc, s39, v68
	v_addc_co_u32_e32 v69, vcc, v70, v69, vcc
	global_load_dwordx2 v[68:69], v[68:69], off
.LBB103_86:                             ;   in Loop: Header=BB103_83 Depth=1
	s_waitcnt vmcnt(0)
	v_cvt_f16_f32_e32 v68, v68
	v_cvt_f16_f32_e32 v69, v69
	s_andn2_b64 vcc, exec, s[22:23]
	v_mov_b32_e32 v70, 0
	v_mov_b32_e32 v71, 0
	v_pack_b32_f16 v68, v68, v69
	ds_write_b32 v82, v68 offset:64
	v_mov_b32_e32 v68, 0
	s_cbranch_vccnz .LBB103_89
; %bb.87:                               ;   in Loop: Header=BB103_83 Depth=1
	ds_read_b32 v69, v81 offset:4
	v_mov_b32_e32 v71, 0
	v_mov_b32_e32 v70, 0
	s_waitcnt lgkmcnt(0)
	v_cmp_gt_i32_e32 vcc, 0, v69
	s_cbranch_vccnz .LBB103_89
; %bb.88:                               ;   in Loop: Header=BB103_83 Depth=1
	v_mul_lo_u32 v69, v69, s37
	v_readlane_b32 vcc_lo, v88, 36
	v_add_u32_e32 v69, vcc_lo, v69
	v_add_u32_e32 v70, v69, v84
	v_ashrrev_i32_e32 v71, 31, v70
	v_lshlrev_b64 v[70:71], 2, v[70:71]
	v_mov_b32_e32 v69, s43
	v_add_co_u32_e32 v70, vcc, s39, v70
	v_addc_co_u32_e32 v71, vcc, v69, v71, vcc
	global_load_dwordx2 v[70:71], v[70:71], off
.LBB103_89:                             ;   in Loop: Header=BB103_83 Depth=1
	s_waitcnt vmcnt(0)
	v_cvt_f16_f32_e32 v69, v70
	v_cvt_f16_f32_e32 v70, v71
	s_andn2_b64 vcc, exec, s[30:31]
	v_pack_b32_f16 v69, v69, v70
	ds_write_b32 v82, v69 offset:328
	v_mov_b32_e32 v69, 0
	s_cbranch_vccnz .LBB103_92
; %bb.90:                               ;   in Loop: Header=BB103_83 Depth=1
	ds_read_b32 v70, v81 offset:8
	v_mov_b32_e32 v69, 0
	v_mov_b32_e32 v68, 0
	s_waitcnt lgkmcnt(0)
	v_cmp_gt_i32_e32 vcc, 0, v70
	s_cbranch_vccnz .LBB103_92
; %bb.91:                               ;   in Loop: Header=BB103_83 Depth=1
	v_mul_lo_u32 v68, v70, s37
	v_readlane_b32 vcc_lo, v88, 24
	v_add_u32_e32 v68, vcc_lo, v68
	v_add_u32_e32 v68, v68, v84
	v_ashrrev_i32_e32 v69, 31, v68
	v_lshlrev_b64 v[68:69], 2, v[68:69]
	v_mov_b32_e32 v70, s43
	v_add_co_u32_e32 v68, vcc, s39, v68
	v_addc_co_u32_e32 v69, vcc, v70, v69, vcc
	global_load_dwordx2 v[68:69], v[68:69], off
.LBB103_92:                             ;   in Loop: Header=BB103_83 Depth=1
	s_waitcnt vmcnt(0)
	v_cvt_f16_f32_e32 v68, v68
	v_cvt_f16_f32_e32 v69, v69
	s_andn2_b64 vcc, exec, s[34:35]
	v_mov_b32_e32 v70, 0
	v_mov_b32_e32 v71, 0
	v_pack_b32_f16 v68, v68, v69
	ds_write_b32 v82, v68 offset:592
	v_mov_b32_e32 v68, 0
	s_cbranch_vccnz .LBB103_95
; %bb.93:                               ;   in Loop: Header=BB103_83 Depth=1
	ds_read_b32 v69, v81 offset:12
	v_mov_b32_e32 v71, 0
	v_mov_b32_e32 v70, 0
	s_waitcnt lgkmcnt(0)
	v_cmp_gt_i32_e32 vcc, 0, v69
	s_cbranch_vccnz .LBB103_95
; %bb.94:                               ;   in Loop: Header=BB103_83 Depth=1
	v_mul_lo_u32 v69, v69, s37
	v_readlane_b32 vcc_lo, v88, 26
	v_add_u32_e32 v69, vcc_lo, v69
	v_add_u32_e32 v70, v69, v84
	v_ashrrev_i32_e32 v71, 31, v70
	v_lshlrev_b64 v[70:71], 2, v[70:71]
	v_mov_b32_e32 v69, s43
	v_add_co_u32_e32 v70, vcc, s39, v70
	v_addc_co_u32_e32 v71, vcc, v69, v71, vcc
	global_load_dwordx2 v[70:71], v[70:71], off
.LBB103_95:                             ;   in Loop: Header=BB103_83 Depth=1
	s_waitcnt vmcnt(0)
	v_cvt_f16_f32_e32 v69, v70
	v_cvt_f16_f32_e32 v70, v71
	s_andn2_b64 vcc, exec, s[40:41]
	v_pack_b32_f16 v69, v69, v70
	ds_write_b32 v82, v69 offset:856
	v_mov_b32_e32 v69, 0
	s_cbranch_vccnz .LBB103_98
; %bb.96:                               ;   in Loop: Header=BB103_83 Depth=1
	ds_read_b32 v70, v81 offset:16
	v_mov_b32_e32 v69, 0
	v_mov_b32_e32 v68, 0
	s_waitcnt lgkmcnt(0)
	v_cmp_gt_i32_e32 vcc, 0, v70
	s_cbranch_vccnz .LBB103_98
; %bb.97:                               ;   in Loop: Header=BB103_83 Depth=1
	v_mul_lo_u32 v68, v70, s37
	v_readlane_b32 vcc_lo, v88, 25
	v_add_u32_e32 v68, vcc_lo, v68
	v_add_u32_e32 v68, v68, v84
	v_ashrrev_i32_e32 v69, 31, v68
	v_lshlrev_b64 v[68:69], 2, v[68:69]
	v_mov_b32_e32 v70, s43
	v_add_co_u32_e32 v68, vcc, s39, v68
	v_addc_co_u32_e32 v69, vcc, v70, v69, vcc
	global_load_dwordx2 v[68:69], v[68:69], off
.LBB103_98:                             ;   in Loop: Header=BB103_83 Depth=1
	s_waitcnt vmcnt(0)
	v_cvt_f16_f32_e32 v68, v68
	v_cvt_f16_f32_e32 v69, v69
	s_andn2_b64 vcc, exec, s[46:47]
	v_mov_b32_e32 v70, 0
	v_mov_b32_e32 v71, 0
	v_pack_b32_f16 v68, v68, v69
	ds_write_b32 v82, v68 offset:1120
	v_mov_b32_e32 v68, 0
	s_cbranch_vccnz .LBB103_101
; %bb.99:                               ;   in Loop: Header=BB103_83 Depth=1
	ds_read_b32 v69, v81 offset:20
	v_mov_b32_e32 v71, 0
	v_mov_b32_e32 v70, 0
	s_waitcnt lgkmcnt(0)
	v_cmp_gt_i32_e32 vcc, 0, v69
	s_cbranch_vccnz .LBB103_101
; %bb.100:                              ;   in Loop: Header=BB103_83 Depth=1
	v_mul_lo_u32 v69, v69, s37
	v_readlane_b32 vcc_lo, v88, 28
	v_add_u32_e32 v69, vcc_lo, v69
	v_add_u32_e32 v70, v69, v84
	v_ashrrev_i32_e32 v71, 31, v70
	v_lshlrev_b64 v[70:71], 2, v[70:71]
	v_mov_b32_e32 v69, s43
	v_add_co_u32_e32 v70, vcc, s39, v70
	v_addc_co_u32_e32 v71, vcc, v69, v71, vcc
	global_load_dwordx2 v[70:71], v[70:71], off
.LBB103_101:                            ;   in Loop: Header=BB103_83 Depth=1
	s_waitcnt vmcnt(0)
	v_cvt_f16_f32_e32 v69, v70
	v_cvt_f16_f32_e32 v70, v71
	s_andn2_b64 vcc, exec, s[48:49]
	v_pack_b32_f16 v69, v69, v70
	ds_write_b32 v82, v69 offset:1384
	v_mov_b32_e32 v69, 0
	s_cbranch_vccnz .LBB103_104
; %bb.102:                              ;   in Loop: Header=BB103_83 Depth=1
	ds_read_b32 v70, v81 offset:24
	v_mov_b32_e32 v69, 0
	v_mov_b32_e32 v68, 0
	s_waitcnt lgkmcnt(0)
	v_cmp_gt_i32_e32 vcc, 0, v70
	s_cbranch_vccnz .LBB103_104
; %bb.103:                              ;   in Loop: Header=BB103_83 Depth=1
	v_mul_lo_u32 v68, v70, s37
	v_readlane_b32 vcc_lo, v88, 30
	v_add_u32_e32 v68, vcc_lo, v68
	v_add_u32_e32 v68, v68, v84
	v_ashrrev_i32_e32 v69, 31, v68
	v_lshlrev_b64 v[68:69], 2, v[68:69]
	v_mov_b32_e32 v70, s43
	v_add_co_u32_e32 v68, vcc, s39, v68
	v_addc_co_u32_e32 v69, vcc, v70, v69, vcc
	global_load_dwordx2 v[68:69], v[68:69], off
.LBB103_104:                            ;   in Loop: Header=BB103_83 Depth=1
	s_waitcnt vmcnt(0)
	v_cvt_f16_f32_e32 v68, v68
	v_cvt_f16_f32_e32 v69, v69
	s_andn2_b64 vcc, exec, s[50:51]
	v_mov_b32_e32 v70, 0
	v_mov_b32_e32 v71, 0
	v_pack_b32_f16 v68, v68, v69
	ds_write_b32 v82, v68 offset:1648
	v_mov_b32_e32 v68, 0
	s_cbranch_vccnz .LBB103_107
; %bb.105:                              ;   in Loop: Header=BB103_83 Depth=1
	ds_read_b32 v69, v81 offset:28
	v_mov_b32_e32 v71, 0
	v_mov_b32_e32 v70, 0
	s_waitcnt lgkmcnt(0)
	v_cmp_gt_i32_e32 vcc, 0, v69
	s_cbranch_vccnz .LBB103_107
; %bb.106:                              ;   in Loop: Header=BB103_83 Depth=1
	v_mul_lo_u32 v69, v69, s37
	v_readlane_b32 vcc_lo, v88, 35
	v_add_u32_e32 v69, vcc_lo, v69
	v_add_u32_e32 v70, v69, v84
	v_ashrrev_i32_e32 v71, 31, v70
	v_lshlrev_b64 v[70:71], 2, v[70:71]
	v_mov_b32_e32 v69, s43
	v_add_co_u32_e32 v70, vcc, s39, v70
	v_addc_co_u32_e32 v71, vcc, v69, v71, vcc
	global_load_dwordx2 v[70:71], v[70:71], off
.LBB103_107:                            ;   in Loop: Header=BB103_83 Depth=1
	s_waitcnt vmcnt(0)
	v_cvt_f16_f32_e32 v69, v70
	v_cvt_f16_f32_e32 v70, v71
	s_andn2_b64 vcc, exec, s[52:53]
	v_pack_b32_f16 v69, v69, v70
	ds_write_b32 v82, v69 offset:1912
	v_mov_b32_e32 v69, 0
	s_cbranch_vccnz .LBB103_110
; %bb.108:                              ;   in Loop: Header=BB103_83 Depth=1
	ds_read_b32 v70, v81 offset:32
	v_mov_b32_e32 v69, 0
	v_mov_b32_e32 v68, 0
	s_waitcnt lgkmcnt(0)
	v_cmp_gt_i32_e32 vcc, 0, v70
	s_cbranch_vccnz .LBB103_110
; %bb.109:                              ;   in Loop: Header=BB103_83 Depth=1
	v_mul_lo_u32 v68, v70, s37
	v_readlane_b32 vcc_lo, v88, 27
	v_add_u32_e32 v68, vcc_lo, v68
	v_add_u32_e32 v68, v68, v84
	v_ashrrev_i32_e32 v69, 31, v68
	v_lshlrev_b64 v[68:69], 2, v[68:69]
	v_mov_b32_e32 v70, s43
	v_add_co_u32_e32 v68, vcc, s39, v68
	v_addc_co_u32_e32 v69, vcc, v70, v69, vcc
	global_load_dwordx2 v[68:69], v[68:69], off
.LBB103_110:                            ;   in Loop: Header=BB103_83 Depth=1
	s_waitcnt vmcnt(0)
	v_cvt_f16_f32_e32 v68, v68
	v_cvt_f16_f32_e32 v69, v69
	s_andn2_b64 vcc, exec, s[54:55]
	v_mov_b32_e32 v70, 0
	v_mov_b32_e32 v71, 0
	v_pack_b32_f16 v68, v68, v69
	ds_write_b32 v82, v68 offset:2176
	v_mov_b32_e32 v68, 0
	s_cbranch_vccnz .LBB103_113
; %bb.111:                              ;   in Loop: Header=BB103_83 Depth=1
	ds_read_b32 v69, v81 offset:36
	v_mov_b32_e32 v71, 0
	v_mov_b32_e32 v70, 0
	s_waitcnt lgkmcnt(0)
	v_cmp_gt_i32_e32 vcc, 0, v69
	s_cbranch_vccnz .LBB103_113
; %bb.112:                              ;   in Loop: Header=BB103_83 Depth=1
	v_mul_lo_u32 v69, v69, s37
	v_readlane_b32 vcc_lo, v88, 34
	v_add_u32_e32 v69, vcc_lo, v69
	v_add_u32_e32 v70, v69, v84
	v_ashrrev_i32_e32 v71, 31, v70
	v_lshlrev_b64 v[70:71], 2, v[70:71]
	v_mov_b32_e32 v69, s43
	v_add_co_u32_e32 v70, vcc, s39, v70
	v_addc_co_u32_e32 v71, vcc, v69, v71, vcc
	global_load_dwordx2 v[70:71], v[70:71], off
.LBB103_113:                            ;   in Loop: Header=BB103_83 Depth=1
	;; [unrolled: 56-line block ×3, first 2 shown]
	s_waitcnt vmcnt(0)
	v_cvt_f16_f32_e32 v69, v70
	v_cvt_f16_f32_e32 v70, v71
	s_andn2_b64 vcc, exec, s[60:61]
	v_pack_b32_f16 v69, v69, v70
	ds_write_b32 v82, v69 offset:2968
	v_mov_b32_e32 v69, 0
	s_cbranch_vccnz .LBB103_82
; %bb.120:                              ;   in Loop: Header=BB103_83 Depth=1
	ds_read_b32 v70, v81 offset:48
	v_mov_b32_e32 v69, 0
	v_mov_b32_e32 v68, 0
	s_waitcnt lgkmcnt(0)
	v_cmp_gt_i32_e32 vcc, 0, v70
	s_cbranch_vccnz .LBB103_82
; %bb.121:                              ;   in Loop: Header=BB103_83 Depth=1
	v_mul_lo_u32 v68, v70, s37
	v_readlane_b32 vcc_lo, v88, 31
	v_add_u32_e32 v68, vcc_lo, v68
	v_add_u32_e32 v68, v68, v84
	v_ashrrev_i32_e32 v69, 31, v68
	v_lshlrev_b64 v[68:69], 2, v[68:69]
	v_mov_b32_e32 v70, s43
	v_add_co_u32_e32 v68, vcc, s39, v68
	v_addc_co_u32_e32 v69, vcc, v70, v69, vcc
	global_load_dwordx2 v[68:69], v[68:69], off
	s_branch .LBB103_82
.LBB103_122:
	s_or_b64 exec, exec, s[26:27]
	v_readlane_b32 s48, v88, 16
	v_readlane_b32 s12, v88, 20
	;; [unrolled: 1-line block ×9, first 2 shown]
.LBB103_123:
	v_readlane_b32 s0, v88, 14
	v_readlane_b32 s1, v88, 15
	s_or_b64 exec, exec, s[0:1]
	v_mul_u32_u24_e32 v0, 0x208, v79
	s_movk_i32 s1, 0x100
	v_lshlrev_b32_e32 v1, 2, v78
	v_add3_u32 v0, s1, v0, v1
	v_and_b32_e32 v4, 0x3f0, v2
	v_add_u32_e32 v5, v0, v4
	s_barrier
	ds_write2_b32 v5, a12, a13 offset0:16 offset1:17
	v_or_b32_e32 v5, 12, v2
	v_add_u32_e32 v1, 64, v0
	v_and_b32_e32 v5, 0x3fc, v5
	v_add_u32_e32 v4, v1, v4
	v_add_u32_e32 v0, v0, v5
	ds_write_b32 v4, a14 offset:8
	ds_write_b32 v0, a15 offset:64
	ds_write2_b32 v4, a4, a5 offset0:16 offset1:17
	ds_write_b32 v4, a6 offset:72
	v_add_u32_e32 v0, v1, v5
	v_mov_b32_e32 v5, 0x100
	s_movk_i32 s0, 0x208
	ds_write_b32 v0, a7 offset:64
	ds_write2_b32 v4, a0, a1 offset0:32 offset1:33
	ds_write_b32 v4, a2 offset:136
	ds_write_b32 v0, a3 offset:128
	ds_write2_b32 v4, a8, a9 offset0:48 offset1:49
	ds_write_b32 v4, a10 offset:200
	ds_write_b32 v0, a11 offset:192
	v_lshl_add_u32 v4, v2, 2, v5
	v_mad_u32_u24 v0, v3, s0, v4
	s_waitcnt lgkmcnt(0)
	s_barrier
	ds_read2_b32 v[0:1], v0 offset0:16 offset1:80
	v_cmp_gt_u32_e32 vcc, 13, v3
	v_mov_b32_e32 v6, -1
	s_and_saveexec_b64 s[4:5], vcc
	s_cbranch_execz .LBB103_125
; %bb.124:
	v_lshl_add_u32 v5, v3, 2, v5
	ds_read_b32 v6, v5
.LBB103_125:
	s_or_b64 exec, exec, s[4:5]
	s_mul_hi_i32 s1, s14, s8
	s_mul_i32 s0, s14, s8
	s_lshl_b64 s[0:1], s[0:1], 2
	v_readlane_b32 s4, v88, 12
	s_mul_hi_i32 s3, s60, s29
	s_mul_i32 s2, s60, s29
	v_readlane_b32 s5, v88, 13
	s_add_u32 s4, s4, s0
	s_addc_u32 s5, s5, s1
	s_lshl_b64 s[0:1], s[2:3], 2
	s_add_u32 s2, s4, s0
	s_waitcnt lgkmcnt(0)
	v_cmp_lt_i32_e32 vcc, -1, v6
	v_mul_u32_u24_e32 v5, 0x208, v3
	v_add_u32_e32 v2, s6, v2
	s_addc_u32 s3, s5, s1
	s_and_b64 s[4:5], vcc, s[48:49]
	s_and_saveexec_b64 s[0:1], s[4:5]
	s_cbranch_execz .LBB103_127
; %bb.126:
	v_add_f32_e32 v0, 0, v0
	v_add_f32_e32 v7, v0, v1
	v_mul_lo_u32 v0, v6, s38
	v_mul_lo_u32 v1, v3, s29
	v_add3_u32 v0, v2, v1, v0
	v_mov_b32_e32 v1, 0
	v_lshlrev_b64 v[0:1], 2, v[0:1]
	v_mov_b32_e32 v6, s3
	v_add_co_u32_e32 v0, vcc, s2, v0
	v_addc_co_u32_e32 v1, vcc, v6, v1, vcc
	global_store_dword v[0:1], v7, off
.LBB103_127:
	s_or_b64 exec, exec, s[0:1]
	v_add_u32_e32 v4, v5, v4
	v_add_u32_e32 v0, 0x50, v4
	ds_read2st64_b32 v[0:1], v0 offset0:4 offset1:5
	v_cmp_gt_u32_e32 vcc, 11, v3
	v_mov_b32_e32 v5, -1
	s_and_saveexec_b64 s[0:1], vcc
	s_cbranch_execz .LBB103_129
; %bb.128:
	v_mov_b32_e32 v5, 0x100
	v_lshl_add_u32 v5, v3, 2, v5
	ds_read_b32 v5, v5 offset:8
.LBB103_129:
	s_or_b64 exec, exec, s[0:1]
	v_readlane_b32 s0, v88, 0
	s_waitcnt lgkmcnt(0)
	v_cmp_lt_i32_e32 vcc, -1, v5
	v_readlane_b32 s1, v88, 1
	s_and_b64 s[4:5], vcc, s[0:1]
	s_and_saveexec_b64 s[0:1], s[4:5]
	s_cbranch_execz .LBB103_131
; %bb.130:
	v_add_f32_e32 v0, 0, v0
	v_add_f32_e32 v6, v0, v1
	v_mul_lo_u32 v0, v5, s38
	v_mul_lo_u32 v1, v72, s29
	v_add3_u32 v0, v2, v1, v0
	v_mov_b32_e32 v1, 0
	v_lshlrev_b64 v[0:1], 2, v[0:1]
	v_mov_b32_e32 v5, s3
	v_add_co_u32_e32 v0, vcc, s2, v0
	v_addc_co_u32_e32 v1, vcc, v5, v1, vcc
	global_store_dword v[0:1], v6, off
.LBB103_131:
	s_or_b64 exec, exec, s[0:1]
	v_add_u32_e32 v0, 0x60, v4
	ds_read2st64_b32 v[0:1], v0 offset0:8 offset1:9
	v_cmp_gt_u32_e32 vcc, 9, v3
	v_mov_b32_e32 v5, -1
	s_and_saveexec_b64 s[0:1], vcc
	s_cbranch_execz .LBB103_133
; %bb.132:
	v_mov_b32_e32 v5, 0x100
	v_lshl_add_u32 v5, v3, 2, v5
	ds_read_b32 v5, v5 offset:16
.LBB103_133:
	s_or_b64 exec, exec, s[0:1]
	v_readlane_b32 s0, v88, 2
	s_waitcnt lgkmcnt(0)
	v_cmp_lt_i32_e32 vcc, -1, v5
	v_readlane_b32 s1, v88, 3
	s_and_b64 s[4:5], vcc, s[0:1]
	s_and_saveexec_b64 s[0:1], s[4:5]
	s_cbranch_execz .LBB103_135
; %bb.134:
	v_add_f32_e32 v0, 0, v0
	v_add_f32_e32 v6, v0, v1
	v_mul_lo_u32 v0, v5, s38
	v_mul_lo_u32 v1, v73, s29
	v_add3_u32 v0, v2, v1, v0
	v_mov_b32_e32 v1, 0
	v_lshlrev_b64 v[0:1], 2, v[0:1]
	v_mov_b32_e32 v5, s3
	v_add_co_u32_e32 v0, vcc, s2, v0
	v_addc_co_u32_e32 v1, vcc, v5, v1, vcc
	global_store_dword v[0:1], v6, off
.LBB103_135:
	s_or_b64 exec, exec, s[0:1]
	;; [unrolled: 33-line block ×5, first 2 shown]
	v_cmp_eq_u32_e32 vcc, 0, v3
	s_and_saveexec_b64 s[0:1], vcc
	s_cbranch_execz .LBB103_150
; %bb.148:
	v_mov_b32_e32 v0, 0x100
	ds_read_b32 v0, v0 offset:48
	v_readlane_b32 s4, v88, 10
	v_readlane_b32 s5, v88, 11
	s_waitcnt lgkmcnt(0)
	v_readfirstlane_b32 s0, v0
	s_cmp_gt_i32 s0, -1
	s_cselect_b64 s[0:1], -1, 0
	s_and_b64 s[0:1], s[0:1], s[4:5]
	s_and_b64 exec, exec, s[0:1]
	s_cbranch_execz .LBB103_150
; %bb.149:
	v_add_u32_e32 v1, 0xa0, v4
	ds_read2st64_b32 v[4:5], v1 offset0:24 offset1:25
	v_mul_lo_u32 v0, v0, s38
	v_mul_lo_u32 v3, v77, s29
	v_mov_b32_e32 v1, 0
	v_add3_u32 v0, v2, v3, v0
	v_lshlrev_b64 v[0:1], 2, v[0:1]
	s_waitcnt lgkmcnt(0)
	v_add_f32_e32 v2, 0, v4
	v_mov_b32_e32 v3, s3
	v_add_co_u32_e32 v0, vcc, s2, v0
	v_add_f32_e32 v2, v2, v5
	v_addc_co_u32_e32 v1, vcc, v3, v1, vcc
	global_store_dword v[0:1], v2, off
.LBB103_150:
	s_endpgm
	.section	.rodata,"a",@progbits
	.p2align	6, 0x0
	.amdhsa_kernel _ZL9mul_mat_fI7__half2Li64ELi13ELi2ELb1EEvPKT_PKfPKiPfiiiiiiiiiiiiiiii
		.amdhsa_group_segment_fixed_size 256
		.amdhsa_private_segment_fixed_size 0
		.amdhsa_kernarg_size 352
		.amdhsa_user_sgpr_count 6
		.amdhsa_user_sgpr_private_segment_buffer 1
		.amdhsa_user_sgpr_dispatch_ptr 0
		.amdhsa_user_sgpr_queue_ptr 0
		.amdhsa_user_sgpr_kernarg_segment_ptr 1
		.amdhsa_user_sgpr_dispatch_id 0
		.amdhsa_user_sgpr_flat_scratch_init 0
		.amdhsa_user_sgpr_kernarg_preload_length 0
		.amdhsa_user_sgpr_kernarg_preload_offset 0
		.amdhsa_user_sgpr_private_segment_size 0
		.amdhsa_uses_dynamic_stack 0
		.amdhsa_system_sgpr_private_segment_wavefront_offset 0
		.amdhsa_system_sgpr_workgroup_id_x 1
		.amdhsa_system_sgpr_workgroup_id_y 1
		.amdhsa_system_sgpr_workgroup_id_z 1
		.amdhsa_system_sgpr_workgroup_info 0
		.amdhsa_system_vgpr_workitem_id 2
		.amdhsa_next_free_vgpr 108
		.amdhsa_next_free_sgpr 96
		.amdhsa_accum_offset 92
		.amdhsa_reserve_vcc 1
		.amdhsa_reserve_flat_scratch 0
		.amdhsa_float_round_mode_32 0
		.amdhsa_float_round_mode_16_64 0
		.amdhsa_float_denorm_mode_32 3
		.amdhsa_float_denorm_mode_16_64 3
		.amdhsa_dx10_clamp 1
		.amdhsa_ieee_mode 1
		.amdhsa_fp16_overflow 0
		.amdhsa_tg_split 0
		.amdhsa_exception_fp_ieee_invalid_op 0
		.amdhsa_exception_fp_denorm_src 0
		.amdhsa_exception_fp_ieee_div_zero 0
		.amdhsa_exception_fp_ieee_overflow 0
		.amdhsa_exception_fp_ieee_underflow 0
		.amdhsa_exception_fp_ieee_inexact 0
		.amdhsa_exception_int_div_zero 0
	.end_amdhsa_kernel
	.section	.text._ZL9mul_mat_fI7__half2Li64ELi13ELi2ELb1EEvPKT_PKfPKiPfiiiiiiiiiiiiiiii,"axG",@progbits,_ZL9mul_mat_fI7__half2Li64ELi13ELi2ELb1EEvPKT_PKfPKiPfiiiiiiiiiiiiiiii,comdat
.Lfunc_end103:
	.size	_ZL9mul_mat_fI7__half2Li64ELi13ELi2ELb1EEvPKT_PKfPKiPfiiiiiiiiiiiiiiii, .Lfunc_end103-_ZL9mul_mat_fI7__half2Li64ELi13ELi2ELb1EEvPKT_PKfPKiPfiiiiiiiiiiiiiiii
                                        ; -- End function
	.section	.AMDGPU.csdata,"",@progbits
; Kernel info:
; codeLenInByte = 10740
; NumSgprs: 100
; NumVgprs: 89
; NumAgprs: 16
; TotalNumVgprs: 108
; ScratchSize: 0
; MemoryBound: 0
; FloatMode: 240
; IeeeMode: 1
; LDSByteSize: 256 bytes/workgroup (compile time only)
; SGPRBlocks: 12
; VGPRBlocks: 13
; NumSGPRsForWavesPerEU: 100
; NumVGPRsForWavesPerEU: 108
; AccumOffset: 92
; Occupancy: 4
; WaveLimiterHint : 0
; COMPUTE_PGM_RSRC2:SCRATCH_EN: 0
; COMPUTE_PGM_RSRC2:USER_SGPR: 6
; COMPUTE_PGM_RSRC2:TRAP_HANDLER: 0
; COMPUTE_PGM_RSRC2:TGID_X_EN: 1
; COMPUTE_PGM_RSRC2:TGID_Y_EN: 1
; COMPUTE_PGM_RSRC2:TGID_Z_EN: 1
; COMPUTE_PGM_RSRC2:TIDIG_COMP_CNT: 2
; COMPUTE_PGM_RSRC3_GFX90A:ACCUM_OFFSET: 22
; COMPUTE_PGM_RSRC3_GFX90A:TG_SPLIT: 0
	.section	.text._ZL9mul_mat_fI7__half2Li64ELi13ELi2ELb0EEvPKT_PKfPKiPfiiiiiiiiiiiiiiii,"axG",@progbits,_ZL9mul_mat_fI7__half2Li64ELi13ELi2ELb0EEvPKT_PKfPKiPfiiiiiiiiiiiiiiii,comdat
	.globl	_ZL9mul_mat_fI7__half2Li64ELi13ELi2ELb0EEvPKT_PKfPKiPfiiiiiiiiiiiiiiii ; -- Begin function _ZL9mul_mat_fI7__half2Li64ELi13ELi2ELb0EEvPKT_PKfPKiPfiiiiiiiiiiiiiiii
	.p2align	8
	.type	_ZL9mul_mat_fI7__half2Li64ELi13ELi2ELb0EEvPKT_PKfPKiPfiiiiiiiiiiiiiiii,@function
_ZL9mul_mat_fI7__half2Li64ELi13ELi2ELb0EEvPKT_PKfPKiPfiiiiiiiiiiiiiiii: ; @_ZL9mul_mat_fI7__half2Li64ELi13ELi2ELb0EEvPKT_PKfPKiPfiiiiiiiiiiiiiiii
; %bb.0:
	s_load_dwordx8 s[12:19], s[4:5], 0x40
	s_load_dword s9, s[4:5], 0x20
	s_load_dwordx4 s[0:3], s[4:5], 0x2c
	v_bfe_u32 v88, v0, 10, 10
	v_lshlrev_b32_e32 v90, 6, v88
	v_and_b32_e32 v89, 0x3ff, v0
	s_waitcnt lgkmcnt(0)
	s_abs_i32 s27, s12
	s_abs_i32 s26, s16
	v_cvt_f32_u32_e32 v1, s27
	v_cvt_f32_u32_e32 v2, s26
	v_add_u32_e32 v92, v90, v89
	s_mov_b32 s22, 0
	v_rcp_iflag_f32_e32 v1, v1
	v_rcp_iflag_f32_e32 v2, v2
	s_ashr_i32 s28, s8, 31
	v_cmp_le_i32_e32 vcc, s9, v92
	v_mul_f32_e32 v1, 0x4f7ffffe, v1
	v_mul_f32_e32 v2, 0x4f7ffffe, v2
	v_cvt_u32_f32_e32 v1, v1
	v_cvt_u32_f32_e32 v2, v2
	v_and_b32_e32 v91, 15, v89
	v_readfirstlane_b32 s21, v1
	v_readfirstlane_b32 s20, v2
	s_and_saveexec_b64 s[10:11], vcc
	s_xor_b64 s[10:11], exec, s[10:11]
; %bb.1:
	v_and_b32_e32 v91, 15, v89
                                        ; implicit-def: $vgpr92
; %bb.2:
	s_or_saveexec_b64 s[24:25], s[10:11]
	s_load_dwordx2 s[10:11], s[4:5], 0x18
	s_lshl_b32 s3, s6, 6
	v_accvgpr_write_b32 a0, s22
	v_accvgpr_write_b32 a1, s22
	;; [unrolled: 1-line block ×16, first 2 shown]
	s_xor_b64 exec, exec, s[24:25]
	s_cbranch_execz .LBB104_6
; %bb.3:
	s_sub_i32 s6, 0, s27
	s_sub_i32 s22, 0, s26
	s_mul_i32 s6, s6, s21
	s_mul_i32 s22, s22, s20
	s_mul_hi_u32 s6, s21, s6
	s_mul_hi_u32 s22, s20, s22
	s_abs_i32 s29, s7
	s_add_i32 s6, s21, s6
	s_add_i32 s31, s20, s22
	s_load_dwordx4 s[20:23], s[4:5], 0x0
	s_mul_hi_u32 s4, s29, s6
	s_ashr_i32 s6, s7, 31
	s_ashr_i32 s12, s12, 31
	s_xor_b32 s6, s6, s12
	s_mul_i32 s12, s4, s27
	s_abs_i32 s30, s8
	s_sub_i32 s12, s29, s12
	s_mul_hi_u32 s5, s30, s31
	s_ashr_i32 s16, s16, 31
	s_add_i32 s29, s4, 1
	s_sub_i32 s31, s12, s27
	s_cmp_ge_u32 s12, s27
	s_cselect_b32 s4, s29, s4
	s_cselect_b32 s12, s31, s12
	s_add_i32 s29, s4, 1
	s_cmp_ge_u32 s12, s27
	s_cselect_b32 s4, s29, s4
	s_mul_i32 s12, s5, s26
	s_xor_b32 s4, s4, s6
	s_sub_i32 s12, s30, s12
	s_sub_i32 s6, s4, s6
	s_xor_b32 s4, s28, s16
	s_add_i32 s16, s5, 1
	s_sub_i32 s27, s12, s26
	s_cmp_ge_u32 s12, s26
	s_cselect_b32 s5, s16, s5
	s_cselect_b32 s12, s27, s12
	s_add_i32 s16, s5, 1
	s_cmp_ge_u32 s12, s26
	s_cselect_b32 s5, s16, s5
	s_xor_b32 s5, s5, s4
	s_sub_i32 s4, s5, s4
	s_mul_hi_i32 s5, s4, s17
	s_mul_i32 s4, s4, s17
	s_mul_i32 s12, s6, s13
	s_ashr_i32 s13, s12, 31
	s_lshl_b64 s[26:27], s[4:5], 2
	s_mul_i32 s16, s3, s0
	s_waitcnt lgkmcnt(0)
	s_add_u32 s6, s20, s26
	s_addc_u32 s29, s21, s27
	s_ashr_i32 s17, s16, 31
	s_lshl_b64 s[16:17], s[16:17], 2
	s_lshl_b64 s[12:13], s[12:13], 2
	s_mul_hi_i32 s5, s18, s8
	s_mul_i32 s4, s18, s8
	s_add_u32 s18, s12, s16
	s_addc_u32 s30, s13, s17
	s_mul_i32 s28, s7, s14
	s_add_u32 s6, s18, s6
	s_addc_u32 s73, s30, s29
	s_ashr_i32 s29, s28, 31
	s_lshl_b64 s[16:17], s[4:5], 2
	s_lshl_b64 s[4:5], s[28:29], 2
	s_add_u32 s22, s22, s4
	s_addc_u32 s23, s23, s5
	s_add_u32 s14, s22, s16
	s_movk_i32 s4, 0x1080
	s_addc_u32 s74, s23, s17
	v_mad_u32_u24 v0, v88, s4, 0
	s_ashr_i32 s5, s0, 31
	s_mov_b32 s4, s0
	v_lshrrev_b32_e32 v3, 1, v89
	s_ashr_i32 s13, s1, 31
	s_lshl_b64 s[4:5], s[4:5], 2
	v_lshlrev_b32_e32 v1, 2, v89
	v_mul_u32_u24_e32 v2, 0x108, v91
	v_and_b32_e32 v3, 0x1f8, v3
	s_add_u32 s18, s18, s26
	v_add_u32_e32 v93, v0, v1
	v_add3_u32 v94, v0, v2, v3
	v_lshlrev_b32_e32 v0, 8, v88
	s_addc_u32 s26, s30, s27
	v_mov_b32_e32 v2, s26
	v_add_co_u32_e32 v0, vcc, s18, v0
	v_addc_co_u32_e32 v2, vcc, 0, v2, vcc
	v_add_co_u32_e32 v0, vcc, v0, v1
	v_addc_co_u32_e32 v1, vcc, 0, v2, vcc
	v_mov_b32_e32 v2, s21
	v_add_co_u32_e32 v16, vcc, s20, v0
	v_addc_co_u32_e32 v17, vcc, v2, v1, vcc
	v_lshlrev_b32_e32 v0, 9, v88
	v_mov_b32_e32 v1, s17
	v_add_co_u32_e32 v0, vcc, s16, v0
	v_addc_co_u32_e32 v1, vcc, 0, v1, vcc
	v_lshlrev_b32_e32 v2, 3, v89
	v_add_co_u32_e32 v0, vcc, v0, v2
	s_mov_b32 s12, s1
	v_addc_co_u32_e32 v1, vcc, 0, v1, vcc
	s_lshl_b64 s[12:13], s[12:13], 3
	v_mov_b32_e32 v2, s23
	v_add_co_u32_e32 v18, vcc, s22, v0
	v_addc_co_u32_e32 v19, vcc, v2, v1, vcc
	s_mul_i32 s16, s0, 63
	s_lshl_b32 s17, s1, 1
	s_mul_i32 s18, s1, 3
	s_lshl_b32 s20, s1, 2
	s_mul_i32 s21, s1, 5
	s_mul_i32 s22, s1, 6
	;; [unrolled: 1-line block ×3, first 2 shown]
	s_lshl_b32 s26, s1, 3
	s_mul_i32 s27, s1, 9
	s_mul_i32 s28, s1, 10
	;; [unrolled: 1-line block ×4, first 2 shown]
	s_lshl_b32 s31, s0, 1
	s_mul_i32 s33, s0, 3
	s_lshl_b32 s34, s0, 2
	s_mul_i32 s35, s0, 5
	s_mul_i32 s36, s0, 6
	;; [unrolled: 1-line block ×3, first 2 shown]
	s_lshl_b32 s38, s0, 3
	s_mul_i32 s39, s0, 9
	s_mul_i32 s40, s0, 10
	;; [unrolled: 1-line block ×7, first 2 shown]
	s_lshl_b32 s46, s0, 4
	s_mul_i32 s47, s0, 17
	s_mul_i32 s48, s0, 18
	;; [unrolled: 1-line block ×15, first 2 shown]
	s_lshl_b32 s62, s0, 5
	s_mul_i32 s63, s0, 33
	s_mul_i32 s64, s0, 34
	;; [unrolled: 1-line block ×10, first 2 shown]
	v_mov_b32_e32 v95, s73
	s_mul_i32 s73, s0, 43
	v_mov_b32_e32 v96, s74
	s_mul_i32 s74, s0, 44
	v_mov_b32_e32 v97, 0
	v_accvgpr_write_b32 a15, 0
	v_accvgpr_write_b32 a14, 0
	;; [unrolled: 1-line block ×16, first 2 shown]
	v_mov_b32_e32 v98, s5
	v_mov_b32_e32 v99, s13
	s_mul_i32 s5, s0, 45
	s_mul_i32 s13, s0, 46
	;; [unrolled: 1-line block ×18, first 2 shown]
	s_mov_b64 s[0:1], 0
.LBB104_4:                              ; =>This Inner Loop Header: Depth=1
	global_load_dword v20, v[16:17], off
	v_add_u32_e32 v36, s46, v92
	v_ashrrev_i32_e32 v37, 31, v36
	v_lshlrev_b64 v[36:37], 2, v[36:37]
	v_add_u32_e32 v52, s62, v92
	v_ashrrev_i32_e32 v53, 31, v52
	v_lshlrev_b64 v[52:53], 2, v[52:53]
	;; [unrolled: 3-line block ×3, first 2 shown]
	v_accvgpr_read_b32 v0, a12
	v_accvgpr_read_b32 v4, a8
	;; [unrolled: 1-line block ×16, first 2 shown]
	v_accvgpr_write_b32 a0, v0
	v_accvgpr_write_b32 a4, v4
	;; [unrolled: 1-line block ×16, first 2 shown]
	s_waitcnt vmcnt(0)
	ds_write_b32 v93, v20
	v_add_co_u32_e32 v20, vcc, s4, v16
	v_addc_co_u32_e32 v21, vcc, v17, v98, vcc
	global_load_dword v20, v[20:21], off
	s_waitcnt vmcnt(0)
	ds_write_b32 v93, v20 offset:264
	v_add_u32_e32 v20, s31, v92
	v_ashrrev_i32_e32 v21, 31, v20
	v_lshlrev_b64 v[20:21], 2, v[20:21]
	v_add_co_u32_e32 v20, vcc, s6, v20
	v_addc_co_u32_e32 v21, vcc, v95, v21, vcc
	global_load_dword v20, v[20:21], off
	s_waitcnt vmcnt(0)
	ds_write_b32 v93, v20 offset:528
	v_add_u32_e32 v20, s33, v92
	v_ashrrev_i32_e32 v21, 31, v20
	v_lshlrev_b64 v[20:21], 2, v[20:21]
	;; [unrolled: 8-line block ×14, first 2 shown]
	v_add_co_u32_e32 v20, vcc, s6, v20
	v_addc_co_u32_e32 v21, vcc, v95, v21, vcc
	global_load_dword v20, v[20:21], off
	v_add_co_u32_e32 v36, vcc, s6, v36
	v_addc_co_u32_e32 v37, vcc, v95, v37, vcc
	s_waitcnt vmcnt(0)
	ds_write_b32 v93, v20 offset:3960
	ds_read_b64 v[34:35], v94
	ds_read_b64 v[32:33], v94 offset:32
	ds_read_b64 v[30:31], v94 offset:64
	;; [unrolled: 1-line block ×7, first 2 shown]
	global_load_dword v36, v[36:37], off
	s_waitcnt vmcnt(0)
	ds_write_b32 v93, v36
	v_add_u32_e32 v36, s47, v92
	v_ashrrev_i32_e32 v37, 31, v36
	v_lshlrev_b64 v[36:37], 2, v[36:37]
	v_add_co_u32_e32 v36, vcc, s6, v36
	v_addc_co_u32_e32 v37, vcc, v95, v37, vcc
	global_load_dword v36, v[36:37], off
	s_waitcnt vmcnt(0)
	ds_write_b32 v93, v36 offset:264
	v_add_u32_e32 v36, s48, v92
	v_ashrrev_i32_e32 v37, 31, v36
	v_lshlrev_b64 v[36:37], 2, v[36:37]
	v_add_co_u32_e32 v36, vcc, s6, v36
	v_addc_co_u32_e32 v37, vcc, v95, v37, vcc
	global_load_dword v36, v[36:37], off
	s_waitcnt vmcnt(0)
	ds_write_b32 v93, v36 offset:528
	;; [unrolled: 8-line block ×14, first 2 shown]
	v_add_u32_e32 v36, s61, v92
	v_ashrrev_i32_e32 v37, 31, v36
	v_lshlrev_b64 v[36:37], 2, v[36:37]
	v_add_co_u32_e32 v36, vcc, s6, v36
	v_addc_co_u32_e32 v37, vcc, v95, v37, vcc
	global_load_dword v36, v[36:37], off
	v_add_co_u32_e32 v52, vcc, s6, v52
	v_addc_co_u32_e32 v53, vcc, v95, v53, vcc
	s_waitcnt vmcnt(0)
	ds_write_b32 v93, v36 offset:3960
	ds_read_b64 v[50:51], v94
	ds_read_b64 v[48:49], v94 offset:32
	ds_read_b64 v[46:47], v94 offset:64
	;; [unrolled: 1-line block ×7, first 2 shown]
	global_load_dword v52, v[52:53], off
	s_waitcnt vmcnt(0)
	ds_write_b32 v93, v52
	v_add_u32_e32 v52, s63, v92
	v_ashrrev_i32_e32 v53, 31, v52
	v_lshlrev_b64 v[52:53], 2, v[52:53]
	v_add_co_u32_e32 v52, vcc, s6, v52
	v_addc_co_u32_e32 v53, vcc, v95, v53, vcc
	global_load_dword v52, v[52:53], off
	s_waitcnt vmcnt(0)
	ds_write_b32 v93, v52 offset:264
	v_add_u32_e32 v52, s64, v92
	v_ashrrev_i32_e32 v53, 31, v52
	v_lshlrev_b64 v[52:53], 2, v[52:53]
	v_add_co_u32_e32 v52, vcc, s6, v52
	v_addc_co_u32_e32 v53, vcc, v95, v53, vcc
	global_load_dword v52, v[52:53], off
	s_waitcnt vmcnt(0)
	ds_write_b32 v93, v52 offset:528
	;; [unrolled: 8-line block ×14, first 2 shown]
	v_add_u32_e32 v52, s75, v92
	v_ashrrev_i32_e32 v53, 31, v52
	v_lshlrev_b64 v[52:53], 2, v[52:53]
	v_add_co_u32_e32 v52, vcc, s6, v52
	v_addc_co_u32_e32 v53, vcc, v95, v53, vcc
	global_load_dword v52, v[52:53], off
	v_add_co_u32_e32 v68, vcc, s6, v68
	v_addc_co_u32_e32 v69, vcc, v95, v69, vcc
	s_waitcnt vmcnt(0)
	ds_write_b32 v93, v52 offset:3960
	ds_read_b64 v[66:67], v94
	ds_read_b64 v[64:65], v94 offset:32
	ds_read_b64 v[62:63], v94 offset:64
	;; [unrolled: 1-line block ×7, first 2 shown]
	global_load_dword v68, v[68:69], off
	s_waitcnt vmcnt(0)
	ds_write_b32 v93, v68
	v_add_u32_e32 v68, s77, v92
	v_ashrrev_i32_e32 v69, 31, v68
	v_lshlrev_b64 v[68:69], 2, v[68:69]
	v_add_co_u32_e32 v68, vcc, s6, v68
	v_addc_co_u32_e32 v69, vcc, v95, v69, vcc
	global_load_dword v68, v[68:69], off
	s_waitcnt vmcnt(0)
	ds_write_b32 v93, v68 offset:264
	v_add_u32_e32 v68, s78, v92
	v_ashrrev_i32_e32 v69, 31, v68
	v_lshlrev_b64 v[68:69], 2, v[68:69]
	v_add_co_u32_e32 v68, vcc, s6, v68
	v_addc_co_u32_e32 v69, vcc, v95, v69, vcc
	global_load_dword v68, v[68:69], off
	s_waitcnt vmcnt(0)
	ds_write_b32 v93, v68 offset:528
	;; [unrolled: 8-line block ×15, first 2 shown]
	ds_read_b64 v[82:83], v94
	ds_read_b64 v[80:81], v94 offset:32
	ds_read_b64 v[78:79], v94 offset:64
	;; [unrolled: 1-line block ×7, first 2 shown]
	global_load_dwordx2 v[84:85], v[18:19], off
	s_waitcnt vmcnt(0)
	v_cvt_f16_f32_e32 v84, v84
	v_cvt_f16_f32_e32 v85, v85
	v_pack_b32_f16 v84, v84, v85
	ds_write_b32 v93, v84
	v_add_co_u32_e32 v84, vcc, s12, v18
	v_addc_co_u32_e32 v85, vcc, v19, v99, vcc
	global_load_dwordx2 v[84:85], v[84:85], off
	s_waitcnt vmcnt(0)
	v_cvt_f16_f32_e32 v84, v84
	v_cvt_f16_f32_e32 v85, v85
	v_pack_b32_f16 v84, v84, v85
	ds_write_b32 v93, v84 offset:264
	v_add_u32_e32 v84, s17, v92
	v_ashrrev_i32_e32 v85, 31, v84
	v_lshlrev_b64 v[84:85], 3, v[84:85]
	v_add_co_u32_e32 v84, vcc, s14, v84
	v_addc_co_u32_e32 v85, vcc, v96, v85, vcc
	global_load_dwordx2 v[84:85], v[84:85], off
	s_waitcnt vmcnt(0)
	v_cvt_f16_f32_e32 v84, v84
	v_cvt_f16_f32_e32 v85, v85
	v_pack_b32_f16 v84, v84, v85
	ds_write_b32 v93, v84 offset:528
	v_add_u32_e32 v84, s18, v92
	v_ashrrev_i32_e32 v85, 31, v84
	v_lshlrev_b64 v[84:85], 3, v[84:85]
	;; [unrolled: 11-line block ×11, first 2 shown]
	v_add_co_u32_e32 v84, vcc, s14, v84
	v_addc_co_u32_e32 v85, vcc, v96, v85, vcc
	global_load_dwordx2 v[84:85], v[84:85], off
	v_add_co_u32_e32 v16, vcc, 0x200, v16
	v_addc_co_u32_e32 v17, vcc, 0, v17, vcc
	v_add_co_u32_e32 v18, vcc, 0x400, v18
	v_add_u32_e32 v92, 0x80, v92
	v_addc_co_u32_e32 v19, vcc, 0, v19, vcc
	v_cmp_le_i32_e32 vcc, s9, v92
	s_or_b64 s[0:1], vcc, s[0:1]
	s_waitcnt vmcnt(0)
	v_cvt_f16_f32_e32 v84, v84
	v_cvt_f16_f32_e32 v85, v85
	v_pack_b32_f16 v84, v84, v85
	ds_write_b32 v93, v84 offset:3168
	ds_write_b32 v93, v97 offset:3432
	;; [unrolled: 1-line block ×4, first 2 shown]
	ds_read_b64 v[86:87], v94
	ds_read_b64 v[84:85], v94 offset:32
	s_waitcnt lgkmcnt(1)
	v_mfma_f32_16x16x16f16 a[0:3], v[34:35], v[86:87], a[0:3]
	ds_read_b64 v[0:1], v94 offset:64
	v_mfma_f32_16x16x16f16 a[4:7], v[50:51], v[86:87], a[4:7]
	v_mfma_f32_16x16x16f16 a[8:11], v[66:67], v[86:87], a[8:11]
	;; [unrolled: 1-line block ×3, first 2 shown]
	s_waitcnt lgkmcnt(1)
	v_mfma_f32_16x16x16f16 a[0:3], v[32:33], v[84:85], a[0:3]
	v_mfma_f32_16x16x16f16 a[4:7], v[48:49], v[84:85], a[4:7]
	;; [unrolled: 1-line block ×4, first 2 shown]
	s_waitcnt lgkmcnt(0)
	v_mfma_f32_16x16x16f16 a[0:3], v[30:31], v[0:1], a[0:3]
	v_mfma_f32_16x16x16f16 a[4:7], v[46:47], v[0:1], a[4:7]
	v_mfma_f32_16x16x16f16 a[8:11], v[62:63], v[0:1], a[8:11]
	v_mfma_f32_16x16x16f16 a[12:15], v[78:79], v[0:1], a[12:15]
	ds_read_b64 v[0:1], v94 offset:96
	s_waitcnt lgkmcnt(0)
	v_mfma_f32_16x16x16f16 a[0:3], v[28:29], v[0:1], a[0:3]
	v_mfma_f32_16x16x16f16 a[4:7], v[44:45], v[0:1], a[4:7]
	v_mfma_f32_16x16x16f16 a[8:11], v[60:61], v[0:1], a[8:11]
	v_mfma_f32_16x16x16f16 a[12:15], v[76:77], v[0:1], a[12:15]
	ds_read_b64 v[0:1], v94 offset:128
	;; [unrolled: 6-line block ×5, first 2 shown]
	s_waitcnt lgkmcnt(0)
	v_mfma_f32_16x16x16f16 a[12:15], v[20:21], v[0:1], a[0:3]
	v_mfma_f32_16x16x16f16 a[8:11], v[36:37], v[0:1], a[4:7]
	;; [unrolled: 1-line block ×4, first 2 shown]
	s_andn2_b64 exec, exec, s[0:1]
	s_cbranch_execnz .LBB104_4
; %bb.5:
	s_or_b64 exec, exec, s[0:1]
.LBB104_6:
	s_or_b64 exec, exec, s[24:25]
	v_mul_u32_u24_e32 v0, 0x208, v91
	v_lshlrev_b32_e32 v1, 2, v90
	v_or_b32_e32 v2, 12, v89
	s_mul_hi_i32 s1, s19, s8
	s_mul_i32 s0, s19, s8
	v_add3_u32 v0, 0, v0, v1
	v_and_b32_e32 v1, 0x3f0, v89
	v_and_b32_e32 v2, 0x3fc, v2
	s_lshl_b64 s[0:1], s[0:1], 2
	v_add_u32_e32 v1, v0, v1
	v_add_u32_e32 v0, v0, v2
	s_waitcnt lgkmcnt(0)
	s_add_u32 s6, s10, s0
	s_barrier
	s_movk_i32 s0, 0x208
	ds_write2_b32 v1, a12, a13 offset1:1
	ds_write_b32 v1, a14 offset:8
	ds_write_b32 v0, a15
	ds_write2_b32 v1, a8, a9 offset0:16 offset1:17
	ds_write_b32 v1, a10 offset:72
	ds_write_b32 v0, a11 offset:64
	ds_write2_b32 v1, a4, a5 offset0:32 offset1:33
	ds_write_b32 v1, a6 offset:136
	ds_write_b32 v0, a7 offset:128
	;; [unrolled: 3-line block ×3, first 2 shown]
	v_lshl_add_u32 v1, v89, 2, 0
	v_mad_u32_u24 v8, v88, s0, v1
	s_waitcnt lgkmcnt(0)
	s_barrier
	ds_read2st64_b32 v[2:3], v8 offset1:1
	s_mul_i32 s4, s7, s15
	s_addc_u32 s7, s11, s1
	s_ashr_i32 s5, s4, 31
	v_add_u32_e32 v0, s3, v89
	s_waitcnt lgkmcnt(0)
	v_add_f32_e32 v2, 0, v2
	v_add_u32_e32 v6, 16, v8
	s_lshl_b64 s[0:1], s[4:5], 2
	v_add_f32_e32 v9, v2, v3
	v_mad_u64_u32 v[2:3], s[4:5], v88, s2, v[0:1]
	ds_read2st64_b32 v[6:7], v6 offset0:4 offset1:5
	s_add_u32 s0, s6, s0
	v_mov_b32_e32 v3, 0
	s_addc_u32 s1, s7, s1
	v_lshlrev_b64 v[4:5], 2, v[2:3]
	v_mov_b32_e32 v10, s1
	v_add_co_u32_e32 v4, vcc, s0, v4
	v_addc_co_u32_e32 v5, vcc, v10, v5, vcc
	global_store_dword v[4:5], v9, off
	s_waitcnt lgkmcnt(0)
	v_add_f32_e32 v4, 0, v6
	v_add_u32_e32 v6, 32, v8
	v_add_f32_e32 v9, v4, v7
	s_lshl_b32 s3, s2, 1
	ds_read2st64_b32 v[6:7], v6 offset0:8 offset1:9
	v_add_u32_e32 v2, s3, v2
	v_lshlrev_b64 v[4:5], 2, v[2:3]
	v_add_co_u32_e32 v4, vcc, s0, v4
	v_addc_co_u32_e32 v5, vcc, v10, v5, vcc
	global_store_dword v[4:5], v9, off
	s_waitcnt lgkmcnt(0)
	v_add_f32_e32 v4, 0, v6
	v_add_u32_e32 v6, 48, v8
	v_add_f32_e32 v9, v4, v7
	ds_read2st64_b32 v[6:7], v6 offset0:12 offset1:13
	v_add_u32_e32 v2, s3, v2
	v_lshlrev_b64 v[4:5], 2, v[2:3]
	v_add_co_u32_e32 v4, vcc, s0, v4
	v_addc_co_u32_e32 v5, vcc, v10, v5, vcc
	global_store_dword v[4:5], v9, off
	s_waitcnt lgkmcnt(0)
	v_add_f32_e32 v4, 0, v6
	v_add_u32_e32 v6, 64, v8
	v_add_f32_e32 v9, v4, v7
	;; [unrolled: 10-line block ×4, first 2 shown]
	v_lshlrev_b64 v[4:5], 2, v[2:3]
	v_mov_b32_e32 v2, s1
	v_add_co_u32_e32 v4, vcc, s0, v4
	v_addc_co_u32_e32 v5, vcc, v2, v5, vcc
	v_cmp_eq_u32_e32 vcc, 0, v88
	global_store_dword v[4:5], v6, off
	s_and_saveexec_b64 s[4:5], vcc
	s_cbranch_execz .LBB104_8
; %bb.7:
	v_add_u32_e32 v1, 0x60, v1
	ds_read2st64_b32 v[4:5], v1 offset0:24 offset1:25
	v_mad_u64_u32 v[0:1], s[2:3], s2, 12, v[0:1]
	v_mov_b32_e32 v1, v3
	v_lshlrev_b64 v[0:1], 2, v[0:1]
	s_waitcnt lgkmcnt(0)
	v_add_f32_e32 v2, 0, v4
	v_mov_b32_e32 v3, s1
	v_add_co_u32_e32 v0, vcc, s0, v0
	v_add_f32_e32 v2, v2, v5
	v_addc_co_u32_e32 v1, vcc, v3, v1, vcc
	global_store_dword v[0:1], v2, off
.LBB104_8:
	s_endpgm
	.section	.rodata,"a",@progbits
	.p2align	6, 0x0
	.amdhsa_kernel _ZL9mul_mat_fI7__half2Li64ELi13ELi2ELb0EEvPKT_PKfPKiPfiiiiiiiiiiiiiiii
		.amdhsa_group_segment_fixed_size 0
		.amdhsa_private_segment_fixed_size 0
		.amdhsa_kernarg_size 96
		.amdhsa_user_sgpr_count 6
		.amdhsa_user_sgpr_private_segment_buffer 1
		.amdhsa_user_sgpr_dispatch_ptr 0
		.amdhsa_user_sgpr_queue_ptr 0
		.amdhsa_user_sgpr_kernarg_segment_ptr 1
		.amdhsa_user_sgpr_dispatch_id 0
		.amdhsa_user_sgpr_flat_scratch_init 0
		.amdhsa_user_sgpr_kernarg_preload_length 0
		.amdhsa_user_sgpr_kernarg_preload_offset 0
		.amdhsa_user_sgpr_private_segment_size 0
		.amdhsa_uses_dynamic_stack 0
		.amdhsa_system_sgpr_private_segment_wavefront_offset 0
		.amdhsa_system_sgpr_workgroup_id_x 1
		.amdhsa_system_sgpr_workgroup_id_y 1
		.amdhsa_system_sgpr_workgroup_id_z 1
		.amdhsa_system_sgpr_workgroup_info 0
		.amdhsa_system_vgpr_workitem_id 1
		.amdhsa_next_free_vgpr 124
		.amdhsa_next_free_sgpr 91
		.amdhsa_accum_offset 100
		.amdhsa_reserve_vcc 1
		.amdhsa_reserve_flat_scratch 0
		.amdhsa_float_round_mode_32 0
		.amdhsa_float_round_mode_16_64 0
		.amdhsa_float_denorm_mode_32 3
		.amdhsa_float_denorm_mode_16_64 3
		.amdhsa_dx10_clamp 1
		.amdhsa_ieee_mode 1
		.amdhsa_fp16_overflow 0
		.amdhsa_tg_split 0
		.amdhsa_exception_fp_ieee_invalid_op 0
		.amdhsa_exception_fp_denorm_src 0
		.amdhsa_exception_fp_ieee_div_zero 0
		.amdhsa_exception_fp_ieee_overflow 0
		.amdhsa_exception_fp_ieee_underflow 0
		.amdhsa_exception_fp_ieee_inexact 0
		.amdhsa_exception_int_div_zero 0
	.end_amdhsa_kernel
	.section	.text._ZL9mul_mat_fI7__half2Li64ELi13ELi2ELb0EEvPKT_PKfPKiPfiiiiiiiiiiiiiiii,"axG",@progbits,_ZL9mul_mat_fI7__half2Li64ELi13ELi2ELb0EEvPKT_PKfPKiPfiiiiiiiiiiiiiiii,comdat
.Lfunc_end104:
	.size	_ZL9mul_mat_fI7__half2Li64ELi13ELi2ELb0EEvPKT_PKfPKiPfiiiiiiiiiiiiiiii, .Lfunc_end104-_ZL9mul_mat_fI7__half2Li64ELi13ELi2ELb0EEvPKT_PKfPKiPfiiiiiiiiiiiiiiii
                                        ; -- End function
	.section	.AMDGPU.csdata,"",@progbits
; Kernel info:
; codeLenInByte = 6264
; NumSgprs: 95
; NumVgprs: 100
; NumAgprs: 24
; TotalNumVgprs: 124
; ScratchSize: 0
; MemoryBound: 0
; FloatMode: 240
; IeeeMode: 1
; LDSByteSize: 0 bytes/workgroup (compile time only)
; SGPRBlocks: 11
; VGPRBlocks: 15
; NumSGPRsForWavesPerEU: 95
; NumVGPRsForWavesPerEU: 124
; AccumOffset: 100
; Occupancy: 4
; WaveLimiterHint : 0
; COMPUTE_PGM_RSRC2:SCRATCH_EN: 0
; COMPUTE_PGM_RSRC2:USER_SGPR: 6
; COMPUTE_PGM_RSRC2:TRAP_HANDLER: 0
; COMPUTE_PGM_RSRC2:TGID_X_EN: 1
; COMPUTE_PGM_RSRC2:TGID_Y_EN: 1
; COMPUTE_PGM_RSRC2:TGID_Z_EN: 1
; COMPUTE_PGM_RSRC2:TIDIG_COMP_CNT: 1
; COMPUTE_PGM_RSRC3_GFX90A:ACCUM_OFFSET: 24
; COMPUTE_PGM_RSRC3_GFX90A:TG_SPLIT: 0
	.section	.text._ZL13mul_mat_f_idsI7__half2Li64ELi13ELi3EEvPKT_PKfPKiS7_S7_Pfiiiiiiiiiiiiii15HIP_vector_typeIjLj3EESA_,"axG",@progbits,_ZL13mul_mat_f_idsI7__half2Li64ELi13ELi3EEvPKT_PKfPKiS7_S7_Pfiiiiiiiiiiiiii15HIP_vector_typeIjLj3EESA_,comdat
	.globl	_ZL13mul_mat_f_idsI7__half2Li64ELi13ELi3EEvPKT_PKfPKiS7_S7_Pfiiiiiiiiiiiiii15HIP_vector_typeIjLj3EESA_ ; -- Begin function _ZL13mul_mat_f_idsI7__half2Li64ELi13ELi3EEvPKT_PKfPKiS7_S7_Pfiiiiiiiiiiiiii15HIP_vector_typeIjLj3EESA_
	.p2align	8
	.type	_ZL13mul_mat_f_idsI7__half2Li64ELi13ELi3EEvPKT_PKfPKiS7_S7_Pfiiiiiiiiiiiiii15HIP_vector_typeIjLj3EESA_,@function
_ZL13mul_mat_f_idsI7__half2Li64ELi13ELi3EEvPKT_PKfPKiS7_S7_Pfiiiiiiiiiiiiii15HIP_vector_typeIjLj3EESA_: ; @_ZL13mul_mat_f_idsI7__half2Li64ELi13ELi3EEvPKT_PKfPKiS7_S7_Pfiiiiiiiiiiiiii15HIP_vector_typeIjLj3EESA_
; %bb.0:
	s_load_dwordx2 s[0:1], s[4:5], 0x20
	s_mov_b32 s34, s7
	s_ashr_i32 s35, s7, 31
	s_lshl_b64 s[2:3], s[34:35], 2
	s_waitcnt lgkmcnt(0)
	s_add_u32 s0, s0, s2
	s_addc_u32 s1, s1, s3
	s_load_dwordx2 s[26:27], s[0:1], 0x0
	s_waitcnt lgkmcnt(0)
	s_sub_i32 s33, s27, s26
	s_add_i32 s0, s33, 12
	s_mul_hi_i32 s0, s0, 0x4ec4ec4f
	s_lshr_b32 s1, s0, 31
	s_ashr_i32 s0, s0, 2
	s_add_i32 s0, s0, s1
	s_cmp_ge_i32 s8, s0
	s_cbranch_scc1 .LBB105_62
; %bb.1:
	v_bfe_u32 v92, v0, 10, 10
	v_lshlrev_b32_e32 v94, 6, v92
	v_and_b32_e32 v93, 0x3ff, v0
	s_load_dwordx4 s[12:15], s[4:5], 0x30
	s_load_dwordx2 s[20:21], s[4:5], 0x40
	s_load_dwordx4 s[0:3], s[4:5], 0x4c
	s_load_dwordx4 s[16:19], s[4:5], 0x68
	s_load_dwordx2 s[24:25], s[4:5], 0x78
	v_add_u32_e32 v96, v94, v93
	s_ashr_i32 s27, s26, 31
	s_waitcnt lgkmcnt(0)
	v_cmp_le_i32_e32 vcc, s12, v96
	v_and_b32_e32 v95, 15, v93
                                        ; implicit-def: $sgpr3
	s_and_saveexec_b64 s[10:11], vcc
	s_xor_b64 s[10:11], exec, s[10:11]
; %bb.2:
	v_and_b32_e32 v95, 15, v93
	s_mov_b32 s3, 0
                                        ; implicit-def: $vgpr96
; %bb.3:
	s_or_saveexec_b64 s[22:23], s[10:11]
	s_load_dwordx2 s[10:11], s[4:5], 0x18
                                        ; implicit-def: $vgpr103 : SGPR spill to VGPR lane
	s_lshl_b32 s7, s6, 6
	s_mul_i32 s6, s8, 13
	v_accvgpr_write_b32 a0, s3
	v_accvgpr_write_b32 a1, s3
	s_waitcnt lgkmcnt(0)
	v_writelane_b32 v103, s10, 0
	v_writelane_b32 v103, s11, 1
	s_load_dwordx2 s[10:11], s[4:5], 0x28
	v_accvgpr_write_b32 a2, s3
	v_accvgpr_write_b32 a3, s3
	;; [unrolled: 1-line block ×4, first 2 shown]
	s_waitcnt lgkmcnt(0)
	v_writelane_b32 v103, s10, 2
	v_writelane_b32 v103, s11, 3
	v_accvgpr_write_b32 a6, s3
	v_accvgpr_write_b32 a7, s3
	;; [unrolled: 1-line block ×10, first 2 shown]
	v_writelane_b32 v103, s22, 4
	v_writelane_b32 v103, s23, 5
	s_xor_b64 exec, exec, s[22:23]
	s_cbranch_execz .LBB105_46
; %bb.4:
	v_writelane_b32 v103, s24, 6
	v_writelane_b32 v103, s25, 7
	s_load_dwordx4 s[8:11], s[4:5], 0x0
	s_load_dwordx2 s[22:23], s[4:5], 0x10
	s_mul_i32 s4, s34, s0
	s_mul_i32 s24, s7, s15
	s_ashr_i32 s5, s4, 31
	s_ashr_i32 s25, s24, 31
	s_lshl_b64 s[24:25], s[24:25], 2
	s_lshl_b64 s[4:5], s[4:5], 2
	s_add_u32 s3, s4, s24
	s_addc_u32 s24, s5, s25
	v_writelane_b32 v103, s7, 8
	s_waitcnt lgkmcnt(0)
	s_add_u32 s0, s3, s8
	s_addc_u32 s25, s24, s9
	v_writelane_b32 v103, s26, 9
	s_lshl_b64 s[4:5], s[26:27], 2
	v_writelane_b32 v103, s27, 10
	s_add_u32 s26, s22, s4
	s_addc_u32 s27, s23, s5
	s_movk_i32 s4, 0x1080
	s_cmp_lt_i32 s6, s33
	v_mad_u32_u24 v0, v92, s4, 0
	s_cselect_b64 s[4:5], -1, 0
	s_ashr_i32 s7, s6, 31
	s_lshl_b64 s[22:23], s[6:7], 2
	s_add_u32 s34, s26, s22
	s_addc_u32 s35, s27, s23
	s_add_i32 s7, s6, 1
	s_cmp_lt_i32 s7, s33
	s_cselect_b64 s[36:37], -1, 0
	s_add_i32 s7, s6, 2
	s_cmp_lt_i32 s7, s33
	s_cselect_b64 s[38:39], -1, 0
	s_add_i32 s7, s6, 3
	s_cmp_lt_i32 s7, s33
	s_cselect_b64 s[40:41], -1, 0
	s_add_i32 s7, s6, 4
	s_cmp_lt_i32 s7, s33
	v_lshrrev_b32_e32 v3, 1, v93
	s_cselect_b64 s[42:43], -1, 0
	s_add_i32 s7, s6, 5
	v_lshlrev_b32_e32 v1, 2, v93
	v_mul_u32_u24_e32 v2, 0x108, v95
	v_and_b32_e32 v3, 0x1f8, v3
	s_cmp_lt_i32 s7, s33
	v_add_u32_e32 v97, v0, v1
	v_add3_u32 v98, v0, v2, v3
	s_cselect_b64 s[44:45], -1, 0
	s_add_i32 s7, s6, 6
	v_lshlrev_b32_e32 v0, 8, v92
	s_cmp_lt_i32 s7, s33
	v_add_co_u32_e32 v0, vcc, s3, v0
	s_mul_i32 s3, s15, 3
	s_cselect_b64 s[46:47], -1, 0
	s_add_i32 s7, s6, 7
	v_writelane_b32 v103, s3, 11
	s_mul_i32 s3, s15, 5
	s_cmp_lt_i32 s7, s33
	v_writelane_b32 v103, s3, 12
	s_mul_i32 s3, s15, 6
	s_cselect_b64 s[48:49], -1, 0
	s_add_i32 s7, s6, 8
	v_writelane_b32 v103, s3, 13
	s_mul_i32 s3, s15, 7
	s_cmp_lt_i32 s7, s33
	v_writelane_b32 v103, s3, 14
	;; [unrolled: 7-line block ×4, first 2 shown]
	s_mul_i32 s3, s15, 13
	s_cselect_b64 s[54:55], -1, 0
	s_add_i32 s7, s6, 11
	v_writelane_b32 v103, s3, 19
	s_mul_i32 s3, s15, 14
	s_cmp_lt_i32 s7, s33
	v_mov_b32_e32 v2, s24
	v_writelane_b32 v103, s3, 20
	s_mul_i32 s3, s15, 15
	s_cselect_b64 s[56:57], -1, 0
	s_add_i32 s7, s6, 12
	v_addc_co_u32_e32 v2, vcc, 0, v2, vcc
	v_writelane_b32 v103, s3, 21
	s_mul_i32 s3, s15, 17
	s_cmp_lt_i32 s7, s33
	v_add_co_u32_e32 v0, vcc, v0, v1
	v_writelane_b32 v103, s3, 22
	s_mul_i32 s3, s15, 18
	s_cselect_b64 s[58:59], -1, 0
	s_ashr_i32 s23, s15, 31
	s_mov_b32 s22, s15
	v_addc_co_u32_e32 v1, vcc, 0, v2, vcc
	v_writelane_b32 v103, s3, 23
	s_mul_i32 s3, s15, 19
	s_lshl_b64 s[60:61], s[22:23], 2
	v_mov_b32_e32 v2, s9
	v_add_co_u32_e32 v0, vcc, s8, v0
	v_writelane_b32 v103, s3, 24
	s_mul_i32 s3, s15, 20
	v_addc_co_u32_e32 v1, vcc, v2, v1, vcc
	s_lshl_b32 s7, s15, 1
	s_lshl_b32 s63, s15, 2
	;; [unrolled: 1-line block ×4, first 2 shown]
	v_writelane_b32 v103, s3, 25
	s_mul_i32 s80, s15, 21
	s_mul_i32 s81, s15, 22
	;; [unrolled: 1-line block ×9, first 2 shown]
	v_mov_b32_e32 v99, s25
	s_mul_i32 s89, s15, 30
	v_mov_b32_e32 v100, 0
	v_accvgpr_write_b32 a15, 0
	v_accvgpr_write_b32 a14, 0
	;; [unrolled: 1-line block ×16, first 2 shown]
	v_mov_b32_e32 v101, s61
	s_mul_i32 s61, s15, 31
	s_lshl_b32 s90, s15, 5
	s_mul_i32 s91, s15, 33
	s_mul_i32 s92, s15, 34
	;; [unrolled: 1-line block ×31, first 2 shown]
	s_mov_b64 s[8:9], 0
	s_branch .LBB105_6
.LBB105_5:                              ;   in Loop: Header=BB105_6 Depth=1
	s_waitcnt vmcnt(0)
	v_cvt_f16_f32_e32 v66, v66
	v_cvt_f16_f32_e32 v67, v67
	;; [unrolled: 1-line block ×4, first 2 shown]
	v_add_co_u32_e32 v0, vcc, 0x300, v0
	v_pack_b32_f16 v66, v66, v67
	v_cvt_f16_f32_e32 v67, v68
	v_cvt_f16_f32_e32 v68, v69
	;; [unrolled: 1-line block ×4, first 2 shown]
	v_pack_b32_f16 v70, v70, v71
	ds_write2_b32 v97, v66, v70 offset1:66
	v_pack_b32_f16 v66, v67, v68
	v_pack_b32_f16 v67, v69, v74
	v_cvt_f16_f32_e32 v68, v72
	v_cvt_f16_f32_e32 v69, v73
	ds_write2_b32 v97, v66, v67 offset0:132 offset1:198
	v_cvt_f16_f32_e32 v66, v78
	v_cvt_f16_f32_e32 v67, v79
	v_pack_b32_f16 v68, v68, v69
	v_cvt_f16_f32_e32 v69, v76
	v_cvt_f16_f32_e32 v70, v77
	v_pack_b32_f16 v66, v66, v67
	v_add_u32_e32 v67, 0x400, v97
	ds_write2_b32 v67, v68, v66 offset0:8 offset1:74
	v_pack_b32_f16 v66, v69, v70
	v_cvt_f16_f32_e32 v68, v82
	v_cvt_f16_f32_e32 v69, v83
	;; [unrolled: 1-line block ×6, first 2 shown]
	v_pack_b32_f16 v68, v68, v69
	ds_write2_b32 v67, v66, v68 offset0:140 offset1:206
	v_pack_b32_f16 v66, v70, v71
	v_pack_b32_f16 v67, v72, v73
	v_add_u32_e32 v68, 0x800, v97
	ds_write2_b32 v68, v66, v67 offset0:16 offset1:82
	v_cvt_f16_f32_e32 v66, v84
	v_cvt_f16_f32_e32 v67, v85
	v_cvt_f16_f32_e32 v69, v90
	v_cvt_f16_f32_e32 v70, v91
	v_cvt_f16_f32_e32 v71, v88
	v_cvt_f16_f32_e32 v72, v89
	v_pack_b32_f16 v66, v66, v67
	v_pack_b32_f16 v67, v69, v70
	ds_write2_b32 v68, v66, v67 offset0:148 offset1:214
	v_pack_b32_f16 v66, v71, v72
	v_add_u32_e32 v67, 0xc00, v97
	ds_write2_b32 v67, v66, v100 offset0:24 offset1:90
	ds_write2_b32 v67, v100, v100 offset0:156 offset1:222
	ds_read2_b64 v[66:69], v98 offset1:4
	s_waitcnt lgkmcnt(0)
	v_mfma_f32_16x16x16f16 a[0:3], v[16:17], v[66:67], a[0:3]
	v_add_u32_e32 v96, 0xc0, v96
	v_addc_co_u32_e32 v1, vcc, 0, v1, vcc
	v_cmp_le_i32_e32 vcc, s12, v96
	s_or_b64 s[8:9], vcc, s[8:9]
	v_mfma_f32_16x16x16f16 a[4:7], v[34:35], v[66:67], a[4:7]
	v_mfma_f32_16x16x16f16 a[8:11], v[48:49], v[66:67], a[8:11]
	;; [unrolled: 1-line block ×4, first 2 shown]
	ds_read2_b64 v[14:17], v98 offset0:8 offset1:12
	v_mfma_f32_16x16x16f16 a[4:7], v[30:31], v[68:69], a[4:7]
	v_mfma_f32_16x16x16f16 a[8:11], v[46:47], v[68:69], a[8:11]
	;; [unrolled: 1-line block ×3, first 2 shown]
	s_waitcnt lgkmcnt(0)
	v_mfma_f32_16x16x16f16 a[0:3], v[10:11], v[14:15], a[0:3]
	v_mfma_f32_16x16x16f16 a[4:7], v[28:29], v[14:15], a[4:7]
	;; [unrolled: 1-line block ×8, first 2 shown]
	ds_read2_b64 v[14:17], v98 offset0:16 offset1:20
	s_waitcnt lgkmcnt(0)
	v_mfma_f32_16x16x16f16 a[0:3], v[12:13], v[14:15], a[0:3]
	v_mfma_f32_16x16x16f16 a[4:7], v[24:25], v[14:15], a[4:7]
	;; [unrolled: 1-line block ×5, first 2 shown]
	ds_read2_b64 v[6:9], v98 offset0:24 offset1:28
	v_mfma_f32_16x16x16f16 a[4:7], v[22:23], v[16:17], a[4:7]
	v_mfma_f32_16x16x16f16 a[8:11], v[38:39], v[16:17], a[8:11]
	;; [unrolled: 1-line block ×3, first 2 shown]
	s_waitcnt lgkmcnt(0)
	v_mfma_f32_16x16x16f16 a[0:3], v[4:5], v[6:7], a[0:3]
	v_mfma_f32_16x16x16f16 a[4:7], v[20:21], v[6:7], a[4:7]
	;; [unrolled: 1-line block ×8, first 2 shown]
	s_andn2_b64 exec, exec, s[8:9]
	s_cbranch_execz .LBB105_45
.LBB105_6:                              ; =>This Inner Loop Header: Depth=1
	v_add_co_u32_e32 v2, vcc, s60, v0
	v_addc_co_u32_e32 v3, vcc, v1, v101, vcc
	global_load_dword v18, v[0:1], off
	global_load_dword v19, v[2:3], off
	v_add_u32_e32 v2, s7, v96
	v_ashrrev_i32_e32 v3, 31, v2
	v_readlane_b32 s79, v103, 11
	v_lshlrev_b64 v[2:3], 2, v[2:3]
	v_add_u32_e32 v4, s79, v96
	v_add_co_u32_e32 v2, vcc, s0, v2
	v_ashrrev_i32_e32 v5, 31, v4
	v_addc_co_u32_e32 v3, vcc, v99, v3, vcc
	v_lshlrev_b64 v[4:5], 2, v[4:5]
	v_add_u32_e32 v6, s63, v96
	v_add_co_u32_e32 v4, vcc, s0, v4
	v_ashrrev_i32_e32 v7, 31, v6
	v_readlane_b32 s79, v103, 12
	v_addc_co_u32_e32 v5, vcc, v99, v5, vcc
	v_lshlrev_b64 v[6:7], 2, v[6:7]
	v_add_u32_e32 v8, s79, v96
	v_add_co_u32_e32 v6, vcc, s0, v6
	v_ashrrev_i32_e32 v9, 31, v8
	v_readlane_b32 s79, v103, 13
	;; [unrolled: 6-line block ×3, first 2 shown]
	v_addc_co_u32_e32 v9, vcc, v99, v9, vcc
	v_lshlrev_b64 v[10:11], 2, v[10:11]
	v_add_u32_e32 v12, s79, v96
	v_add_co_u32_e32 v10, vcc, s0, v10
	v_ashrrev_i32_e32 v13, 31, v12
	v_addc_co_u32_e32 v11, vcc, v99, v11, vcc
	v_lshlrev_b64 v[12:13], 2, v[12:13]
	v_add_u32_e32 v14, s67, v96
	v_add_co_u32_e32 v12, vcc, s0, v12
	v_ashrrev_i32_e32 v15, 31, v14
	v_readlane_b32 s79, v103, 15
	v_addc_co_u32_e32 v13, vcc, v99, v13, vcc
	v_lshlrev_b64 v[14:15], 2, v[14:15]
	v_add_u32_e32 v16, s79, v96
	v_add_co_u32_e32 v14, vcc, s0, v14
	v_ashrrev_i32_e32 v17, 31, v16
	v_addc_co_u32_e32 v15, vcc, v99, v15, vcc
	v_lshlrev_b64 v[16:17], 2, v[16:17]
	v_add_co_u32_e32 v16, vcc, s0, v16
	v_readlane_b32 s79, v103, 16
	v_addc_co_u32_e32 v17, vcc, v99, v17, vcc
	global_load_dword v20, v[2:3], off
	global_load_dword v21, v[4:5], off
	;; [unrolled: 1-line block ×6, first 2 shown]
	s_nop 0
	global_load_dword v14, v[14:15], off
	s_nop 0
	global_load_dword v15, v[16:17], off
	v_add_u32_e32 v2, s79, v96
	v_ashrrev_i32_e32 v3, 31, v2
	v_readlane_b32 s79, v103, 17
	v_lshlrev_b64 v[2:3], 2, v[2:3]
	v_add_u32_e32 v4, s79, v96
	v_add_co_u32_e32 v2, vcc, s0, v2
	v_ashrrev_i32_e32 v5, 31, v4
	v_readlane_b32 s79, v103, 18
	v_addc_co_u32_e32 v3, vcc, v99, v3, vcc
	v_lshlrev_b64 v[4:5], 2, v[4:5]
	v_add_u32_e32 v6, s79, v96
	v_add_co_u32_e32 v4, vcc, s0, v4
	v_ashrrev_i32_e32 v7, 31, v6
	v_readlane_b32 s79, v103, 19
	v_addc_co_u32_e32 v5, vcc, v99, v5, vcc
	;; [unrolled: 6-line block ×4, first 2 shown]
	v_lshlrev_b64 v[10:11], 2, v[10:11]
	v_add_u32_e32 v12, s79, v96
	v_add_co_u32_e32 v10, vcc, s0, v10
	v_ashrrev_i32_e32 v13, 31, v12
	v_addc_co_u32_e32 v11, vcc, v99, v11, vcc
	v_lshlrev_b64 v[12:13], 2, v[12:13]
	v_add_co_u32_e32 v12, vcc, s0, v12
	v_addc_co_u32_e32 v13, vcc, v99, v13, vcc
	global_load_dword v16, v[2:3], off
	global_load_dword v17, v[4:5], off
	s_nop 0
	global_load_dword v6, v[6:7], off
	s_nop 0
	;; [unrolled: 2-line block ×3, first 2 shown]
	global_load_dword v8, v[10:11], off
	global_load_dword v9, v[12:13], off
	v_add_u32_e32 v2, s75, v96
	v_ashrrev_i32_e32 v3, 31, v2
	v_readlane_b32 s79, v103, 22
	v_lshlrev_b64 v[2:3], 2, v[2:3]
	v_add_u32_e32 v4, s79, v96
	v_add_co_u32_e32 v2, vcc, s0, v2
	v_ashrrev_i32_e32 v5, 31, v4
	v_addc_co_u32_e32 v3, vcc, v99, v3, vcc
	v_lshlrev_b64 v[4:5], 2, v[4:5]
	s_waitcnt vmcnt(15)
	ds_write_b32 v97, v18
	s_waitcnt vmcnt(14)
	ds_write_b32 v97, v19 offset:264
	s_waitcnt vmcnt(13)
	ds_write_b32 v97, v20 offset:528
	;; [unrolled: 2-line block ×9, first 2 shown]
	v_add_co_u32_e32 v4, vcc, s0, v4
	v_readlane_b32 s79, v103, 23
	v_addc_co_u32_e32 v5, vcc, v99, v5, vcc
	global_load_dword v18, v[2:3], off
	global_load_dword v19, v[4:5], off
	v_add_u32_e32 v2, s79, v96
	v_ashrrev_i32_e32 v3, 31, v2
	v_readlane_b32 s79, v103, 24
	v_lshlrev_b64 v[2:3], 2, v[2:3]
	v_add_u32_e32 v4, s79, v96
	v_add_co_u32_e32 v2, vcc, s0, v2
	v_ashrrev_i32_e32 v5, 31, v4
	v_readlane_b32 s79, v103, 25
	s_waitcnt vmcnt(7)
	ds_write_b32 v97, v16 offset:2640
	s_waitcnt vmcnt(6)
	ds_write_b32 v97, v17 offset:2904
	;; [unrolled: 2-line block ×6, first 2 shown]
	v_addc_co_u32_e32 v3, vcc, v99, v3, vcc
	v_lshlrev_b64 v[4:5], 2, v[4:5]
	v_add_u32_e32 v6, s79, v96
	v_add_co_u32_e32 v4, vcc, s0, v4
	v_ashrrev_i32_e32 v7, 31, v6
	v_addc_co_u32_e32 v5, vcc, v99, v5, vcc
	v_lshlrev_b64 v[6:7], 2, v[6:7]
	v_add_u32_e32 v8, s80, v96
	v_add_co_u32_e32 v6, vcc, s0, v6
	v_ashrrev_i32_e32 v9, 31, v8
	v_addc_co_u32_e32 v7, vcc, v99, v7, vcc
	v_lshlrev_b64 v[8:9], 2, v[8:9]
	v_add_u32_e32 v10, s81, v96
	v_add_co_u32_e32 v8, vcc, s0, v8
	v_ashrrev_i32_e32 v11, 31, v10
	v_addc_co_u32_e32 v9, vcc, v99, v9, vcc
	v_lshlrev_b64 v[10:11], 2, v[10:11]
	v_add_u32_e32 v12, s82, v96
	v_add_co_u32_e32 v10, vcc, s0, v10
	v_ashrrev_i32_e32 v13, 31, v12
	v_addc_co_u32_e32 v11, vcc, v99, v11, vcc
	v_lshlrev_b64 v[12:13], 2, v[12:13]
	v_add_u32_e32 v14, s83, v96
	v_add_co_u32_e32 v12, vcc, s0, v12
	v_ashrrev_i32_e32 v15, 31, v14
	v_addc_co_u32_e32 v13, vcc, v99, v13, vcc
	v_lshlrev_b64 v[14:15], 2, v[14:15]
	v_add_u32_e32 v16, s84, v96
	v_add_co_u32_e32 v14, vcc, s0, v14
	v_ashrrev_i32_e32 v17, 31, v16
	v_addc_co_u32_e32 v15, vcc, v99, v15, vcc
	v_lshlrev_b64 v[16:17], 2, v[16:17]
	v_add_co_u32_e32 v16, vcc, s0, v16
	v_addc_co_u32_e32 v17, vcc, v99, v17, vcc
	global_load_dword v24, v[2:3], off
	global_load_dword v25, v[4:5], off
	global_load_dword v26, v[6:7], off
	global_load_dword v27, v[8:9], off
	global_load_dword v28, v[10:11], off
	global_load_dword v29, v[12:13], off
	global_load_dword v30, v[14:15], off
	global_load_dword v31, v[16:17], off
	v_add_u32_e32 v2, s85, v96
	v_ashrrev_i32_e32 v3, 31, v2
	v_lshlrev_b64 v[2:3], 2, v[2:3]
	v_add_u32_e32 v4, s86, v96
	v_add_co_u32_e32 v2, vcc, s0, v2
	v_ashrrev_i32_e32 v5, 31, v4
	v_addc_co_u32_e32 v3, vcc, v99, v3, vcc
	v_lshlrev_b64 v[4:5], 2, v[4:5]
	v_add_u32_e32 v6, s87, v96
	v_add_co_u32_e32 v4, vcc, s0, v4
	v_ashrrev_i32_e32 v7, 31, v6
	v_addc_co_u32_e32 v5, vcc, v99, v5, vcc
	v_lshlrev_b64 v[6:7], 2, v[6:7]
	v_add_u32_e32 v8, s88, v96
	v_add_co_u32_e32 v6, vcc, s0, v6
	v_ashrrev_i32_e32 v9, 31, v8
	v_addc_co_u32_e32 v7, vcc, v99, v7, vcc
	v_lshlrev_b64 v[8:9], 2, v[8:9]
	v_add_u32_e32 v10, s89, v96
	v_add_co_u32_e32 v8, vcc, s0, v8
	v_ashrrev_i32_e32 v11, 31, v10
	v_addc_co_u32_e32 v9, vcc, v99, v9, vcc
	v_lshlrev_b64 v[10:11], 2, v[10:11]
	v_add_u32_e32 v12, s61, v96
	v_add_co_u32_e32 v10, vcc, s0, v10
	v_ashrrev_i32_e32 v13, 31, v12
	v_addc_co_u32_e32 v11, vcc, v99, v11, vcc
	v_lshlrev_b64 v[12:13], 2, v[12:13]
	v_add_u32_e32 v14, s90, v96
	v_add_co_u32_e32 v12, vcc, s0, v12
	v_ashrrev_i32_e32 v15, 31, v14
	v_addc_co_u32_e32 v13, vcc, v99, v13, vcc
	v_lshlrev_b64 v[14:15], 2, v[14:15]
	v_add_u32_e32 v16, s91, v96
	v_add_co_u32_e32 v14, vcc, s0, v14
	v_ashrrev_i32_e32 v17, 31, v16
	v_addc_co_u32_e32 v15, vcc, v99, v15, vcc
	v_lshlrev_b64 v[16:17], 2, v[16:17]
	v_add_co_u32_e32 v16, vcc, s0, v16
	v_addc_co_u32_e32 v17, vcc, v99, v17, vcc
	global_load_dword v32, v[2:3], off
	global_load_dword v33, v[4:5], off
	global_load_dword v34, v[6:7], off
	global_load_dword v35, v[8:9], off
	global_load_dword v36, v[10:11], off
	global_load_dword v37, v[12:13], off
	global_load_dword v38, v[14:15], off
	global_load_dword v39, v[16:17], off
	v_add_u32_e32 v2, s92, v96
	v_ashrrev_i32_e32 v3, 31, v2
	v_lshlrev_b64 v[2:3], 2, v[2:3]
	v_add_u32_e32 v4, s93, v96
	v_add_co_u32_e32 v2, vcc, s0, v2
	v_ashrrev_i32_e32 v5, 31, v4
	;; [unrolled: 48-line block ×5, first 2 shown]
	v_addc_co_u32_e32 v3, vcc, v99, v3, vcc
	v_lshlrev_b64 v[4:5], 2, v[4:5]
	v_add_u32_e32 v6, s76, v96
	v_add_co_u32_e32 v4, vcc, s0, v4
	v_ashrrev_i32_e32 v7, 31, v6
	v_addc_co_u32_e32 v5, vcc, v99, v5, vcc
	v_lshlrev_b64 v[6:7], 2, v[6:7]
	v_add_co_u32_e32 v8, vcc, s0, v6
	v_add_u32_e32 v6, s77, v96
	v_addc_co_u32_e32 v9, vcc, v99, v7, vcc
	v_ashrrev_i32_e32 v7, 31, v6
	v_lshlrev_b64 v[6:7], 2, v[6:7]
	v_add_co_u32_e32 v12, vcc, s0, v6
	v_add_u32_e32 v6, s78, v96
	v_addc_co_u32_e32 v13, vcc, v99, v7, vcc
	v_ashrrev_i32_e32 v7, 31, v6
	;; [unrolled: 5-line block ×3, first 2 shown]
	v_lshlrev_b64 v[6:7], 2, v[6:7]
	v_add_co_u32_e32 v22, vcc, s0, v6
	v_addc_co_u32_e32 v23, vcc, v99, v7, vcc
	ds_read_b64 v[16:17], v98
	ds_read_b64 v[14:15], v98 offset:32
	ds_read_b64 v[10:11], v98 offset:64
	;; [unrolled: 1-line block ×3, first 2 shown]
	global_load_dword v64, v[2:3], off
	global_load_dword v65, v[4:5], off
	;; [unrolled: 1-line block ×6, first 2 shown]
	ds_read_b64 v[12:13], v98 offset:128
	ds_read_b64 v[8:9], v98 offset:160
	ds_read_b64 v[4:5], v98 offset:192
	ds_read_b64 v[2:3], v98 offset:224
	s_waitcnt vmcnt(47)
	ds_write_b32 v97, v18
	s_waitcnt vmcnt(46)
	ds_write_b32 v97, v19 offset:264
	s_waitcnt vmcnt(45)
	ds_write_b32 v97, v24 offset:528
	s_waitcnt vmcnt(44)
	ds_write_b32 v97, v25 offset:792
	s_waitcnt vmcnt(43)
	ds_write_b32 v97, v26 offset:1056
	s_waitcnt vmcnt(42)
	ds_write_b32 v97, v27 offset:1320
	s_waitcnt vmcnt(41)
	ds_write_b32 v97, v28 offset:1584
	s_waitcnt vmcnt(40)
	ds_write_b32 v97, v29 offset:1848
	s_waitcnt vmcnt(39)
	ds_write_b32 v97, v30 offset:2112
	s_waitcnt vmcnt(38)
	ds_write_b32 v97, v31 offset:2376
	s_waitcnt vmcnt(37)
	ds_write_b32 v97, v32 offset:2640
	s_waitcnt vmcnt(36)
	ds_write_b32 v97, v33 offset:2904
	s_waitcnt vmcnt(35)
	ds_write_b32 v97, v34 offset:3168
	s_waitcnt vmcnt(34)
	ds_write_b32 v97, v35 offset:3432
	s_waitcnt vmcnt(33)
	ds_write_b32 v97, v36 offset:3696
	s_waitcnt vmcnt(32)
	ds_write_b32 v97, v37 offset:3960
	ds_read_b64 v[34:35], v98
	ds_read_b64 v[30:31], v98 offset:32
	ds_read_b64 v[28:29], v98 offset:64
	ds_read_b64 v[26:27], v98 offset:96
	ds_read_b64 v[24:25], v98 offset:128
	ds_read_b64 v[22:23], v98 offset:160
	ds_read_b64 v[20:21], v98 offset:192
	ds_read_b64 v[18:19], v98 offset:224
	s_waitcnt vmcnt(31)
	ds_write_b32 v97, v38
	s_waitcnt vmcnt(30)
	ds_write_b32 v97, v39 offset:264
	s_waitcnt vmcnt(29)
	ds_write_b32 v97, v40 offset:528
	s_waitcnt vmcnt(28)
	ds_write_b32 v97, v41 offset:792
	s_waitcnt vmcnt(27)
	ds_write_b32 v97, v42 offset:1056
	s_waitcnt vmcnt(26)
	ds_write_b32 v97, v43 offset:1320
	s_waitcnt vmcnt(25)
	ds_write_b32 v97, v44 offset:1584
	s_waitcnt vmcnt(24)
	ds_write_b32 v97, v45 offset:1848
	s_waitcnt vmcnt(23)
	ds_write_b32 v97, v46 offset:2112
	s_waitcnt vmcnt(22)
	ds_write_b32 v97, v47 offset:2376
	s_waitcnt vmcnt(21)
	ds_write_b32 v97, v48 offset:2640
	s_waitcnt vmcnt(20)
	ds_write_b32 v97, v49 offset:2904
	s_waitcnt vmcnt(19)
	ds_write_b32 v97, v50 offset:3168
	s_waitcnt vmcnt(18)
	ds_write_b32 v97, v51 offset:3432
	s_waitcnt vmcnt(17)
	ds_write_b32 v97, v52 offset:3696
	s_waitcnt vmcnt(16)
	ds_write_b32 v97, v53 offset:3960
	ds_read_b64 v[48:49], v98
	ds_read_b64 v[46:47], v98 offset:32
	ds_read_b64 v[44:45], v98 offset:64
	ds_read_b64 v[42:43], v98 offset:96
	;; [unrolled: 40-line block ×3, first 2 shown]
	ds_read_b64 v[60:61], v98 offset:128
	ds_read_b64 v[56:57], v98 offset:160
	;; [unrolled: 1-line block ×4, first 2 shown]
	s_andn2_b64 vcc, exec, s[4:5]
	v_mov_b32_e32 v66, 0
	v_mov_b32_e32 v67, 0
	s_cbranch_vccnz .LBB105_9
; %bb.7:                                ;   in Loop: Header=BB105_6 Depth=1
	s_load_dword vcc_lo, s[34:35], 0x0
	v_mov_b32_e32 v67, 0
	v_mov_b32_e32 v66, 0
	s_waitcnt lgkmcnt(0)
	s_mul_hi_u32 vcc_hi, vcc_lo, s16
	s_add_i32 vcc_hi, vcc_lo, vcc_hi
	s_lshr_b32 s79, vcc_hi, s17
	s_cmp_ge_i32 s79, s13
	s_cbranch_scc1 .LBB105_9
; %bb.8:                                ;   in Loop: Header=BB105_6 Depth=1
	s_mul_i32 vcc_hi, s79, s18
	s_sub_i32 vcc_lo, vcc_lo, vcc_hi
	s_mul_i32 s79, s79, s20
	s_mul_i32 vcc_lo, vcc_lo, s1
	v_add_u32_e32 v66, s79, v96
	v_lshl_add_u32 v66, v66, 1, vcc_lo
	v_ashrrev_i32_e32 v67, 31, v66
	v_lshlrev_b64 v[66:67], 2, v[66:67]
	v_mov_b32_e32 v68, s11
	v_add_co_u32_e32 v66, vcc, s10, v66
	v_addc_co_u32_e32 v67, vcc, v68, v67, vcc
	global_load_dwordx2 v[66:67], v[66:67], off
.LBB105_9:                              ;   in Loop: Header=BB105_6 Depth=1
	s_andn2_b64 vcc, exec, s[36:37]
	v_mov_b32_e32 v68, 0
	v_mov_b32_e32 v70, 0
	v_mov_b32_e32 v71, 0
	s_cbranch_vccnz .LBB105_12
; %bb.10:                               ;   in Loop: Header=BB105_6 Depth=1
	s_load_dword vcc_lo, s[34:35], 0x4
	v_mov_b32_e32 v71, 0
	v_mov_b32_e32 v70, 0
	s_waitcnt lgkmcnt(0)
	s_mul_hi_u32 s79, vcc_lo, s16
	s_add_i32 s79, vcc_lo, s79
	s_lshr_b32 vcc_hi, s79, s17
	s_cmp_ge_i32 vcc_hi, s13
	s_cbranch_scc1 .LBB105_12
; %bb.11:                               ;   in Loop: Header=BB105_6 Depth=1
	s_mul_i32 s79, vcc_hi, s18
	s_sub_i32 s79, vcc_lo, s79
	s_mul_i32 vcc_hi, vcc_hi, s20
	s_mul_i32 s79, s79, s1
	v_add_u32_e32 v69, vcc_hi, v96
	v_lshl_add_u32 v70, v69, 1, s79
	v_ashrrev_i32_e32 v71, 31, v70
	v_lshlrev_b64 v[70:71], 2, v[70:71]
	v_mov_b32_e32 v69, s11
	v_add_co_u32_e32 v70, vcc, s10, v70
	v_addc_co_u32_e32 v71, vcc, v69, v71, vcc
	global_load_dwordx2 v[70:71], v[70:71], off
.LBB105_12:                             ;   in Loop: Header=BB105_6 Depth=1
	s_andn2_b64 vcc, exec, s[38:39]
	v_mov_b32_e32 v69, 0
	s_cbranch_vccnz .LBB105_15
; %bb.13:                               ;   in Loop: Header=BB105_6 Depth=1
	s_load_dword vcc_lo, s[34:35], 0x8
	v_mov_b32_e32 v69, 0
	v_mov_b32_e32 v68, 0
	s_waitcnt lgkmcnt(0)
	s_mul_hi_u32 s79, vcc_lo, s16
	s_add_i32 s79, vcc_lo, s79
	s_lshr_b32 vcc_hi, s79, s17
	s_cmp_ge_i32 vcc_hi, s13
	s_cbranch_scc1 .LBB105_15
; %bb.14:                               ;   in Loop: Header=BB105_6 Depth=1
	s_mul_i32 s79, vcc_hi, s18
	s_sub_i32 s79, vcc_lo, s79
	s_mul_i32 vcc_hi, vcc_hi, s20
	s_mul_i32 s79, s79, s1
	v_add_u32_e32 v68, vcc_hi, v96
	v_lshl_add_u32 v68, v68, 1, s79
	v_ashrrev_i32_e32 v69, 31, v68
	v_lshlrev_b64 v[68:69], 2, v[68:69]
	v_mov_b32_e32 v72, s11
	v_add_co_u32_e32 v68, vcc, s10, v68
	v_addc_co_u32_e32 v69, vcc, v72, v69, vcc
	global_load_dwordx2 v[68:69], v[68:69], off
.LBB105_15:                             ;   in Loop: Header=BB105_6 Depth=1
	s_andn2_b64 vcc, exec, s[40:41]
	v_mov_b32_e32 v72, 0
	v_mov_b32_e32 v74, 0
	v_mov_b32_e32 v75, 0
	s_cbranch_vccnz .LBB105_18
; %bb.16:                               ;   in Loop: Header=BB105_6 Depth=1
	s_load_dword vcc_lo, s[34:35], 0xc
	v_mov_b32_e32 v75, 0
	v_mov_b32_e32 v74, 0
	s_waitcnt lgkmcnt(0)
	s_mul_hi_u32 s79, vcc_lo, s16
	s_add_i32 s79, vcc_lo, s79
	s_lshr_b32 vcc_hi, s79, s17
	s_cmp_ge_i32 vcc_hi, s13
	s_cbranch_scc1 .LBB105_18
; %bb.17:                               ;   in Loop: Header=BB105_6 Depth=1
	s_mul_i32 s79, vcc_hi, s18
	s_sub_i32 s79, vcc_lo, s79
	s_mul_i32 vcc_hi, vcc_hi, s20
	s_mul_i32 s79, s79, s1
	v_add_u32_e32 v73, vcc_hi, v96
	v_lshl_add_u32 v74, v73, 1, s79
	v_ashrrev_i32_e32 v75, 31, v74
	v_lshlrev_b64 v[74:75], 2, v[74:75]
	v_mov_b32_e32 v73, s11
	v_add_co_u32_e32 v74, vcc, s10, v74
	v_addc_co_u32_e32 v75, vcc, v73, v75, vcc
	global_load_dwordx2 v[74:75], v[74:75], off
.LBB105_18:                             ;   in Loop: Header=BB105_6 Depth=1
	s_andn2_b64 vcc, exec, s[42:43]
	v_mov_b32_e32 v73, 0
	s_cbranch_vccnz .LBB105_21
; %bb.19:                               ;   in Loop: Header=BB105_6 Depth=1
	s_load_dword vcc_lo, s[34:35], 0x10
	v_mov_b32_e32 v73, 0
	v_mov_b32_e32 v72, 0
	s_waitcnt lgkmcnt(0)
	s_mul_hi_u32 s79, vcc_lo, s16
	s_add_i32 s79, vcc_lo, s79
	s_lshr_b32 vcc_hi, s79, s17
	s_cmp_ge_i32 vcc_hi, s13
	s_cbranch_scc1 .LBB105_21
; %bb.20:                               ;   in Loop: Header=BB105_6 Depth=1
	s_mul_i32 s79, vcc_hi, s18
	s_sub_i32 s79, vcc_lo, s79
	s_mul_i32 vcc_hi, vcc_hi, s20
	s_mul_i32 s79, s79, s1
	v_add_u32_e32 v72, vcc_hi, v96
	v_lshl_add_u32 v72, v72, 1, s79
	v_ashrrev_i32_e32 v73, 31, v72
	v_lshlrev_b64 v[72:73], 2, v[72:73]
	v_mov_b32_e32 v76, s11
	v_add_co_u32_e32 v72, vcc, s10, v72
	v_addc_co_u32_e32 v73, vcc, v76, v73, vcc
	global_load_dwordx2 v[72:73], v[72:73], off
.LBB105_21:                             ;   in Loop: Header=BB105_6 Depth=1
	;; [unrolled: 56-line block ×5, first 2 shown]
	s_andn2_b64 vcc, exec, s[56:57]
	v_mov_b32_e32 v88, 0
	v_mov_b32_e32 v90, 0
	;; [unrolled: 1-line block ×3, first 2 shown]
	s_cbranch_vccnz .LBB105_42
; %bb.40:                               ;   in Loop: Header=BB105_6 Depth=1
	s_load_dword vcc_lo, s[34:35], 0x2c
	v_mov_b32_e32 v91, 0
	v_mov_b32_e32 v90, 0
	s_waitcnt lgkmcnt(0)
	s_mul_hi_u32 s79, vcc_lo, s16
	s_add_i32 s79, vcc_lo, s79
	s_lshr_b32 vcc_hi, s79, s17
	s_cmp_ge_i32 vcc_hi, s13
	s_cbranch_scc1 .LBB105_42
; %bb.41:                               ;   in Loop: Header=BB105_6 Depth=1
	s_mul_i32 s79, vcc_hi, s18
	s_sub_i32 s79, vcc_lo, s79
	s_mul_i32 vcc_hi, vcc_hi, s20
	s_mul_i32 s79, s79, s1
	v_add_u32_e32 v89, vcc_hi, v96
	v_lshl_add_u32 v90, v89, 1, s79
	v_ashrrev_i32_e32 v91, 31, v90
	v_lshlrev_b64 v[90:91], 2, v[90:91]
	v_mov_b32_e32 v89, s11
	v_add_co_u32_e32 v90, vcc, s10, v90
	v_addc_co_u32_e32 v91, vcc, v89, v91, vcc
	global_load_dwordx2 v[90:91], v[90:91], off
.LBB105_42:                             ;   in Loop: Header=BB105_6 Depth=1
	s_andn2_b64 vcc, exec, s[58:59]
	v_mov_b32_e32 v89, 0
	s_cbranch_vccnz .LBB105_5
; %bb.43:                               ;   in Loop: Header=BB105_6 Depth=1
	s_load_dword vcc_lo, s[34:35], 0x30
	v_mov_b32_e32 v89, 0
	v_mov_b32_e32 v88, 0
	s_waitcnt lgkmcnt(0)
	s_mul_hi_u32 s79, vcc_lo, s16
	s_add_i32 s79, vcc_lo, s79
	s_lshr_b32 vcc_hi, s79, s17
	s_cmp_ge_i32 vcc_hi, s13
	s_cbranch_scc1 .LBB105_5
; %bb.44:                               ;   in Loop: Header=BB105_6 Depth=1
	s_mul_i32 s79, vcc_hi, s18
	s_sub_i32 s79, vcc_lo, s79
	s_mul_i32 vcc_hi, vcc_hi, s20
	s_mul_i32 s79, s79, s1
	v_add_u32_e32 v88, vcc_hi, v96
	v_lshl_add_u32 v88, v88, 1, s79
	v_ashrrev_i32_e32 v89, 31, v88
	v_lshlrev_b64 v[88:89], 2, v[88:89]
	v_mov_b32_e32 v102, s11
	v_add_co_u32_e32 v88, vcc, s10, v88
	v_addc_co_u32_e32 v89, vcc, v102, v89, vcc
	global_load_dwordx2 v[88:89], v[88:89], off
	s_branch .LBB105_5
.LBB105_45:
	s_or_b64 exec, exec, s[8:9]
	v_readlane_b32 s24, v103, 6
	v_readlane_b32 s26, v103, 9
	;; [unrolled: 1-line block ×5, first 2 shown]
.LBB105_46:
	v_readlane_b32 s0, v103, 4
	v_readlane_b32 s1, v103, 5
	s_or_b64 exec, exec, s[0:1]
	s_lshl_b64 s[0:1], s[26:27], 2
	v_readlane_b32 s4, v103, 0
	v_mul_u32_u24_e32 v0, 0x308, v95
	v_lshlrev_b32_e32 v1, 2, v94
	v_or_b32_e32 v2, 12, v93
	v_readlane_b32 s5, v103, 1
	s_add_u32 s3, s4, s0
	v_add3_u32 v0, 0, v0, v1
	v_and_b32_e32 v1, 0x3f0, v93
	v_and_b32_e32 v2, 0x3fc, v2
	s_addc_u32 s8, s5, s1
	v_add_u32_e32 v1, v0, v1
	v_add_u32_e32 v0, v0, v2
	s_barrier
	ds_write2_b32 v1, a0, a1 offset1:1
	ds_write_b32 v1, a2 offset:8
	ds_write_b32 v0, a3
	ds_write2_b32 v1, a4, a5 offset0:16 offset1:17
	ds_write_b32 v1, a6 offset:72
	ds_write_b32 v0, a7 offset:64
	ds_write2_b32 v1, a8, a9 offset0:32 offset1:33
	ds_write_b32 v1, a10 offset:136
	ds_write_b32 v0, a11 offset:128
	;; [unrolled: 3-line block ×3, first 2 shown]
	s_cmp_gt_i32 s14, 0
	v_add_u32_e32 v0, s6, v92
	s_cselect_b64 s[4:5], -1, 0
	v_cmp_gt_i32_e64 s[0:1], s33, v0
	v_cmp_gt_u32_e32 vcc, 13, v92
	s_and_b64 s[0:1], s[4:5], s[0:1]
	v_lshl_add_u32 v5, v93, 2, 0
	v_add_u32_e32 v4, s7, v93
	v_mul_u32_u24_e32 v6, 0x308, v92
	s_and_b64 s[10:11], vcc, s[0:1]
	s_waitcnt lgkmcnt(0)
	s_barrier
	s_and_saveexec_b64 s[0:1], s[10:11]
	v_readlane_b32 s14, v103, 2
	v_readlane_b32 s15, v103, 3
	s_cbranch_execz .LBB105_49
; %bb.47:
	v_ashrrev_i32_e32 v1, 31, v0
	v_lshlrev_b64 v[2:3], 2, v[0:1]
	v_mov_b32_e32 v1, s8
	v_add_co_u32_e32 v2, vcc, s3, v2
	v_addc_co_u32_e32 v3, vcc, v1, v3, vcc
	global_load_dword v2, v[2:3], off
	s_waitcnt vmcnt(0)
	v_mul_hi_u32 v1, v2, s19
	v_add_u32_e32 v1, v2, v1
	v_lshrrev_b32_e32 v1, s24, v1
	v_cmp_gt_i32_e32 vcc, s13, v1
	s_and_b64 exec, exec, vcc
	s_cbranch_execz .LBB105_49
; %bb.48:
	v_add_u32_e32 v3, v5, v6
	ds_read2st64_b32 v[8:9], v3 offset1:1
	ds_read_b32 v3, v3 offset:512
	v_mul_lo_u32 v7, v1, s25
	v_sub_u32_e32 v2, v2, v7
	v_mul_lo_u32 v2, v2, s2
	s_waitcnt lgkmcnt(1)
	v_add_f32_e32 v7, 0, v8
	v_add_f32_e32 v7, v7, v9
	v_mul_lo_u32 v1, v1, s21
	s_waitcnt lgkmcnt(0)
	v_add_f32_e32 v7, v7, v3
	v_add3_u32 v2, v4, v1, v2
	v_mov_b32_e32 v3, 0
	v_lshlrev_b64 v[2:3], 2, v[2:3]
	v_mov_b32_e32 v1, s15
	v_add_co_u32_e32 v2, vcc, s14, v2
	v_addc_co_u32_e32 v3, vcc, v1, v3, vcc
	global_store_dword v[2:3], v7, off
.LBB105_49:
	s_or_b64 exec, exec, s[0:1]
	v_add_u32_e32 v1, 3, v0
	v_cmp_gt_i32_e64 s[0:1], s33, v1
	v_cmp_gt_u32_e32 vcc, 10, v92
	s_and_b64 s[0:1], s[4:5], s[0:1]
	s_and_b64 s[10:11], vcc, s[0:1]
	s_and_saveexec_b64 s[0:1], s[10:11]
	s_cbranch_execz .LBB105_52
; %bb.50:
	s_ashr_i32 s7, s6, 31
	v_mov_b32_e32 v1, s7
	v_add_co_u32_e32 v2, vcc, s6, v92
	v_addc_co_u32_e32 v3, vcc, 0, v1, vcc
	v_lshlrev_b64 v[2:3], 2, v[2:3]
	v_mov_b32_e32 v1, s8
	v_add_co_u32_e32 v2, vcc, s3, v2
	v_addc_co_u32_e32 v3, vcc, v1, v3, vcc
	global_load_dword v2, v[2:3], off offset:12
	v_mov_b32_e32 v3, 0
	s_waitcnt vmcnt(0)
	v_mul_hi_u32 v1, v2, s19
	v_add_u32_e32 v1, v2, v1
	v_lshrrev_b32_e32 v1, s24, v1
	v_cmp_gt_i32_e32 vcc, s13, v1
	s_and_b64 exec, exec, vcc
	s_cbranch_execz .LBB105_52
; %bb.51:
	v_add_u32_e32 v7, v6, v5
	v_add_u32_e32 v8, 24, v7
	ds_read2st64_b32 v[8:9], v8 offset0:9 offset1:10
	v_mul_lo_u32 v10, v1, s25
	ds_read_b32 v7, v7 offset:2840
	v_sub_u32_e32 v2, v2, v10
	v_mul_lo_u32 v2, v2, s2
	v_mul_lo_u32 v1, v1, s21
	v_add3_u32 v2, v4, v1, v2
	s_waitcnt lgkmcnt(1)
	v_add_f32_e32 v8, 0, v8
	v_lshlrev_b64 v[2:3], 2, v[2:3]
	v_add_f32_e32 v8, v8, v9
	v_mov_b32_e32 v1, s15
	v_add_co_u32_e32 v2, vcc, s14, v2
	s_waitcnt lgkmcnt(0)
	v_add_f32_e32 v7, v8, v7
	v_addc_co_u32_e32 v3, vcc, v1, v3, vcc
	global_store_dword v[2:3], v7, off
.LBB105_52:
	s_or_b64 exec, exec, s[0:1]
	v_add_u32_e32 v1, 6, v0
	v_cmp_gt_i32_e64 s[0:1], s33, v1
	v_cmp_gt_u32_e32 vcc, 7, v92
	s_and_b64 s[0:1], s[4:5], s[0:1]
	s_and_b64 s[10:11], vcc, s[0:1]
	s_and_saveexec_b64 s[0:1], s[10:11]
	s_cbranch_execz .LBB105_55
; %bb.53:
	s_ashr_i32 s7, s6, 31
	v_mov_b32_e32 v1, s7
	v_add_co_u32_e32 v2, vcc, s6, v92
	v_addc_co_u32_e32 v3, vcc, 0, v1, vcc
	v_lshlrev_b64 v[2:3], 2, v[2:3]
	v_mov_b32_e32 v1, s8
	v_add_co_u32_e32 v2, vcc, s3, v2
	v_addc_co_u32_e32 v3, vcc, v1, v3, vcc
	global_load_dword v2, v[2:3], off offset:24
	v_mov_b32_e32 v3, 0
	s_waitcnt vmcnt(0)
	v_mul_hi_u32 v1, v2, s19
	v_add_u32_e32 v1, v2, v1
	v_lshrrev_b32_e32 v1, s24, v1
	v_cmp_gt_i32_e32 vcc, s13, v1
	s_and_b64 exec, exec, vcc
	s_cbranch_execz .LBB105_55
; %bb.54:
	v_add_u32_e32 v7, v5, v6
	v_add_u32_e32 v8, 48, v7
	ds_read2st64_b32 v[8:9], v8 offset0:18 offset1:19
	v_mul_lo_u32 v10, v1, s25
	ds_read_b32 v7, v7 offset:5168
	v_sub_u32_e32 v2, v2, v10
	v_mul_lo_u32 v2, v2, s2
	v_mul_lo_u32 v1, v1, s21
	v_add3_u32 v2, v4, v1, v2
	s_waitcnt lgkmcnt(1)
	v_add_f32_e32 v8, 0, v8
	v_lshlrev_b64 v[2:3], 2, v[2:3]
	v_add_f32_e32 v8, v8, v9
	v_mov_b32_e32 v1, s15
	v_add_co_u32_e32 v2, vcc, s14, v2
	s_waitcnt lgkmcnt(0)
	v_add_f32_e32 v7, v8, v7
	v_addc_co_u32_e32 v3, vcc, v1, v3, vcc
	global_store_dword v[2:3], v7, off
.LBB105_55:
	;; [unrolled: 47-line block ×3, first 2 shown]
	s_or_b64 exec, exec, s[0:1]
	v_cmp_eq_u32_e32 vcc, 0, v92
	s_and_saveexec_b64 s[0:1], vcc
	s_cbranch_execz .LBB105_62
; %bb.59:
	s_add_i32 s0, s6, 12
	s_cmp_ge_i32 s0, s33
	s_cselect_b64 s[0:1], -1, 0
	s_xor_b64 s[4:5], s[4:5], -1
	s_or_b64 s[0:1], s[4:5], s[0:1]
	s_and_b64 vcc, exec, s[0:1]
	s_cbranch_vccnz .LBB105_62
; %bb.60:
	s_ashr_i32 s7, s6, 31
	s_lshl_b64 s[0:1], s[6:7], 2
	s_add_u32 s0, s3, s0
	s_addc_u32 s1, s8, s1
	s_load_dword s1, s[0:1], 0x30
	s_waitcnt lgkmcnt(0)
	s_mul_hi_u32 s0, s1, s19
	s_add_i32 s0, s1, s0
	s_lshr_b32 s0, s0, s24
	s_cmp_ge_i32 s0, s13
	s_cbranch_scc1 .LBB105_62
; %bb.61:
	v_add_u32_e32 v0, 0x60, v5
	ds_read2st64_b32 v[0:1], v0 offset0:36 offset1:37
	ds_read_b32 v2, v5 offset:9824
	s_mul_i32 s3, s0, s25
	s_sub_i32 s1, s1, s3
	s_mul_i32 s1, s1, s2
	s_waitcnt lgkmcnt(1)
	v_add_f32_e32 v0, 0, v0
	s_mul_i32 s0, s0, s21
	v_add_f32_e32 v0, v0, v1
	s_add_i32 s1, s1, s0
	s_waitcnt lgkmcnt(0)
	v_add_f32_e32 v2, v0, v2
	v_add_u32_e32 v0, s1, v4
	v_mov_b32_e32 v1, 0
	v_lshlrev_b64 v[0:1], 2, v[0:1]
	v_mov_b32_e32 v3, s15
	v_add_co_u32_e32 v0, vcc, s14, v0
	v_addc_co_u32_e32 v1, vcc, v3, v1, vcc
	global_store_dword v[0:1], v2, off
.LBB105_62:
	s_endpgm
	.section	.rodata,"a",@progbits
	.p2align	6, 0x0
	.amdhsa_kernel _ZL13mul_mat_f_idsI7__half2Li64ELi13ELi3EEvPKT_PKfPKiS7_S7_Pfiiiiiiiiiiiiii15HIP_vector_typeIjLj3EESA_
		.amdhsa_group_segment_fixed_size 0
		.amdhsa_private_segment_fixed_size 0
		.amdhsa_kernarg_size 128
		.amdhsa_user_sgpr_count 6
		.amdhsa_user_sgpr_private_segment_buffer 1
		.amdhsa_user_sgpr_dispatch_ptr 0
		.amdhsa_user_sgpr_queue_ptr 0
		.amdhsa_user_sgpr_kernarg_segment_ptr 1
		.amdhsa_user_sgpr_dispatch_id 0
		.amdhsa_user_sgpr_flat_scratch_init 0
		.amdhsa_user_sgpr_kernarg_preload_length 0
		.amdhsa_user_sgpr_kernarg_preload_offset 0
		.amdhsa_user_sgpr_private_segment_size 0
		.amdhsa_uses_dynamic_stack 0
		.amdhsa_system_sgpr_private_segment_wavefront_offset 0
		.amdhsa_system_sgpr_workgroup_id_x 1
		.amdhsa_system_sgpr_workgroup_id_y 1
		.amdhsa_system_sgpr_workgroup_id_z 1
		.amdhsa_system_sgpr_workgroup_info 0
		.amdhsa_system_vgpr_workitem_id 1
		.amdhsa_next_free_vgpr 120
		.amdhsa_next_free_sgpr 96
		.amdhsa_accum_offset 104
		.amdhsa_reserve_vcc 1
		.amdhsa_reserve_flat_scratch 0
		.amdhsa_float_round_mode_32 0
		.amdhsa_float_round_mode_16_64 0
		.amdhsa_float_denorm_mode_32 3
		.amdhsa_float_denorm_mode_16_64 3
		.amdhsa_dx10_clamp 1
		.amdhsa_ieee_mode 1
		.amdhsa_fp16_overflow 0
		.amdhsa_tg_split 0
		.amdhsa_exception_fp_ieee_invalid_op 0
		.amdhsa_exception_fp_denorm_src 0
		.amdhsa_exception_fp_ieee_div_zero 0
		.amdhsa_exception_fp_ieee_overflow 0
		.amdhsa_exception_fp_ieee_underflow 0
		.amdhsa_exception_fp_ieee_inexact 0
		.amdhsa_exception_int_div_zero 0
	.end_amdhsa_kernel
	.section	.text._ZL13mul_mat_f_idsI7__half2Li64ELi13ELi3EEvPKT_PKfPKiS7_S7_Pfiiiiiiiiiiiiii15HIP_vector_typeIjLj3EESA_,"axG",@progbits,_ZL13mul_mat_f_idsI7__half2Li64ELi13ELi3EEvPKT_PKfPKiS7_S7_Pfiiiiiiiiiiiiii15HIP_vector_typeIjLj3EESA_,comdat
.Lfunc_end105:
	.size	_ZL13mul_mat_f_idsI7__half2Li64ELi13ELi3EEvPKT_PKfPKiS7_S7_Pfiiiiiiiiiiiiii15HIP_vector_typeIjLj3EESA_, .Lfunc_end105-_ZL13mul_mat_f_idsI7__half2Li64ELi13ELi3EEvPKT_PKfPKiS7_S7_Pfiiiiiiiiiiiiii15HIP_vector_typeIjLj3EESA_
                                        ; -- End function
	.section	.AMDGPU.csdata,"",@progbits
; Kernel info:
; codeLenInByte = 7980
; NumSgprs: 100
; NumVgprs: 104
; NumAgprs: 16
; TotalNumVgprs: 120
; ScratchSize: 0
; MemoryBound: 0
; FloatMode: 240
; IeeeMode: 1
; LDSByteSize: 0 bytes/workgroup (compile time only)
; SGPRBlocks: 12
; VGPRBlocks: 14
; NumSGPRsForWavesPerEU: 100
; NumVGPRsForWavesPerEU: 120
; AccumOffset: 104
; Occupancy: 4
; WaveLimiterHint : 1
; COMPUTE_PGM_RSRC2:SCRATCH_EN: 0
; COMPUTE_PGM_RSRC2:USER_SGPR: 6
; COMPUTE_PGM_RSRC2:TRAP_HANDLER: 0
; COMPUTE_PGM_RSRC2:TGID_X_EN: 1
; COMPUTE_PGM_RSRC2:TGID_Y_EN: 1
; COMPUTE_PGM_RSRC2:TGID_Z_EN: 1
; COMPUTE_PGM_RSRC2:TIDIG_COMP_CNT: 1
; COMPUTE_PGM_RSRC3_GFX90A:ACCUM_OFFSET: 25
; COMPUTE_PGM_RSRC3_GFX90A:TG_SPLIT: 0
	.section	.text._ZL9mul_mat_fI7__half2Li64ELi13ELi3ELb1EEvPKT_PKfPKiPfiiiiiiiiiiiiiiii,"axG",@progbits,_ZL9mul_mat_fI7__half2Li64ELi13ELi3ELb1EEvPKT_PKfPKiPfiiiiiiiiiiiiiiii,comdat
	.globl	_ZL9mul_mat_fI7__half2Li64ELi13ELi3ELb1EEvPKT_PKfPKiPfiiiiiiiiiiiiiiii ; -- Begin function _ZL9mul_mat_fI7__half2Li64ELi13ELi3ELb1EEvPKT_PKfPKiPfiiiiiiiiiiiiiiii
	.p2align	8
	.type	_ZL9mul_mat_fI7__half2Li64ELi13ELi3ELb1EEvPKT_PKfPKiPfiiiiiiiiiiiiiiii,@function
_ZL9mul_mat_fI7__half2Li64ELi13ELi3ELb1EEvPKT_PKfPKiPfiiiiiiiiiiiiiiii: ; @_ZL9mul_mat_fI7__half2Li64ELi13ELi3ELb1EEvPKT_PKfPKiPfiiiiiiiiiiiiiiii
; %bb.0:
	s_load_dwordx8 s[20:27], s[4:5], 0x20
	v_bfe_u32 v3, v0, 10, 10
	s_waitcnt lgkmcnt(0)
	s_add_i32 s0, s21, 12
	s_mul_hi_i32 s0, s0, 0x4ec4ec4f
	s_lshr_b32 s1, s0, 31
	s_ashr_i32 s0, s0, 2
	s_add_i32 s0, s0, s1
	v_cvt_f32_u32_e32 v1, s0
	s_load_dwordx4 s[28:31], s[4:5], 0x44
	s_load_dword s1, s[4:5], 0x64
	s_add_u32 s34, s4, 0x60
	s_addc_u32 s35, s5, 0
	v_rcp_iflag_f32_e32 v1, v1
	s_sub_i32 s2, 0, s0
	v_mul_f32_e32 v1, 0x4f7ffffe, v1
	v_cvt_u32_f32_e32 v1, v1
	v_readfirstlane_b32 s3, v1
	s_mul_i32 s2, s2, s3
	s_mul_hi_u32 s2, s3, s2
	s_add_i32 s3, s3, s2
	s_waitcnt lgkmcnt(0)
	s_mul_hi_u32 s2, s1, s3
	s_mul_i32 s3, s2, s0
	s_sub_i32 s1, s1, s3
	s_add_i32 s9, s2, 1
	s_sub_i32 s3, s1, s0
	s_cmp_ge_u32 s1, s0
	s_cselect_b32 s2, s9, s2
	s_cselect_b32 s1, s3, s1
	s_add_i32 s3, s2, 1
	s_cmp_ge_u32 s1, s0
	s_cselect_b32 s10, s3, s2
	v_cvt_f32_u32_e32 v1, s10
	s_abs_i32 s44, s31
	v_cvt_f32_u32_e32 v2, s44
	s_load_dwordx2 s[0:1], s[4:5], 0x10
	v_rcp_iflag_f32_e32 v1, v1
	s_sub_i32 s2, 0, s10
	v_rcp_iflag_f32_e32 v2, v2
	v_mul_f32_e32 v1, 0x4f7ffffe, v1
	v_cvt_u32_f32_e32 v1, v1
	v_mul_f32_e32 v2, 0x4f7ffffe, v2
	v_cvt_u32_f32_e32 v4, v2
	v_and_b32_e32 v2, 0x3ff, v0
	v_readfirstlane_b32 s3, v1
	s_mul_i32 s2, s2, s3
	s_mul_hi_u32 s2, s3, s2
	s_add_i32 s3, s3, s2
	v_readfirstlane_b32 s9, v4
	s_mul_hi_u32 s11, s7, s3
	v_cmp_eq_u32_e32 vcc, 0, v2
	s_and_saveexec_b64 s[2:3], vcc
	s_cbranch_execz .LBB106_2
; %bb.1:
	v_mov_b32_e32 v1, 0x100
	v_lshl_add_u32 v1, v3, 2, v1
	v_mov_b32_e32 v4, -1
	ds_write_b32 v1, v4
.LBB106_2:
	s_or_b64 exec, exec, s[2:3]
	s_mul_i32 s2, s11, s10
	s_sub_i32 s2, s7, s2
	s_add_i32 s3, s11, 1
	s_sub_i32 s12, s2, s10
	s_cmp_ge_u32 s2, s10
	s_cselect_b32 s3, s3, s11
	s_cselect_b32 s2, s12, s2
	s_add_i32 s11, s3, 1
	s_cmp_ge_u32 s2, s10
	s_cselect_b32 s2, s11, s3
	s_mul_i32 s3, s2, s10
	s_mul_i32 s56, s2, 13
	s_sub_i32 s7, s7, s3
	s_mul_hi_i32 s3, s56, s27
	s_mul_i32 s2, s56, s27
	s_lshl_b64 s[2:3], s[2:3], 2
	s_waitcnt lgkmcnt(0)
	s_add_u32 s0, s0, s2
	v_add_u32_e32 v1, s56, v3
	s_addc_u32 s1, s1, s3
	v_cmp_gt_i32_e64 s[12:13], s22, v2
	v_cmp_gt_i32_e64 s[46:47], s21, v1
	v_mov_b32_e32 v1, 0
	s_and_saveexec_b64 s[14:15], s[46:47]
	s_cbranch_execz .LBB106_10
; %bb.3:
	v_mov_b32_e32 v1, 0
	s_and_saveexec_b64 s[16:17], s[12:13]
	s_cbranch_execz .LBB106_9
; %bb.4:
	v_mul_lo_u32 v4, v3, s27
	v_ashrrev_i32_e32 v5, 31, v4
	v_lshlrev_b64 v[4:5], 2, v[4:5]
	v_mov_b32_e32 v1, s1
	v_add_co_u32_e64 v6, s[2:3], s0, v4
	v_addc_co_u32_e64 v7, s[2:3], v1, v5, s[2:3]
	v_mov_b32_e32 v1, 0x100
	v_lshl_add_u32 v8, v3, 2, v1
	v_mul_lo_u32 v4, v2, s26
	s_lshl_b32 s33, s26, 6
	s_mov_b64 s[18:19], 0
	v_mov_b32_e32 v1, 0
	v_mov_b32_e32 v9, v2
	s_branch .LBB106_6
.LBB106_5:                              ;   in Loop: Header=BB106_6 Depth=1
	s_or_b64 exec, exec, s[36:37]
	v_add_u32_e32 v9, 64, v9
	v_cmp_le_i32_e64 s[10:11], s22, v9
	s_xor_b64 s[2:3], s[2:3], -1
	s_or_b64 s[2:3], s[2:3], s[10:11]
	s_and_b64 s[2:3], exec, s[2:3]
	s_or_b64 s[18:19], s[2:3], s[18:19]
	v_add_u32_e32 v4, s33, v4
	s_andn2_b64 exec, exec, s[18:19]
	s_cbranch_execz .LBB106_8
.LBB106_6:                              ; =>This Inner Loop Header: Depth=1
	v_ashrrev_i32_e32 v5, 31, v4
	v_lshlrev_b64 v[10:11], 2, v[4:5]
	v_add_co_u32_e64 v10, s[2:3], v6, v10
	v_addc_co_u32_e64 v11, s[2:3], v7, v11, s[2:3]
	global_load_dword v5, v[10:11], off
	s_waitcnt vmcnt(0)
	v_cmp_ne_u32_e64 s[2:3], s7, v5
	v_cmp_eq_u32_e64 s[10:11], s7, v5
	s_and_saveexec_b64 s[36:37], s[10:11]
	s_cbranch_execz .LBB106_5
; %bb.7:                                ;   in Loop: Header=BB106_6 Depth=1
	v_mov_b32_e32 v1, 1
	ds_write_b32 v8, v9
	s_branch .LBB106_5
.LBB106_8:
	s_or_b64 exec, exec, s[18:19]
.LBB106_9:
	s_or_b64 exec, exec, s[16:17]
.LBB106_10:
	s_or_b64 exec, exec, s[14:15]
	s_and_saveexec_b64 s[2:3], vcc
	s_cbranch_execz .LBB106_12
; %bb.11:
	v_mov_b32_e32 v4, 0x100
	v_lshl_add_u32 v4, v3, 2, v4
	v_mov_b32_e32 v5, -1
	ds_write_b32 v4, v5 offset:12
.LBB106_12:
	s_or_b64 exec, exec, s[2:3]
	v_add_u32_e32 v72, 3, v3
	v_add_u32_e32 v4, s56, v72
	v_cmp_gt_i32_e64 s[2:3], s21, v4
	s_mov_b64 s[16:17], exec
                                        ; implicit-def: $vgpr86 : SGPR spill to VGPR lane
	v_writelane_b32 v86, s2, 0
	v_writelane_b32 v86, s3, 1
	s_and_b64 s[2:3], s[16:17], s[2:3]
	s_mov_b64 exec, s[2:3]
	s_cbranch_execz .LBB106_20
; %bb.13:
	s_and_saveexec_b64 s[18:19], s[12:13]
	s_cbranch_execz .LBB106_19
; %bb.14:
	v_mul_lo_u32 v4, v72, s27
	v_ashrrev_i32_e32 v5, 31, v4
	v_lshlrev_b64 v[4:5], 2, v[4:5]
	v_mov_b32_e32 v7, s1
	v_add_co_u32_e64 v6, s[10:11], s0, v4
	v_mov_b32_e32 v4, 0x100
	v_addc_co_u32_e64 v7, s[10:11], v7, v5, s[10:11]
	v_lshl_add_u32 v8, v3, 2, v4
	v_mul_lo_u32 v4, v2, s26
	s_lshl_b32 s2, s26, 6
	s_mov_b64 s[36:37], 0
	v_mov_b32_e32 v9, v2
	s_branch .LBB106_16
.LBB106_15:                             ;   in Loop: Header=BB106_16 Depth=1
	s_or_b64 exec, exec, s[38:39]
	v_add_u32_e32 v9, 64, v9
	v_cmp_le_i32_e64 s[14:15], s22, v9
	s_xor_b64 s[10:11], s[10:11], -1
	s_or_b64 s[10:11], s[10:11], s[14:15]
	s_and_b64 s[10:11], exec, s[10:11]
	s_or_b64 s[36:37], s[10:11], s[36:37]
	v_add_u32_e32 v4, s2, v4
	s_andn2_b64 exec, exec, s[36:37]
	s_cbranch_execz .LBB106_18
.LBB106_16:                             ; =>This Inner Loop Header: Depth=1
	v_ashrrev_i32_e32 v5, 31, v4
	v_lshlrev_b64 v[10:11], 2, v[4:5]
	v_add_co_u32_e64 v10, s[10:11], v6, v10
	v_addc_co_u32_e64 v11, s[10:11], v7, v11, s[10:11]
	global_load_dword v5, v[10:11], off
	s_waitcnt vmcnt(0)
	v_cmp_ne_u32_e64 s[10:11], s7, v5
	v_cmp_eq_u32_e64 s[14:15], s7, v5
	s_and_saveexec_b64 s[38:39], s[14:15]
	s_cbranch_execz .LBB106_15
; %bb.17:                               ;   in Loop: Header=BB106_16 Depth=1
	v_mov_b32_e32 v1, 1
	ds_write_b32 v8, v9 offset:12
	s_branch .LBB106_15
.LBB106_18:
	s_or_b64 exec, exec, s[36:37]
.LBB106_19:
	s_or_b64 exec, exec, s[18:19]
.LBB106_20:
	s_or_b64 exec, exec, s[16:17]
	s_and_saveexec_b64 s[10:11], vcc
	s_cbranch_execz .LBB106_22
; %bb.21:
	v_mov_b32_e32 v4, 0x100
	v_lshl_add_u32 v4, v3, 2, v4
	v_mov_b32_e32 v5, -1
	ds_write_b32 v4, v5 offset:24
.LBB106_22:
	s_or_b64 exec, exec, s[10:11]
	v_add_u32_e32 v73, 6, v3
	v_add_u32_e32 v4, s56, v73
	v_cmp_gt_i32_e64 s[2:3], s21, v4
	s_mov_b64 s[18:19], exec
	v_writelane_b32 v86, s2, 2
	v_writelane_b32 v86, s3, 3
	s_and_b64 s[2:3], s[18:19], s[2:3]
	s_mov_b64 exec, s[2:3]
	s_cbranch_execz .LBB106_30
; %bb.23:
	s_and_saveexec_b64 s[36:37], s[12:13]
	s_cbranch_execz .LBB106_29
; %bb.24:
	v_mul_lo_u32 v4, v73, s27
	v_ashrrev_i32_e32 v5, 31, v4
	v_lshlrev_b64 v[4:5], 2, v[4:5]
	v_mov_b32_e32 v7, s1
	v_add_co_u32_e64 v6, s[14:15], s0, v4
	v_mov_b32_e32 v4, 0x100
	v_addc_co_u32_e64 v7, s[14:15], v7, v5, s[14:15]
	v_lshl_add_u32 v8, v3, 2, v4
	v_mul_lo_u32 v4, v2, s26
	s_lshl_b32 s2, s26, 6
	s_mov_b64 s[38:39], 0
	v_mov_b32_e32 v9, v2
	s_branch .LBB106_26
.LBB106_25:                             ;   in Loop: Header=BB106_26 Depth=1
	s_or_b64 exec, exec, s[40:41]
	v_add_u32_e32 v9, 64, v9
	v_cmp_le_i32_e64 s[16:17], s22, v9
	s_xor_b64 s[10:11], s[14:15], -1
	s_or_b64 s[10:11], s[10:11], s[16:17]
	s_and_b64 s[10:11], exec, s[10:11]
	s_or_b64 s[38:39], s[10:11], s[38:39]
	v_add_u32_e32 v4, s2, v4
	s_andn2_b64 exec, exec, s[38:39]
	s_cbranch_execz .LBB106_28
.LBB106_26:                             ; =>This Inner Loop Header: Depth=1
	v_ashrrev_i32_e32 v5, 31, v4
	v_lshlrev_b64 v[10:11], 2, v[4:5]
	v_add_co_u32_e64 v10, s[14:15], v6, v10
	v_addc_co_u32_e64 v11, s[14:15], v7, v11, s[14:15]
	global_load_dword v5, v[10:11], off
	s_waitcnt vmcnt(0)
	v_cmp_ne_u32_e64 s[14:15], s7, v5
	v_cmp_eq_u32_e64 s[16:17], s7, v5
	s_and_saveexec_b64 s[40:41], s[16:17]
	s_cbranch_execz .LBB106_25
; %bb.27:                               ;   in Loop: Header=BB106_26 Depth=1
	v_mov_b32_e32 v1, 1
	ds_write_b32 v8, v9 offset:24
	s_branch .LBB106_25
.LBB106_28:
	s_or_b64 exec, exec, s[38:39]
.LBB106_29:
	s_or_b64 exec, exec, s[36:37]
.LBB106_30:
	s_or_b64 exec, exec, s[18:19]
	s_sub_i32 s2, 0, s44
	s_and_saveexec_b64 s[14:15], vcc
	s_cbranch_execz .LBB106_32
; %bb.31:
	v_mov_b32_e32 v4, 0x100
	v_lshl_add_u32 v4, v3, 2, v4
	v_mov_b32_e32 v5, -1
	ds_write_b32 v4, v5 offset:36
.LBB106_32:
	s_or_b64 exec, exec, s[14:15]
	v_add_u32_e32 v74, 9, v3
	s_mul_i32 s2, s2, s9
	v_add_u32_e32 v4, s56, v74
	v_cmp_gt_i32_e64 s[10:11], s21, v4
	s_mov_b64 s[36:37], exec
	v_writelane_b32 v86, s10, 4
	v_writelane_b32 v86, s11, 5
	s_and_b64 s[10:11], s[36:37], s[10:11]
	s_mov_b64 exec, s[10:11]
	s_cbranch_execz .LBB106_40
; %bb.33:
	s_and_saveexec_b64 s[38:39], s[12:13]
	s_cbranch_execz .LBB106_39
; %bb.34:
	v_mul_lo_u32 v4, v74, s27
	v_ashrrev_i32_e32 v5, 31, v4
	v_lshlrev_b64 v[4:5], 2, v[4:5]
	v_mov_b32_e32 v7, s1
	v_add_co_u32_e64 v6, s[14:15], s0, v4
	v_mov_b32_e32 v4, 0x100
	v_addc_co_u32_e64 v7, s[14:15], v7, v5, s[14:15]
	v_lshl_add_u32 v8, v3, 2, v4
	v_mul_lo_u32 v4, v2, s26
	s_lshl_b32 s3, s26, 6
	s_mov_b64 s[40:41], 0
	v_mov_b32_e32 v9, v2
	s_branch .LBB106_36
.LBB106_35:                             ;   in Loop: Header=BB106_36 Depth=1
	s_or_b64 exec, exec, s[42:43]
	v_add_u32_e32 v9, 64, v9
	v_cmp_le_i32_e64 s[18:19], s22, v9
	s_xor_b64 s[10:11], s[14:15], -1
	s_or_b64 s[10:11], s[10:11], s[18:19]
	s_and_b64 s[10:11], exec, s[10:11]
	s_or_b64 s[40:41], s[10:11], s[40:41]
	v_add_u32_e32 v4, s3, v4
	s_andn2_b64 exec, exec, s[40:41]
	s_cbranch_execz .LBB106_38
.LBB106_36:                             ; =>This Inner Loop Header: Depth=1
	v_ashrrev_i32_e32 v5, 31, v4
	v_lshlrev_b64 v[10:11], 2, v[4:5]
	v_add_co_u32_e64 v10, s[14:15], v6, v10
	v_addc_co_u32_e64 v11, s[14:15], v7, v11, s[14:15]
	global_load_dword v5, v[10:11], off
	s_waitcnt vmcnt(0)
	v_cmp_ne_u32_e64 s[14:15], s7, v5
	v_cmp_eq_u32_e64 s[18:19], s7, v5
	s_and_saveexec_b64 s[42:43], s[18:19]
	s_cbranch_execz .LBB106_35
; %bb.37:                               ;   in Loop: Header=BB106_36 Depth=1
	v_mov_b32_e32 v1, 1
	ds_write_b32 v8, v9 offset:36
	s_branch .LBB106_35
.LBB106_38:
	s_or_b64 exec, exec, s[40:41]
.LBB106_39:
	s_or_b64 exec, exec, s[38:39]
.LBB106_40:
	s_or_b64 exec, exec, s[36:37]
	s_mul_hi_u32 s3, s9, s2
	s_and_saveexec_b64 s[14:15], vcc
	s_cbranch_execz .LBB106_42
; %bb.41:
	v_mov_b32_e32 v4, 0x100
	v_lshl_add_u32 v4, v3, 2, v4
	v_mov_b32_e32 v5, -1
	ds_write_b32 v4, v5 offset:48
.LBB106_42:
	s_or_b64 exec, exec, s[14:15]
	s_load_dwordx4 s[36:39], s[4:5], 0x54
	v_add_u32_e32 v75, 12, v3
	s_abs_i32 s2, s8
	s_add_i32 s9, s9, s3
	v_add_u32_e32 v4, s56, v75
	v_cmp_gt_i32_e64 s[10:11], s21, v4
	s_mov_b64 s[18:19], exec
	v_writelane_b32 v86, s10, 6
	v_writelane_b32 v86, s11, 7
	s_and_b64 s[10:11], s[18:19], s[10:11]
	s_mov_b64 exec, s[10:11]
	s_cbranch_execz .LBB106_50
; %bb.43:
	s_and_saveexec_b64 s[40:41], s[12:13]
	s_cbranch_execz .LBB106_49
; %bb.44:
	v_mul_lo_u32 v4, v75, s27
	v_ashrrev_i32_e32 v5, 31, v4
	v_lshlrev_b64 v[4:5], 2, v[4:5]
	v_mov_b32_e32 v7, s1
	v_add_co_u32_e32 v6, vcc, s0, v4
	v_mov_b32_e32 v4, 0x100
	v_addc_co_u32_e32 v7, vcc, v7, v5, vcc
	v_lshl_add_u32 v8, v3, 2, v4
	v_mul_lo_u32 v4, v2, s26
	s_lshl_b32 s0, s26, 6
	s_mov_b64 s[26:27], 0
	v_mov_b32_e32 v9, v2
	s_branch .LBB106_46
.LBB106_45:                             ;   in Loop: Header=BB106_46 Depth=1
	s_or_b64 exec, exec, s[42:43]
	v_add_u32_e32 v9, 64, v9
	v_cmp_le_i32_e64 s[12:13], s22, v9
	s_xor_b64 s[10:11], vcc, -1
	s_or_b64 s[10:11], s[10:11], s[12:13]
	s_and_b64 s[10:11], exec, s[10:11]
	s_or_b64 s[26:27], s[10:11], s[26:27]
	v_add_u32_e32 v4, s0, v4
	s_andn2_b64 exec, exec, s[26:27]
	s_cbranch_execz .LBB106_48
.LBB106_46:                             ; =>This Inner Loop Header: Depth=1
	v_ashrrev_i32_e32 v5, 31, v4
	v_lshlrev_b64 v[10:11], 2, v[4:5]
	v_add_co_u32_e32 v10, vcc, v6, v10
	v_addc_co_u32_e32 v11, vcc, v7, v11, vcc
	global_load_dword v5, v[10:11], off
	s_waitcnt vmcnt(0)
	v_cmp_ne_u32_e32 vcc, s7, v5
	v_cmp_eq_u32_e64 s[12:13], s7, v5
	s_and_saveexec_b64 s[42:43], s[12:13]
	s_cbranch_execz .LBB106_45
; %bb.47:                               ;   in Loop: Header=BB106_46 Depth=1
	v_mov_b32_e32 v1, 1
	ds_write_b32 v8, v9 offset:48
	s_branch .LBB106_45
.LBB106_48:
	s_or_b64 exec, exec, s[26:27]
.LBB106_49:
	s_or_b64 exec, exec, s[40:41]
.LBB106_50:
	s_or_b64 exec, exec, s[18:19]
	s_load_dwordx2 s[10:11], s[34:35], 0xc
	s_load_dwordx4 s[40:43], s[4:5], 0x0
	s_load_dwordx2 s[0:1], s[4:5], 0x18
	v_cmp_ne_u32_e32 vcc, 0, v1
	v_cndmask_b32_e64 v1, 0, 1, vcc
                                        ; kill: killed $sgpr4 killed $sgpr5
	s_waitcnt lgkmcnt(0)
	s_lshr_b32 s4, s10, 16
	s_and_b32 s3, s10, 0xffff
	v_or_b32_dpp v1, v1, v1 row_shl:1 row_mask:0xf bank_mask:0xf bound_ctrl:1
	v_writelane_b32 v86, s0, 8
	s_mul_i32 s5, s4, s3
	v_or_b32_dpp v1, v1, v1 row_shl:2 row_mask:0xf bank_mask:0xf bound_ctrl:1
	v_writelane_b32 v86, s1, 9
	s_and_b32 s1, s11, 0xffff
	v_or_b32_dpp v1, v1, v1 row_shl:4 row_mask:0xf bank_mask:0xf bound_ctrl:1
	s_bfe_i32 s5, s5, 0x180000
	s_mul_i32 s1, s5, s1
	v_or_b32_dpp v1, v1, v1 row_shl:8 row_mask:0xf bank_mask:0xf bound_ctrl:1
	s_add_i32 s5, s1, 63
	s_bitcmp1_b32 exec_hi, 0
	v_mov_b32_dpp v4, v1 wave_shl:1 row_mask:0xf bank_mask:0xf bound_ctrl:1
	s_mul_hi_u32 s0, s2, s9
                                        ; kill: killed $sgpr34 killed $sgpr35
	s_nop 0
	v_or_b32_dpp v1, v4, v1 row_mirror row_mask:0xf bank_mask:0xf bound_ctrl:1
	v_readlane_b32 s1, v1, 32
	s_cselect_b32 s1, s1, 0
	v_readlane_b32 s9, v1, 0
	s_or_b32 s1, s1, s9
	s_andn2_b32 s5, s5, 63
	s_cmp_lg_u32 s5, 64
	v_mov_b32_e32 v1, s1
	s_cbranch_scc0 .LBB106_57
; %bb.51:
	v_bfe_u32 v0, v0, 20, 10
	v_mbcnt_lo_u32_b32 v1, -1, 0
	v_mad_u32_u24 v0, v0, s4, v3
	v_mbcnt_hi_u32_b32 v4, -1, v1
	v_mad_u64_u32 v[0:1], s[4:5], v0, s3, v[2:3]
	v_lshrrev_b32_e32 v1, 6, v0
	v_or_b32_e32 v1, v4, v1
	v_cmp_eq_u32_e32 vcc, 0, v1
	s_and_saveexec_b64 s[4:5], vcc
	s_cbranch_execz .LBB106_53
; %bb.52:
	v_mov_b32_e32 v1, 0
	v_mov_b32_e32 v5, s1
	ds_write_b32 v1, v5
.LBB106_53:
	s_or_b64 exec, exec, s[4:5]
	v_cmp_eq_u32_e32 vcc, 0, v4
	v_cmp_lt_u32_e64 s[4:5], 63, v0
	s_and_b64 s[10:11], s[4:5], vcc
	s_waitcnt lgkmcnt(0)
	s_barrier
	s_and_saveexec_b64 s[4:5], s[10:11]
	s_cbranch_execz .LBB106_56
; %bb.54:
	v_mbcnt_lo_u32_b32 v0, exec_lo, 0
	v_mbcnt_hi_u32_b32 v0, exec_hi, v0
	v_cmp_eq_u32_e32 vcc, 0, v0
	s_and_b64 exec, exec, vcc
	s_cbranch_execz .LBB106_56
; %bb.55:
	v_mov_b32_e32 v0, 0
	v_mov_b32_e32 v1, s1
	ds_or_b32 v0, v1
.LBB106_56:
	s_or_b64 exec, exec, s[4:5]
	v_mov_b32_e32 v0, 0
	s_waitcnt lgkmcnt(0)
	s_barrier
	ds_read_b32 v1, v0
	s_waitcnt lgkmcnt(0)
	s_barrier
.LBB106_57:
	v_cmp_ne_u32_e32 vcc, 0, v1
	s_ashr_i32 s1, s8, 31
	s_ashr_i32 s3, s31, 31
	s_cbranch_vccz .LBB106_122
; %bb.58:
	v_lshlrev_b32_e32 v76, 6, v3
	v_add_u32_e32 v78, v76, v2
	v_cmp_le_i32_e32 vcc, s20, v78
	v_and_b32_e32 v77, 15, v2
                                        ; implicit-def: $sgpr9
	s_and_saveexec_b64 s[4:5], vcc
	s_xor_b64 s[4:5], exec, s[4:5]
; %bb.59:
	v_and_b32_e32 v77, 15, v2
	s_mov_b32 s9, 0
                                        ; implicit-def: $vgpr78
; %bb.60:
	s_or_saveexec_b64 s[4:5], s[4:5]
	s_lshl_b32 s6, s6, 6
	v_accvgpr_write_b32 a8, s9
	v_accvgpr_write_b32 a9, s9
	;; [unrolled: 1-line block ×16, first 2 shown]
	v_writelane_b32 v86, s4, 10
	v_writelane_b32 v86, s5, 11
	s_xor_b64 exec, exec, s[4:5]
	s_cbranch_execz .LBB106_103
; %bb.61:
	s_xor_b32 s1, s1, s3
	s_mul_i32 s3, s0, s44
	s_sub_i32 s2, s2, s3
	s_add_i32 s3, s0, 1
	s_sub_i32 s4, s2, s44
	s_cmp_ge_u32 s2, s44
	s_cselect_b32 s0, s3, s0
	s_cselect_b32 s2, s4, s2
	s_add_i32 s3, s0, 1
	s_cmp_ge_u32 s2, s44
	s_cselect_b32 s0, s3, s0
	s_xor_b32 s0, s0, s1
	s_sub_i32 s0, s0, s1
	s_mul_hi_i32 s1, s0, s36
	s_mul_i32 s0, s0, s36
	s_mul_i32 s2, s7, s28
	v_writelane_b32 v86, s46, 12
	s_ashr_i32 s3, s2, 31
	s_lshl_b64 s[0:1], s[0:1], 2
	v_writelane_b32 v86, s47, 13
	s_add_u32 s5, s40, s0
	v_writelane_b32 v86, s6, 14
	s_mul_i32 s4, s6, s23
	s_addc_u32 s6, s41, s1
	s_lshl_b64 s[2:3], s[2:3], 2
	s_add_u32 s7, s5, s2
	s_addc_u32 s6, s6, s3
	s_ashr_i32 s5, s4, 31
	s_lshl_b64 s[4:5], s[4:5], 2
	s_add_u32 s28, s7, s4
	s_addc_u32 s10, s6, s5
	s_movk_i32 s6, 0x1080
	v_mov_b32_e32 v79, 0x100
	v_writelane_b32 v86, s8, 15
	v_mad_u32_u24 v0, v3, s6, v79
	s_mul_hi_i32 s7, s37, s8
	v_writelane_b32 v86, s36, 16
	s_mul_i32 s6, s37, s8
	s_mul_hi_i32 s9, s24, s56
	s_mul_i32 s8, s24, s56
	s_lshl_b64 s[8:9], s[8:9], 3
	s_lshl_b64 s[6:7], s[6:7], 2
	s_add_u32 s6, s42, s6
	v_writelane_b32 v86, s37, 17
	s_addc_u32 s7, s43, s7
	v_writelane_b32 v86, s38, 18
	s_add_u32 s33, s6, s8
	v_writelane_b32 v86, s39, 19
	s_addc_u32 s39, s7, s9
	s_cmp_lt_i32 s56, s21
	s_cselect_b64 s[6:7], -1, 0
	s_add_i32 s8, s56, 1
	s_cmp_lt_i32 s8, s21
	s_cselect_b64 s[18:19], -1, 0
	s_add_i32 s8, s56, 2
	s_cmp_lt_i32 s8, s21
	s_cselect_b64 s[26:27], -1, 0
	s_lshl_b32 s8, s24, 2
	v_writelane_b32 v86, s8, 20
	s_add_i32 s8, s56, 3
	s_cmp_lt_i32 s8, s21
	s_cselect_b64 s[34:35], -1, 0
	s_add_i32 s8, s56, 4
	s_cmp_lt_i32 s8, s21
	s_cselect_b64 s[36:37], -1, 0
	s_lshl_b32 s8, s24, 3
	v_writelane_b32 v86, s8, 21
	s_add_i32 s8, s56, 5
	s_cmp_lt_i32 s8, s21
	s_cselect_b64 s[42:43], -1, 0
	s_add_i32 s8, s56, 6
	s_cmp_lt_i32 s8, s21
	s_mul_i32 s8, s24, 6
	s_cselect_b64 s[44:45], -1, 0
	v_writelane_b32 v86, s8, 22
	s_add_i32 s8, s56, 7
	s_cmp_lt_i32 s8, s21
	s_cselect_b64 s[46:47], -1, 0
	s_add_i32 s8, s56, 8
	s_cmp_lt_i32 s8, s21
	s_cselect_b64 s[48:49], -1, 0
	s_lshl_b32 s8, s24, 4
	v_writelane_b32 v86, s8, 23
	s_add_i32 s8, s56, 9
	s_cmp_lt_i32 s8, s21
	s_cselect_b64 s[50:51], -1, 0
	s_add_i32 s8, s56, 10
	s_cmp_lt_i32 s8, s21
	s_mul_i32 s8, s24, 10
	s_cselect_b64 s[52:53], -1, 0
	v_writelane_b32 v86, s8, 24
	s_add_i32 s8, s56, 11
	s_cmp_lt_i32 s8, s21
	s_cselect_b64 s[54:55], -1, 0
	s_add_i32 s8, s56, 12
	v_writelane_b32 v86, s56, 25
	s_cmp_lt_i32 s8, s21
	s_mul_i32 s8, s24, 12
	s_cselect_b64 s[56:57], -1, 0
	v_writelane_b32 v86, s8, 26
	s_ashr_i32 s9, s23, 31
	s_mov_b32 s8, s23
	s_lshl_b64 s[58:59], s[8:9], 2
	s_add_u32 s0, s0, s4
	v_lshrrev_b32_e32 v4, 1, v2
	s_addc_u32 s1, s1, s5
	v_mul_u32_u24_e32 v1, 0x108, v77
	v_and_b32_e32 v4, 0x1f8, v4
	s_add_u32 s0, s0, s2
	v_lshl_add_u32 v80, v2, 2, v0
	v_add3_u32 v81, v0, v1, v4
	v_lshlrev_b32_e32 v0, 1, v2
	s_addc_u32 s1, s1, s3
	v_lshl_add_u32 v82, v3, 7, v0
	v_lshlrev_b32_e32 v0, 2, v78
	s_add_u32 s0, s40, s0
	v_add_co_u32_e32 v0, vcc, s0, v0
	s_mul_i32 s0, s24, 24
	v_writelane_b32 v86, s0, 27
	s_mul_i32 s0, s24, 22
	v_writelane_b32 v86, s0, 28
	;; [unrolled: 2-line block ×4, first 2 shown]
	s_mul_i32 s0, s24, 14
	s_addc_u32 s1, s41, s1
	v_writelane_b32 v86, s0, 31
	s_lshl_b32 s0, s24, 1
	v_writelane_b32 v86, s0, 32
	s_mul_i32 s0, s23, 3
	v_writelane_b32 v86, s0, 33
	s_mul_i32 s0, s23, 5
	v_mov_b32_e32 v1, s1
	v_writelane_b32 v86, s0, 34
	s_mul_i32 s0, s23, 6
	v_addc_co_u32_e32 v1, vcc, 0, v1, vcc
	s_lshl_b32 s68, s23, 1
	s_lshl_b32 s70, s23, 2
	v_writelane_b32 v86, s0, 35
	s_mul_i32 s73, s23, 7
	s_lshl_b32 s74, s23, 3
	s_mul_i32 s75, s23, 9
	s_mul_i32 s76, s23, 10
	;; [unrolled: 1-line block ×7, first 2 shown]
	s_lshl_b32 s82, s23, 4
	v_mov_b32_e32 v83, s10
	s_mul_i32 s83, s23, 17
	v_mov_b32_e32 v84, 0
	v_accvgpr_write_b32 a15, 0
	v_accvgpr_write_b32 a14, 0
	;; [unrolled: 1-line block ×16, first 2 shown]
	v_mov_b32_e32 v85, s59
	s_mul_i32 s59, s23, 18
	s_mul_i32 s84, s23, 19
	;; [unrolled: 1-line block ×14, first 2 shown]
	s_lshl_b32 s13, s23, 5
	s_mul_i32 s31, s23, 33
	s_mul_i32 s38, s23, 34
	;; [unrolled: 1-line block ×31, first 2 shown]
	s_mov_b64 s[22:23], 0
	s_branch .LBB106_63
.LBB106_62:                             ;   in Loop: Header=BB106_63 Depth=1
	s_waitcnt vmcnt(0)
	v_cvt_f16_f32_e32 v68, v68
	v_cvt_f16_f32_e32 v69, v69
	v_add_u32_e32 v70, 0xc00, v80
	ds_write2_b32 v70, v84, v84 offset0:172 offset1:238
	v_add_co_u32_e32 v0, vcc, 0x300, v0
	v_pack_b32_f16 v68, v68, v69
	ds_write2_b32 v70, v68, v84 offset0:40 offset1:106
	ds_read2_b64 v[68:71], v81 offset0:8 offset1:12
	v_add_u32_e32 v78, 0xc0, v78
	v_addc_co_u32_e32 v1, vcc, 0, v1, vcc
	s_waitcnt lgkmcnt(0)
	v_mfma_f32_16x16x16f16 a[12:15], v[18:19], v[68:69], a[12:15]
	v_cmp_le_i32_e32 vcc, s20, v78
	v_add_u32_e32 v82, 0x180, v82
	s_or_b64 s[22:23], vcc, s[22:23]
	v_mfma_f32_16x16x16f16 a[4:7], v[36:37], v[68:69], a[4:7]
	v_mfma_f32_16x16x16f16 a[0:3], v[50:51], v[68:69], a[0:3]
	;; [unrolled: 1-line block ×4, first 2 shown]
	ds_read2_b64 v[16:19], v81 offset0:16 offset1:20
	v_mfma_f32_16x16x16f16 a[4:7], v[34:35], v[70:71], a[4:7]
	v_mfma_f32_16x16x16f16 a[0:3], v[48:49], v[70:71], a[0:3]
	;; [unrolled: 1-line block ×3, first 2 shown]
	s_waitcnt lgkmcnt(0)
	v_mfma_f32_16x16x16f16 a[12:15], v[12:13], v[16:17], a[12:15]
	v_mfma_f32_16x16x16f16 a[4:7], v[30:31], v[16:17], a[4:7]
	v_mfma_f32_16x16x16f16 a[0:3], v[46:47], v[16:17], a[0:3]
	v_mfma_f32_16x16x16f16 a[8:11], v[60:61], v[16:17], a[8:11]
	v_mfma_f32_16x16x16f16 a[12:15], v[8:9], v[18:19], a[12:15]
	v_mfma_f32_16x16x16f16 a[4:7], v[28:29], v[18:19], a[4:7]
	v_mfma_f32_16x16x16f16 a[0:3], v[44:45], v[18:19], a[0:3]
	v_mfma_f32_16x16x16f16 a[8:11], v[56:57], v[18:19], a[8:11]
	ds_read2_b64 v[16:19], v81 offset0:24 offset1:28
	s_waitcnt lgkmcnt(0)
	v_mfma_f32_16x16x16f16 a[12:15], v[14:15], v[16:17], a[12:15]
	v_mfma_f32_16x16x16f16 a[4:7], v[26:27], v[16:17], a[4:7]
	;; [unrolled: 1-line block ×5, first 2 shown]
	ds_read2_b64 v[8:11], v81 offset0:32 offset1:36
	v_mfma_f32_16x16x16f16 a[4:7], v[24:25], v[18:19], a[4:7]
	v_mfma_f32_16x16x16f16 a[0:3], v[40:41], v[18:19], a[0:3]
	v_mfma_f32_16x16x16f16 a[8:11], v[58:59], v[18:19], a[8:11]
	s_waitcnt lgkmcnt(0)
	v_mfma_f32_16x16x16f16 a[12:15], v[6:7], v[8:9], a[12:15]
	v_mfma_f32_16x16x16f16 a[4:7], v[22:23], v[8:9], a[4:7]
	;; [unrolled: 1-line block ×8, first 2 shown]
	s_andn2_b64 exec, exec, s[22:23]
	s_cbranch_execz .LBB106_102
.LBB106_63:                             ; =>This Inner Loop Header: Depth=1
	v_add_co_u32_e32 v4, vcc, s58, v0
	v_addc_co_u32_e32 v5, vcc, v1, v85, vcc
	global_load_dword v20, v[0:1], off
	global_load_dword v21, v[4:5], off
	v_add_u32_e32 v4, s68, v78
	v_ashrrev_i32_e32 v5, 31, v4
	v_lshlrev_b64 v[4:5], 2, v[4:5]
	v_add_co_u32_e32 v4, vcc, s28, v4
	v_addc_co_u32_e32 v5, vcc, v83, v5, vcc
	v_readlane_b32 vcc_lo, v86, 33
	v_add_u32_e32 v6, vcc_lo, v78
	v_ashrrev_i32_e32 v7, 31, v6
	v_lshlrev_b64 v[6:7], 2, v[6:7]
	v_add_u32_e32 v8, s70, v78
	v_add_co_u32_e32 v6, vcc, s28, v6
	v_ashrrev_i32_e32 v9, 31, v8
	v_addc_co_u32_e32 v7, vcc, v83, v7, vcc
	v_lshlrev_b64 v[8:9], 2, v[8:9]
	v_add_co_u32_e32 v8, vcc, s28, v8
	v_addc_co_u32_e32 v9, vcc, v83, v9, vcc
	v_readlane_b32 vcc_lo, v86, 34
	v_add_u32_e32 v10, vcc_lo, v78
	v_ashrrev_i32_e32 v11, 31, v10
	v_lshlrev_b64 v[10:11], 2, v[10:11]
	v_add_co_u32_e32 v10, vcc, s28, v10
	v_addc_co_u32_e32 v11, vcc, v83, v11, vcc
	v_readlane_b32 vcc_lo, v86, 35
	v_add_u32_e32 v12, vcc_lo, v78
	v_ashrrev_i32_e32 v13, 31, v12
	v_lshlrev_b64 v[12:13], 2, v[12:13]
	v_add_u32_e32 v14, s73, v78
	v_add_co_u32_e32 v12, vcc, s28, v12
	v_ashrrev_i32_e32 v15, 31, v14
	v_addc_co_u32_e32 v13, vcc, v83, v13, vcc
	v_lshlrev_b64 v[14:15], 2, v[14:15]
	v_add_u32_e32 v16, s74, v78
	v_add_co_u32_e32 v14, vcc, s28, v14
	v_ashrrev_i32_e32 v17, 31, v16
	v_addc_co_u32_e32 v15, vcc, v83, v15, vcc
	v_lshlrev_b64 v[16:17], 2, v[16:17]
	v_add_u32_e32 v18, s75, v78
	v_add_co_u32_e32 v16, vcc, s28, v16
	v_ashrrev_i32_e32 v19, 31, v18
	v_addc_co_u32_e32 v17, vcc, v83, v17, vcc
	v_lshlrev_b64 v[18:19], 2, v[18:19]
	v_add_co_u32_e32 v18, vcc, s28, v18
	v_addc_co_u32_e32 v19, vcc, v83, v19, vcc
	global_load_dword v22, v[4:5], off
	global_load_dword v23, v[6:7], off
	;; [unrolled: 1-line block ×6, first 2 shown]
	s_nop 0
	global_load_dword v16, v[16:17], off
	s_nop 0
	global_load_dword v17, v[18:19], off
	v_add_u32_e32 v4, s76, v78
	v_ashrrev_i32_e32 v5, 31, v4
	v_lshlrev_b64 v[4:5], 2, v[4:5]
	v_add_u32_e32 v6, s77, v78
	v_add_co_u32_e32 v4, vcc, s28, v4
	v_ashrrev_i32_e32 v7, 31, v6
	v_addc_co_u32_e32 v5, vcc, v83, v5, vcc
	v_lshlrev_b64 v[6:7], 2, v[6:7]
	v_add_u32_e32 v8, s78, v78
	v_add_co_u32_e32 v6, vcc, s28, v6
	v_ashrrev_i32_e32 v9, 31, v8
	v_addc_co_u32_e32 v7, vcc, v83, v7, vcc
	;; [unrolled: 5-line block ×5, first 2 shown]
	v_lshlrev_b64 v[14:15], 2, v[14:15]
	v_add_co_u32_e32 v14, vcc, s28, v14
	v_addc_co_u32_e32 v15, vcc, v83, v15, vcc
	global_load_dword v18, v[4:5], off
	global_load_dword v19, v[6:7], off
	s_nop 0
	global_load_dword v8, v[8:9], off
	s_nop 0
	;; [unrolled: 2-line block ×3, first 2 shown]
	global_load_dword v10, v[12:13], off
	global_load_dword v11, v[14:15], off
	v_add_u32_e32 v4, s82, v78
	v_ashrrev_i32_e32 v5, 31, v4
	v_lshlrev_b64 v[4:5], 2, v[4:5]
	v_add_u32_e32 v6, s83, v78
	v_add_co_u32_e32 v4, vcc, s28, v4
	v_ashrrev_i32_e32 v7, 31, v6
	v_addc_co_u32_e32 v5, vcc, v83, v5, vcc
	v_lshlrev_b64 v[6:7], 2, v[6:7]
	s_waitcnt vmcnt(15)
	ds_write_b32 v80, v20 offset:64
	s_waitcnt vmcnt(14)
	ds_write_b32 v80, v21 offset:328
	;; [unrolled: 2-line block ×10, first 2 shown]
	v_add_co_u32_e32 v6, vcc, s28, v6
	v_addc_co_u32_e32 v7, vcc, v83, v7, vcc
	global_load_dword v20, v[4:5], off
	global_load_dword v21, v[6:7], off
	v_add_u32_e32 v4, s59, v78
	v_ashrrev_i32_e32 v5, 31, v4
	v_lshlrev_b64 v[4:5], 2, v[4:5]
	v_add_u32_e32 v6, s84, v78
	v_add_co_u32_e32 v4, vcc, s28, v4
	v_ashrrev_i32_e32 v7, 31, v6
	s_waitcnt vmcnt(7)
	ds_write_b32 v80, v18 offset:2704
	s_waitcnt vmcnt(6)
	ds_write_b32 v80, v19 offset:2968
	;; [unrolled: 2-line block ×6, first 2 shown]
	v_addc_co_u32_e32 v5, vcc, v83, v5, vcc
	v_lshlrev_b64 v[6:7], 2, v[6:7]
	v_add_u32_e32 v8, s85, v78
	v_add_co_u32_e32 v6, vcc, s28, v6
	v_ashrrev_i32_e32 v9, 31, v8
	v_addc_co_u32_e32 v7, vcc, v83, v7, vcc
	v_lshlrev_b64 v[8:9], 2, v[8:9]
	v_add_u32_e32 v10, s86, v78
	v_add_co_u32_e32 v8, vcc, s28, v8
	v_ashrrev_i32_e32 v11, 31, v10
	v_addc_co_u32_e32 v9, vcc, v83, v9, vcc
	v_lshlrev_b64 v[10:11], 2, v[10:11]
	v_add_u32_e32 v12, s87, v78
	v_add_co_u32_e32 v10, vcc, s28, v10
	v_ashrrev_i32_e32 v13, 31, v12
	v_addc_co_u32_e32 v11, vcc, v83, v11, vcc
	v_lshlrev_b64 v[12:13], 2, v[12:13]
	v_add_u32_e32 v14, s88, v78
	v_add_co_u32_e32 v12, vcc, s28, v12
	v_ashrrev_i32_e32 v15, 31, v14
	v_addc_co_u32_e32 v13, vcc, v83, v13, vcc
	v_lshlrev_b64 v[14:15], 2, v[14:15]
	v_add_u32_e32 v16, s89, v78
	v_add_co_u32_e32 v14, vcc, s28, v14
	v_ashrrev_i32_e32 v17, 31, v16
	v_addc_co_u32_e32 v15, vcc, v83, v15, vcc
	v_lshlrev_b64 v[16:17], 2, v[16:17]
	v_add_u32_e32 v18, s90, v78
	v_add_co_u32_e32 v16, vcc, s28, v16
	v_ashrrev_i32_e32 v19, 31, v18
	v_addc_co_u32_e32 v17, vcc, v83, v17, vcc
	v_lshlrev_b64 v[18:19], 2, v[18:19]
	v_add_co_u32_e32 v18, vcc, s28, v18
	v_addc_co_u32_e32 v19, vcc, v83, v19, vcc
	global_load_dword v26, v[4:5], off
	global_load_dword v27, v[6:7], off
	global_load_dword v28, v[8:9], off
	global_load_dword v29, v[10:11], off
	global_load_dword v30, v[12:13], off
	global_load_dword v31, v[14:15], off
	global_load_dword v32, v[16:17], off
	global_load_dword v33, v[18:19], off
	v_add_u32_e32 v4, s91, v78
	v_ashrrev_i32_e32 v5, 31, v4
	v_lshlrev_b64 v[4:5], 2, v[4:5]
	v_add_u32_e32 v6, s92, v78
	v_add_co_u32_e32 v4, vcc, s28, v4
	v_ashrrev_i32_e32 v7, 31, v6
	v_addc_co_u32_e32 v5, vcc, v83, v5, vcc
	v_lshlrev_b64 v[6:7], 2, v[6:7]
	v_add_u32_e32 v8, s93, v78
	v_add_co_u32_e32 v6, vcc, s28, v6
	v_ashrrev_i32_e32 v9, 31, v8
	v_addc_co_u32_e32 v7, vcc, v83, v7, vcc
	v_lshlrev_b64 v[8:9], 2, v[8:9]
	v_add_u32_e32 v10, s94, v78
	v_add_co_u32_e32 v8, vcc, s28, v8
	v_ashrrev_i32_e32 v11, 31, v10
	v_addc_co_u32_e32 v9, vcc, v83, v9, vcc
	v_lshlrev_b64 v[10:11], 2, v[10:11]
	v_add_u32_e32 v12, s95, v78
	v_add_co_u32_e32 v10, vcc, s28, v10
	v_ashrrev_i32_e32 v13, 31, v12
	v_addc_co_u32_e32 v11, vcc, v83, v11, vcc
	v_lshlrev_b64 v[12:13], 2, v[12:13]
	v_add_u32_e32 v14, s12, v78
	v_add_co_u32_e32 v12, vcc, s28, v12
	v_ashrrev_i32_e32 v15, 31, v14
	v_addc_co_u32_e32 v13, vcc, v83, v13, vcc
	v_lshlrev_b64 v[14:15], 2, v[14:15]
	v_add_u32_e32 v16, s13, v78
	v_add_co_u32_e32 v14, vcc, s28, v14
	v_ashrrev_i32_e32 v17, 31, v16
	v_addc_co_u32_e32 v15, vcc, v83, v15, vcc
	v_lshlrev_b64 v[16:17], 2, v[16:17]
	v_add_u32_e32 v18, s31, v78
	v_add_co_u32_e32 v16, vcc, s28, v16
	v_ashrrev_i32_e32 v19, 31, v18
	v_addc_co_u32_e32 v17, vcc, v83, v17, vcc
	v_lshlrev_b64 v[18:19], 2, v[18:19]
	v_add_co_u32_e32 v18, vcc, s28, v18
	v_addc_co_u32_e32 v19, vcc, v83, v19, vcc
	global_load_dword v34, v[4:5], off
	global_load_dword v35, v[6:7], off
	global_load_dword v36, v[8:9], off
	global_load_dword v37, v[10:11], off
	global_load_dword v38, v[12:13], off
	global_load_dword v39, v[14:15], off
	global_load_dword v40, v[16:17], off
	global_load_dword v41, v[18:19], off
	v_add_u32_e32 v4, s38, v78
	v_ashrrev_i32_e32 v5, 31, v4
	v_lshlrev_b64 v[4:5], 2, v[4:5]
	v_add_u32_e32 v6, s62, v78
	v_add_co_u32_e32 v4, vcc, s28, v4
	v_ashrrev_i32_e32 v7, 31, v6
	;; [unrolled: 48-line block ×5, first 2 shown]
	v_addc_co_u32_e32 v5, vcc, v83, v5, vcc
	v_lshlrev_b64 v[6:7], 2, v[6:7]
	v_add_u32_e32 v8, s9, v78
	v_add_co_u32_e32 v6, vcc, s28, v6
	v_ashrrev_i32_e32 v9, 31, v8
	v_addc_co_u32_e32 v7, vcc, v83, v7, vcc
	v_lshlrev_b64 v[8:9], 2, v[8:9]
	v_add_co_u32_e32 v10, vcc, s28, v8
	v_add_u32_e32 v8, s69, v78
	v_addc_co_u32_e32 v11, vcc, v83, v9, vcc
	v_ashrrev_i32_e32 v9, 31, v8
	v_lshlrev_b64 v[8:9], 2, v[8:9]
	v_add_co_u32_e32 v14, vcc, s28, v8
	v_add_u32_e32 v8, s71, v78
	v_addc_co_u32_e32 v15, vcc, v83, v9, vcc
	v_ashrrev_i32_e32 v9, 31, v8
	;; [unrolled: 5-line block ×3, first 2 shown]
	v_lshlrev_b64 v[8:9], 2, v[8:9]
	v_add_co_u32_e32 v24, vcc, s28, v8
	v_addc_co_u32_e32 v25, vcc, v83, v9, vcc
	ds_read_b64 v[18:19], v81 offset:64
	ds_read_b64 v[16:17], v81 offset:96
	;; [unrolled: 1-line block ×4, first 2 shown]
	global_load_dword v66, v[4:5], off
	global_load_dword v67, v[6:7], off
	;; [unrolled: 1-line block ×6, first 2 shown]
	ds_read_b64 v[14:15], v81 offset:192
	ds_read_b64 v[10:11], v81 offset:224
	ds_read_b64 v[6:7], v81 offset:256
	ds_read_b64 v[4:5], v81 offset:288
	s_waitcnt vmcnt(47)
	ds_write_b32 v80, v20 offset:64
	s_waitcnt vmcnt(46)
	ds_write_b32 v80, v21 offset:328
	s_waitcnt vmcnt(45)
	ds_write_b32 v80, v26 offset:592
	s_waitcnt vmcnt(44)
	ds_write_b32 v80, v27 offset:856
	s_waitcnt vmcnt(43)
	ds_write_b32 v80, v28 offset:1120
	s_waitcnt vmcnt(42)
	ds_write_b32 v80, v29 offset:1384
	s_waitcnt vmcnt(41)
	ds_write_b32 v80, v30 offset:1648
	s_waitcnt vmcnt(40)
	ds_write_b32 v80, v31 offset:1912
	s_waitcnt vmcnt(39)
	ds_write_b32 v80, v32 offset:2176
	s_waitcnt vmcnt(38)
	ds_write_b32 v80, v33 offset:2440
	s_waitcnt vmcnt(37)
	ds_write_b32 v80, v34 offset:2704
	s_waitcnt vmcnt(36)
	ds_write_b32 v80, v35 offset:2968
	s_waitcnt vmcnt(35)
	ds_write_b32 v80, v36 offset:3232
	s_waitcnt vmcnt(34)
	ds_write_b32 v80, v37 offset:3496
	s_waitcnt vmcnt(33)
	ds_write_b32 v80, v38 offset:3760
	s_waitcnt vmcnt(32)
	ds_write_b32 v80, v39 offset:4024
	ds_read_b64 v[36:37], v81 offset:64
	ds_read_b64 v[34:35], v81 offset:96
	ds_read_b64 v[30:31], v81 offset:128
	ds_read_b64 v[28:29], v81 offset:160
	ds_read_b64 v[26:27], v81 offset:192
	ds_read_b64 v[24:25], v81 offset:224
	ds_read_b64 v[22:23], v81 offset:256
	ds_read_b64 v[20:21], v81 offset:288
	s_waitcnt vmcnt(31)
	ds_write_b32 v80, v40 offset:64
	s_waitcnt vmcnt(30)
	ds_write_b32 v80, v41 offset:328
	s_waitcnt vmcnt(29)
	ds_write_b32 v80, v42 offset:592
	s_waitcnt vmcnt(28)
	ds_write_b32 v80, v43 offset:856
	s_waitcnt vmcnt(27)
	ds_write_b32 v80, v44 offset:1120
	s_waitcnt vmcnt(26)
	ds_write_b32 v80, v45 offset:1384
	s_waitcnt vmcnt(25)
	ds_write_b32 v80, v46 offset:1648
	s_waitcnt vmcnt(24)
	ds_write_b32 v80, v47 offset:1912
	s_waitcnt vmcnt(23)
	ds_write_b32 v80, v48 offset:2176
	s_waitcnt vmcnt(22)
	ds_write_b32 v80, v49 offset:2440
	s_waitcnt vmcnt(21)
	ds_write_b32 v80, v50 offset:2704
	s_waitcnt vmcnt(20)
	ds_write_b32 v80, v51 offset:2968
	s_waitcnt vmcnt(19)
	ds_write_b32 v80, v52 offset:3232
	s_waitcnt vmcnt(18)
	ds_write_b32 v80, v53 offset:3496
	s_waitcnt vmcnt(17)
	ds_write_b32 v80, v54 offset:3760
	s_waitcnt vmcnt(16)
	ds_write_b32 v80, v55 offset:4024
	ds_read_b64 v[50:51], v81 offset:64
	ds_read_b64 v[48:49], v81 offset:96
	ds_read_b64 v[46:47], v81 offset:128
	ds_read_b64 v[44:45], v81 offset:160
	;; [unrolled: 40-line block ×3, first 2 shown]
	ds_read_b64 v[62:63], v81 offset:192
	ds_read_b64 v[58:59], v81 offset:224
	;; [unrolled: 1-line block ×4, first 2 shown]
	s_andn2_b64 vcc, exec, s[6:7]
	v_mov_b32_e32 v68, 0
	v_mov_b32_e32 v69, 0
	s_cbranch_vccnz .LBB106_66
; %bb.64:                               ;   in Loop: Header=BB106_63 Depth=1
	ds_read_b32 v70, v79
	v_mov_b32_e32 v69, 0
	v_mov_b32_e32 v68, 0
	s_waitcnt lgkmcnt(0)
	v_cmp_gt_i32_e32 vcc, 0, v70
	s_cbranch_vccnz .LBB106_66
; %bb.65:                               ;   in Loop: Header=BB106_63 Depth=1
	v_mul_lo_u32 v68, v70, s29
	v_add_u32_e32 v68, v82, v68
	v_ashrrev_i32_e32 v69, 31, v68
	v_lshlrev_b64 v[68:69], 2, v[68:69]
	v_mov_b32_e32 v70, s39
	v_add_co_u32_e32 v68, vcc, s33, v68
	v_addc_co_u32_e32 v69, vcc, v70, v69, vcc
	global_load_dwordx2 v[68:69], v[68:69], off
.LBB106_66:                             ;   in Loop: Header=BB106_63 Depth=1
	s_waitcnt vmcnt(0)
	v_cvt_f16_f32_e32 v68, v68
	v_cvt_f16_f32_e32 v69, v69
	s_andn2_b64 vcc, exec, s[18:19]
	v_mov_b32_e32 v70, 0
	v_mov_b32_e32 v71, 0
	v_pack_b32_f16 v68, v68, v69
	ds_write_b32 v80, v68 offset:64
	v_mov_b32_e32 v68, 0
	s_cbranch_vccnz .LBB106_69
; %bb.67:                               ;   in Loop: Header=BB106_63 Depth=1
	ds_read_b32 v69, v79 offset:4
	v_mov_b32_e32 v71, 0
	v_mov_b32_e32 v70, 0
	s_waitcnt lgkmcnt(0)
	v_cmp_gt_i32_e32 vcc, 0, v69
	s_cbranch_vccnz .LBB106_69
; %bb.68:                               ;   in Loop: Header=BB106_63 Depth=1
	v_mul_lo_u32 v69, v69, s29
	v_readlane_b32 vcc_lo, v86, 32
	v_add_u32_e32 v69, vcc_lo, v69
	v_add_u32_e32 v70, v69, v82
	v_ashrrev_i32_e32 v71, 31, v70
	v_lshlrev_b64 v[70:71], 2, v[70:71]
	v_mov_b32_e32 v69, s39
	v_add_co_u32_e32 v70, vcc, s33, v70
	v_addc_co_u32_e32 v71, vcc, v69, v71, vcc
	global_load_dwordx2 v[70:71], v[70:71], off
.LBB106_69:                             ;   in Loop: Header=BB106_63 Depth=1
	s_waitcnt vmcnt(0)
	v_cvt_f16_f32_e32 v69, v70
	v_cvt_f16_f32_e32 v70, v71
	s_andn2_b64 vcc, exec, s[26:27]
	v_pack_b32_f16 v69, v69, v70
	ds_write_b32 v80, v69 offset:328
	v_mov_b32_e32 v69, 0
	s_cbranch_vccnz .LBB106_72
; %bb.70:                               ;   in Loop: Header=BB106_63 Depth=1
	ds_read_b32 v70, v79 offset:8
	v_mov_b32_e32 v69, 0
	v_mov_b32_e32 v68, 0
	s_waitcnt lgkmcnt(0)
	v_cmp_gt_i32_e32 vcc, 0, v70
	s_cbranch_vccnz .LBB106_72
; %bb.71:                               ;   in Loop: Header=BB106_63 Depth=1
	v_mul_lo_u32 v68, v70, s29
	v_readlane_b32 vcc_lo, v86, 20
	v_add_u32_e32 v68, vcc_lo, v68
	v_add_u32_e32 v68, v68, v82
	v_ashrrev_i32_e32 v69, 31, v68
	v_lshlrev_b64 v[68:69], 2, v[68:69]
	v_mov_b32_e32 v70, s39
	v_add_co_u32_e32 v68, vcc, s33, v68
	v_addc_co_u32_e32 v69, vcc, v70, v69, vcc
	global_load_dwordx2 v[68:69], v[68:69], off
.LBB106_72:                             ;   in Loop: Header=BB106_63 Depth=1
	s_waitcnt vmcnt(0)
	v_cvt_f16_f32_e32 v68, v68
	v_cvt_f16_f32_e32 v69, v69
	s_andn2_b64 vcc, exec, s[34:35]
	v_mov_b32_e32 v70, 0
	v_mov_b32_e32 v71, 0
	v_pack_b32_f16 v68, v68, v69
	ds_write_b32 v80, v68 offset:592
	v_mov_b32_e32 v68, 0
	s_cbranch_vccnz .LBB106_75
; %bb.73:                               ;   in Loop: Header=BB106_63 Depth=1
	ds_read_b32 v69, v79 offset:12
	v_mov_b32_e32 v71, 0
	v_mov_b32_e32 v70, 0
	s_waitcnt lgkmcnt(0)
	v_cmp_gt_i32_e32 vcc, 0, v69
	s_cbranch_vccnz .LBB106_75
; %bb.74:                               ;   in Loop: Header=BB106_63 Depth=1
	v_mul_lo_u32 v69, v69, s29
	v_readlane_b32 vcc_lo, v86, 22
	v_add_u32_e32 v69, vcc_lo, v69
	v_add_u32_e32 v70, v69, v82
	v_ashrrev_i32_e32 v71, 31, v70
	v_lshlrev_b64 v[70:71], 2, v[70:71]
	v_mov_b32_e32 v69, s39
	v_add_co_u32_e32 v70, vcc, s33, v70
	v_addc_co_u32_e32 v71, vcc, v69, v71, vcc
	global_load_dwordx2 v[70:71], v[70:71], off
.LBB106_75:                             ;   in Loop: Header=BB106_63 Depth=1
	s_waitcnt vmcnt(0)
	v_cvt_f16_f32_e32 v69, v70
	v_cvt_f16_f32_e32 v70, v71
	s_andn2_b64 vcc, exec, s[36:37]
	v_pack_b32_f16 v69, v69, v70
	ds_write_b32 v80, v69 offset:856
	v_mov_b32_e32 v69, 0
	s_cbranch_vccnz .LBB106_78
; %bb.76:                               ;   in Loop: Header=BB106_63 Depth=1
	ds_read_b32 v70, v79 offset:16
	v_mov_b32_e32 v69, 0
	v_mov_b32_e32 v68, 0
	s_waitcnt lgkmcnt(0)
	v_cmp_gt_i32_e32 vcc, 0, v70
	s_cbranch_vccnz .LBB106_78
; %bb.77:                               ;   in Loop: Header=BB106_63 Depth=1
	v_mul_lo_u32 v68, v70, s29
	v_readlane_b32 vcc_lo, v86, 21
	v_add_u32_e32 v68, vcc_lo, v68
	v_add_u32_e32 v68, v68, v82
	v_ashrrev_i32_e32 v69, 31, v68
	v_lshlrev_b64 v[68:69], 2, v[68:69]
	v_mov_b32_e32 v70, s39
	v_add_co_u32_e32 v68, vcc, s33, v68
	v_addc_co_u32_e32 v69, vcc, v70, v69, vcc
	global_load_dwordx2 v[68:69], v[68:69], off
.LBB106_78:                             ;   in Loop: Header=BB106_63 Depth=1
	;; [unrolled: 56-line block ×5, first 2 shown]
	s_waitcnt vmcnt(0)
	v_cvt_f16_f32_e32 v68, v68
	v_cvt_f16_f32_e32 v69, v69
	s_andn2_b64 vcc, exec, s[54:55]
	v_mov_b32_e32 v70, 0
	v_mov_b32_e32 v71, 0
	v_pack_b32_f16 v68, v68, v69
	ds_write_b32 v80, v68 offset:2704
	v_mov_b32_e32 v68, 0
	s_cbranch_vccnz .LBB106_99
; %bb.97:                               ;   in Loop: Header=BB106_63 Depth=1
	ds_read_b32 v69, v79 offset:44
	v_mov_b32_e32 v71, 0
	v_mov_b32_e32 v70, 0
	s_waitcnt lgkmcnt(0)
	v_cmp_gt_i32_e32 vcc, 0, v69
	s_cbranch_vccnz .LBB106_99
; %bb.98:                               ;   in Loop: Header=BB106_63 Depth=1
	v_mul_lo_u32 v69, v69, s29
	v_readlane_b32 vcc_lo, v86, 28
	v_add_u32_e32 v69, vcc_lo, v69
	v_add_u32_e32 v70, v69, v82
	v_ashrrev_i32_e32 v71, 31, v70
	v_lshlrev_b64 v[70:71], 2, v[70:71]
	v_mov_b32_e32 v69, s39
	v_add_co_u32_e32 v70, vcc, s33, v70
	v_addc_co_u32_e32 v71, vcc, v69, v71, vcc
	global_load_dwordx2 v[70:71], v[70:71], off
.LBB106_99:                             ;   in Loop: Header=BB106_63 Depth=1
	s_waitcnt vmcnt(0)
	v_cvt_f16_f32_e32 v69, v70
	v_cvt_f16_f32_e32 v70, v71
	s_andn2_b64 vcc, exec, s[56:57]
	v_pack_b32_f16 v69, v69, v70
	ds_write_b32 v80, v69 offset:2968
	v_mov_b32_e32 v69, 0
	s_cbranch_vccnz .LBB106_62
; %bb.100:                              ;   in Loop: Header=BB106_63 Depth=1
	ds_read_b32 v70, v79 offset:48
	v_mov_b32_e32 v69, 0
	v_mov_b32_e32 v68, 0
	s_waitcnt lgkmcnt(0)
	v_cmp_gt_i32_e32 vcc, 0, v70
	s_cbranch_vccnz .LBB106_62
; %bb.101:                              ;   in Loop: Header=BB106_63 Depth=1
	v_mul_lo_u32 v68, v70, s29
	v_readlane_b32 vcc_lo, v86, 27
	v_add_u32_e32 v68, vcc_lo, v68
	v_add_u32_e32 v68, v68, v82
	v_ashrrev_i32_e32 v69, 31, v68
	v_lshlrev_b64 v[68:69], 2, v[68:69]
	v_mov_b32_e32 v70, s39
	v_add_co_u32_e32 v68, vcc, s33, v68
	v_addc_co_u32_e32 v69, vcc, v70, v69, vcc
	global_load_dwordx2 v[68:69], v[68:69], off
	s_branch .LBB106_62
.LBB106_102:
	s_or_b64 exec, exec, s[22:23]
	v_readlane_b32 s46, v86, 12
	v_readlane_b32 s36, v86, 16
	;; [unrolled: 1-line block ×9, first 2 shown]
.LBB106_103:
	v_readlane_b32 s0, v86, 10
	v_readlane_b32 s1, v86, 11
	s_or_b64 exec, exec, s[0:1]
	v_mul_u32_u24_e32 v0, 0x308, v77
	s_movk_i32 s1, 0x100
	v_lshlrev_b32_e32 v1, 2, v76
	v_add3_u32 v0, s1, v0, v1
	v_and_b32_e32 v4, 0x3f0, v2
	v_add_u32_e32 v5, v0, v4
	s_barrier
	ds_write2_b32 v5, a12, a13 offset0:16 offset1:17
	v_or_b32_e32 v5, 12, v2
	v_add_u32_e32 v1, 64, v0
	v_and_b32_e32 v5, 0x3fc, v5
	v_add_u32_e32 v4, v1, v4
	v_add_u32_e32 v0, v0, v5
	ds_write_b32 v4, a14 offset:8
	ds_write_b32 v0, a15 offset:64
	ds_write2_b32 v4, a4, a5 offset0:16 offset1:17
	ds_write_b32 v4, a6 offset:72
	v_add_u32_e32 v0, v1, v5
	v_mov_b32_e32 v5, 0x100
	s_movk_i32 s0, 0x308
	ds_write_b32 v0, a7 offset:64
	ds_write2_b32 v4, a0, a1 offset0:32 offset1:33
	ds_write_b32 v4, a2 offset:136
	ds_write_b32 v0, a3 offset:128
	ds_write2_b32 v4, a8, a9 offset0:48 offset1:49
	ds_write_b32 v4, a10 offset:200
	ds_write_b32 v0, a11 offset:192
	v_lshl_add_u32 v4, v2, 2, v5
	v_mad_u32_u24 v6, v3, s0, v4
	s_waitcnt lgkmcnt(0)
	s_barrier
	ds_read2_b32 v[0:1], v6 offset0:16 offset1:80
	ds_read_b32 v6, v6 offset:576
	v_cmp_gt_u32_e32 vcc, 13, v3
	v_mov_b32_e32 v7, -1
	s_and_saveexec_b64 s[4:5], vcc
	s_cbranch_execz .LBB106_105
; %bb.104:
	v_lshl_add_u32 v5, v3, 2, v5
	ds_read_b32 v7, v5
.LBB106_105:
	s_or_b64 exec, exec, s[4:5]
	s_mul_hi_i32 s1, s38, s8
	s_mul_i32 s0, s38, s8
	s_lshl_b64 s[0:1], s[0:1], 2
	v_readlane_b32 s4, v86, 8
	s_mul_hi_i32 s3, s56, s25
	s_mul_i32 s2, s56, s25
	v_readlane_b32 s5, v86, 9
	s_add_u32 s4, s4, s0
	s_addc_u32 s5, s5, s1
	s_lshl_b64 s[0:1], s[2:3], 2
	s_add_u32 s2, s4, s0
	s_waitcnt lgkmcnt(0)
	v_cmp_lt_i32_e32 vcc, -1, v7
	v_mul_u32_u24_e32 v5, 0x308, v3
	v_add_u32_e32 v2, s6, v2
	s_addc_u32 s3, s5, s1
	s_and_b64 s[4:5], vcc, s[46:47]
	s_and_saveexec_b64 s[0:1], s[4:5]
	s_cbranch_execz .LBB106_107
; %bb.106:
	v_add_f32_e32 v0, 0, v0
	v_add_f32_e32 v0, v0, v1
	;; [unrolled: 1-line block ×3, first 2 shown]
	v_mul_lo_u32 v0, v7, s30
	v_mul_lo_u32 v1, v3, s25
	v_add3_u32 v0, v2, v1, v0
	v_mov_b32_e32 v1, 0
	v_lshlrev_b64 v[0:1], 2, v[0:1]
	v_mov_b32_e32 v7, s3
	v_add_co_u32_e32 v0, vcc, s2, v0
	v_addc_co_u32_e32 v1, vcc, v7, v1, vcc
	global_store_dword v[0:1], v6, off
.LBB106_107:
	s_or_b64 exec, exec, s[0:1]
	v_add_u32_e32 v4, v5, v4
	v_add_u32_e32 v0, 0x58, v4
	ds_read2st64_b32 v[0:1], v0 offset0:9 offset1:10
	ds_read_b32 v5, v4 offset:2904
	v_cmp_gt_u32_e32 vcc, 10, v3
	v_mov_b32_e32 v6, -1
	s_and_saveexec_b64 s[0:1], vcc
	s_cbranch_execz .LBB106_109
; %bb.108:
	v_mov_b32_e32 v6, 0x100
	v_lshl_add_u32 v6, v3, 2, v6
	ds_read_b32 v6, v6 offset:12
.LBB106_109:
	s_or_b64 exec, exec, s[0:1]
	v_readlane_b32 s0, v86, 0
	s_waitcnt lgkmcnt(0)
	v_cmp_lt_i32_e32 vcc, -1, v6
	v_readlane_b32 s1, v86, 1
	s_and_b64 s[4:5], vcc, s[0:1]
	s_and_saveexec_b64 s[0:1], s[4:5]
	s_cbranch_execz .LBB106_111
; %bb.110:
	v_add_f32_e32 v0, 0, v0
	v_add_f32_e32 v0, v0, v1
	v_add_f32_e32 v5, v0, v5
	v_mul_lo_u32 v0, v6, s30
	v_mul_lo_u32 v1, v72, s25
	v_add3_u32 v0, v2, v1, v0
	v_mov_b32_e32 v1, 0
	v_lshlrev_b64 v[0:1], 2, v[0:1]
	v_mov_b32_e32 v6, s3
	v_add_co_u32_e32 v0, vcc, s2, v0
	v_addc_co_u32_e32 v1, vcc, v6, v1, vcc
	global_store_dword v[0:1], v5, off
.LBB106_111:
	s_or_b64 exec, exec, s[0:1]
	v_add_u32_e32 v0, 0x70, v4
	ds_read2st64_b32 v[0:1], v0 offset0:18 offset1:19
	ds_read_b32 v5, v4 offset:5232
	v_cmp_gt_u32_e32 vcc, 7, v3
	v_mov_b32_e32 v6, -1
	s_and_saveexec_b64 s[0:1], vcc
	s_cbranch_execz .LBB106_113
; %bb.112:
	v_mov_b32_e32 v6, 0x100
	v_lshl_add_u32 v6, v3, 2, v6
	ds_read_b32 v6, v6 offset:24
.LBB106_113:
	s_or_b64 exec, exec, s[0:1]
	v_readlane_b32 s0, v86, 2
	s_waitcnt lgkmcnt(0)
	v_cmp_lt_i32_e32 vcc, -1, v6
	v_readlane_b32 s1, v86, 3
	s_and_b64 s[4:5], vcc, s[0:1]
	s_and_saveexec_b64 s[0:1], s[4:5]
	s_cbranch_execz .LBB106_115
; %bb.114:
	v_add_f32_e32 v0, 0, v0
	v_add_f32_e32 v0, v0, v1
	v_add_f32_e32 v5, v0, v5
	v_mul_lo_u32 v0, v6, s30
	v_mul_lo_u32 v1, v73, s25
	v_add3_u32 v0, v2, v1, v0
	v_mov_b32_e32 v1, 0
	v_lshlrev_b64 v[0:1], 2, v[0:1]
	v_mov_b32_e32 v6, s3
	v_add_co_u32_e32 v0, vcc, s2, v0
	v_addc_co_u32_e32 v1, vcc, v6, v1, vcc
	global_store_dword v[0:1], v5, off
.LBB106_115:
	s_or_b64 exec, exec, s[0:1]
	;; [unrolled: 35-line block ×3, first 2 shown]
	v_cmp_eq_u32_e32 vcc, 0, v3
	s_and_saveexec_b64 s[0:1], vcc
	s_cbranch_execz .LBB106_122
; %bb.120:
	v_mov_b32_e32 v0, 0x100
	ds_read_b32 v0, v0 offset:48
	v_readlane_b32 s4, v86, 6
	v_readlane_b32 s5, v86, 7
	s_waitcnt lgkmcnt(0)
	v_readfirstlane_b32 s0, v0
	s_cmp_gt_i32 s0, -1
	s_cselect_b64 s[0:1], -1, 0
	s_and_b64 s[0:1], s[0:1], s[4:5]
	s_and_b64 exec, exec, s[0:1]
	s_cbranch_execz .LBB106_122
; %bb.121:
	v_add_u32_e32 v1, 0xa0, v4
	ds_read2st64_b32 v[6:7], v1 offset0:36 offset1:37
	ds_read_b32 v1, v4 offset:9888
	v_mul_lo_u32 v0, v0, s30
	v_mul_lo_u32 v3, v75, s25
	v_add3_u32 v0, v2, v3, v0
	s_waitcnt lgkmcnt(1)
	v_add_f32_e32 v2, 0, v6
	v_add_f32_e32 v2, v2, v7
	s_waitcnt lgkmcnt(0)
	v_add_f32_e32 v2, v2, v1
	v_mov_b32_e32 v1, 0
	v_lshlrev_b64 v[0:1], 2, v[0:1]
	v_mov_b32_e32 v3, s3
	v_add_co_u32_e32 v0, vcc, s2, v0
	v_addc_co_u32_e32 v1, vcc, v3, v1, vcc
	global_store_dword v[0:1], v2, off
.LBB106_122:
	s_endpgm
	.section	.rodata,"a",@progbits
	.p2align	6, 0x0
	.amdhsa_kernel _ZL9mul_mat_fI7__half2Li64ELi13ELi3ELb1EEvPKT_PKfPKiPfiiiiiiiiiiiiiiii
		.amdhsa_group_segment_fixed_size 256
		.amdhsa_private_segment_fixed_size 0
		.amdhsa_kernarg_size 352
		.amdhsa_user_sgpr_count 6
		.amdhsa_user_sgpr_private_segment_buffer 1
		.amdhsa_user_sgpr_dispatch_ptr 0
		.amdhsa_user_sgpr_queue_ptr 0
		.amdhsa_user_sgpr_kernarg_segment_ptr 1
		.amdhsa_user_sgpr_dispatch_id 0
		.amdhsa_user_sgpr_flat_scratch_init 0
		.amdhsa_user_sgpr_kernarg_preload_length 0
		.amdhsa_user_sgpr_kernarg_preload_offset 0
		.amdhsa_user_sgpr_private_segment_size 0
		.amdhsa_uses_dynamic_stack 0
		.amdhsa_system_sgpr_private_segment_wavefront_offset 0
		.amdhsa_system_sgpr_workgroup_id_x 1
		.amdhsa_system_sgpr_workgroup_id_y 1
		.amdhsa_system_sgpr_workgroup_id_z 1
		.amdhsa_system_sgpr_workgroup_info 0
		.amdhsa_system_vgpr_workitem_id 2
		.amdhsa_next_free_vgpr 104
		.amdhsa_next_free_sgpr 96
		.amdhsa_accum_offset 88
		.amdhsa_reserve_vcc 1
		.amdhsa_reserve_flat_scratch 0
		.amdhsa_float_round_mode_32 0
		.amdhsa_float_round_mode_16_64 0
		.amdhsa_float_denorm_mode_32 3
		.amdhsa_float_denorm_mode_16_64 3
		.amdhsa_dx10_clamp 1
		.amdhsa_ieee_mode 1
		.amdhsa_fp16_overflow 0
		.amdhsa_tg_split 0
		.amdhsa_exception_fp_ieee_invalid_op 0
		.amdhsa_exception_fp_denorm_src 0
		.amdhsa_exception_fp_ieee_div_zero 0
		.amdhsa_exception_fp_ieee_overflow 0
		.amdhsa_exception_fp_ieee_underflow 0
		.amdhsa_exception_fp_ieee_inexact 0
		.amdhsa_exception_int_div_zero 0
	.end_amdhsa_kernel
	.section	.text._ZL9mul_mat_fI7__half2Li64ELi13ELi3ELb1EEvPKT_PKfPKiPfiiiiiiiiiiiiiiii,"axG",@progbits,_ZL9mul_mat_fI7__half2Li64ELi13ELi3ELb1EEvPKT_PKfPKiPfiiiiiiiiiiiiiiii,comdat
.Lfunc_end106:
	.size	_ZL9mul_mat_fI7__half2Li64ELi13ELi3ELb1EEvPKT_PKfPKiPfiiiiiiiiiiiiiiii, .Lfunc_end106-_ZL9mul_mat_fI7__half2Li64ELi13ELi3ELb1EEvPKT_PKfPKiPfiiiiiiiiiiiiiiii
                                        ; -- End function
	.section	.AMDGPU.csdata,"",@progbits
; Kernel info:
; codeLenInByte = 9852
; NumSgprs: 100
; NumVgprs: 87
; NumAgprs: 16
; TotalNumVgprs: 104
; ScratchSize: 0
; MemoryBound: 0
; FloatMode: 240
; IeeeMode: 1
; LDSByteSize: 256 bytes/workgroup (compile time only)
; SGPRBlocks: 12
; VGPRBlocks: 12
; NumSGPRsForWavesPerEU: 100
; NumVGPRsForWavesPerEU: 104
; AccumOffset: 88
; Occupancy: 4
; WaveLimiterHint : 0
; COMPUTE_PGM_RSRC2:SCRATCH_EN: 0
; COMPUTE_PGM_RSRC2:USER_SGPR: 6
; COMPUTE_PGM_RSRC2:TRAP_HANDLER: 0
; COMPUTE_PGM_RSRC2:TGID_X_EN: 1
; COMPUTE_PGM_RSRC2:TGID_Y_EN: 1
; COMPUTE_PGM_RSRC2:TGID_Z_EN: 1
; COMPUTE_PGM_RSRC2:TIDIG_COMP_CNT: 2
; COMPUTE_PGM_RSRC3_GFX90A:ACCUM_OFFSET: 21
; COMPUTE_PGM_RSRC3_GFX90A:TG_SPLIT: 0
	.section	.text._ZL9mul_mat_fI7__half2Li64ELi13ELi3ELb0EEvPKT_PKfPKiPfiiiiiiiiiiiiiiii,"axG",@progbits,_ZL9mul_mat_fI7__half2Li64ELi13ELi3ELb0EEvPKT_PKfPKiPfiiiiiiiiiiiiiiii,comdat
	.globl	_ZL9mul_mat_fI7__half2Li64ELi13ELi3ELb0EEvPKT_PKfPKiPfiiiiiiiiiiiiiiii ; -- Begin function _ZL9mul_mat_fI7__half2Li64ELi13ELi3ELb0EEvPKT_PKfPKiPfiiiiiiiiiiiiiiii
	.p2align	8
	.type	_ZL9mul_mat_fI7__half2Li64ELi13ELi3ELb0EEvPKT_PKfPKiPfiiiiiiiiiiiiiiii,@function
_ZL9mul_mat_fI7__half2Li64ELi13ELi3ELb0EEvPKT_PKfPKiPfiiiiiiiiiiiiiiii: ; @_ZL9mul_mat_fI7__half2Li64ELi13ELi3ELb0EEvPKT_PKfPKiPfiiiiiiiiiiiiiiii
; %bb.0:
	s_load_dwordx8 s[12:19], s[4:5], 0x40
	s_load_dword s9, s[4:5], 0x20
	s_load_dwordx4 s[0:3], s[4:5], 0x2c
	v_bfe_u32 v88, v0, 10, 10
	v_lshlrev_b32_e32 v90, 6, v88
	v_and_b32_e32 v89, 0x3ff, v0
	s_waitcnt lgkmcnt(0)
	s_abs_i32 s27, s12
	s_abs_i32 s26, s16
	v_cvt_f32_u32_e32 v1, s27
	v_cvt_f32_u32_e32 v2, s26
	v_add_u32_e32 v92, v90, v89
	s_mov_b32 s22, 0
	v_rcp_iflag_f32_e32 v1, v1
	v_rcp_iflag_f32_e32 v2, v2
	s_ashr_i32 s28, s8, 31
	v_cmp_le_i32_e32 vcc, s9, v92
	v_mul_f32_e32 v1, 0x4f7ffffe, v1
	v_mul_f32_e32 v2, 0x4f7ffffe, v2
	v_cvt_u32_f32_e32 v1, v1
	v_cvt_u32_f32_e32 v2, v2
	v_and_b32_e32 v91, 15, v89
	v_readfirstlane_b32 s21, v1
	v_readfirstlane_b32 s20, v2
	s_and_saveexec_b64 s[10:11], vcc
	s_xor_b64 s[10:11], exec, s[10:11]
; %bb.1:
	v_and_b32_e32 v91, 15, v89
                                        ; implicit-def: $vgpr92
; %bb.2:
	s_or_saveexec_b64 s[24:25], s[10:11]
	s_load_dwordx2 s[10:11], s[4:5], 0x18
	s_lshl_b32 s3, s6, 6
	v_accvgpr_write_b32 a0, s22
	v_accvgpr_write_b32 a1, s22
	;; [unrolled: 1-line block ×16, first 2 shown]
	s_xor_b64 exec, exec, s[24:25]
	s_cbranch_execz .LBB107_6
; %bb.3:
	s_sub_i32 s6, 0, s27
	s_sub_i32 s22, 0, s26
	s_mul_i32 s6, s6, s21
	s_mul_i32 s22, s22, s20
	s_mul_hi_u32 s6, s21, s6
	s_mul_hi_u32 s22, s20, s22
	s_abs_i32 s29, s7
	s_add_i32 s6, s21, s6
	s_add_i32 s31, s20, s22
	s_load_dwordx4 s[20:23], s[4:5], 0x0
	s_mul_hi_u32 s4, s29, s6
	s_ashr_i32 s6, s7, 31
	s_ashr_i32 s12, s12, 31
	s_xor_b32 s6, s6, s12
	s_mul_i32 s12, s4, s27
	s_abs_i32 s30, s8
	s_sub_i32 s12, s29, s12
	s_mul_hi_u32 s5, s30, s31
	s_ashr_i32 s16, s16, 31
	s_add_i32 s29, s4, 1
	s_sub_i32 s31, s12, s27
	s_cmp_ge_u32 s12, s27
	s_cselect_b32 s4, s29, s4
	s_cselect_b32 s12, s31, s12
	s_add_i32 s29, s4, 1
	s_cmp_ge_u32 s12, s27
	s_cselect_b32 s4, s29, s4
	s_mul_i32 s12, s5, s26
	s_xor_b32 s4, s4, s6
	s_sub_i32 s12, s30, s12
	s_sub_i32 s6, s4, s6
	s_xor_b32 s4, s28, s16
	s_add_i32 s16, s5, 1
	s_sub_i32 s27, s12, s26
	s_cmp_ge_u32 s12, s26
	s_cselect_b32 s5, s16, s5
	s_cselect_b32 s12, s27, s12
	s_add_i32 s16, s5, 1
	s_cmp_ge_u32 s12, s26
	s_cselect_b32 s5, s16, s5
	s_xor_b32 s5, s5, s4
	s_sub_i32 s4, s5, s4
	s_mul_hi_i32 s5, s4, s17
	s_mul_i32 s4, s4, s17
	s_mul_i32 s12, s6, s13
	s_ashr_i32 s13, s12, 31
	s_lshl_b64 s[26:27], s[4:5], 2
	s_mul_i32 s16, s3, s0
	s_waitcnt lgkmcnt(0)
	s_add_u32 s6, s20, s26
	s_addc_u32 s29, s21, s27
	s_ashr_i32 s17, s16, 31
	s_lshl_b64 s[16:17], s[16:17], 2
	s_lshl_b64 s[12:13], s[12:13], 2
	s_mul_hi_i32 s5, s18, s8
	s_mul_i32 s4, s18, s8
	s_add_u32 s18, s12, s16
	s_addc_u32 s30, s13, s17
	s_mul_i32 s28, s7, s14
	s_add_u32 s6, s18, s6
	s_addc_u32 s73, s30, s29
	s_ashr_i32 s29, s28, 31
	s_lshl_b64 s[16:17], s[4:5], 2
	s_lshl_b64 s[4:5], s[28:29], 2
	s_add_u32 s22, s22, s4
	s_addc_u32 s23, s23, s5
	s_add_u32 s14, s22, s16
	s_movk_i32 s4, 0x1080
	s_addc_u32 s74, s23, s17
	v_mad_u32_u24 v0, v88, s4, 0
	s_ashr_i32 s5, s0, 31
	s_mov_b32 s4, s0
	v_lshrrev_b32_e32 v3, 1, v89
	s_ashr_i32 s13, s1, 31
	s_lshl_b64 s[4:5], s[4:5], 2
	v_lshlrev_b32_e32 v1, 2, v89
	v_mul_u32_u24_e32 v2, 0x108, v91
	v_and_b32_e32 v3, 0x1f8, v3
	s_add_u32 s18, s18, s26
	v_add_u32_e32 v93, v0, v1
	v_add3_u32 v94, v0, v2, v3
	v_lshlrev_b32_e32 v0, 8, v88
	s_addc_u32 s26, s30, s27
	v_mov_b32_e32 v2, s26
	v_add_co_u32_e32 v0, vcc, s18, v0
	v_addc_co_u32_e32 v2, vcc, 0, v2, vcc
	v_add_co_u32_e32 v0, vcc, v0, v1
	v_addc_co_u32_e32 v1, vcc, 0, v2, vcc
	v_mov_b32_e32 v2, s21
	v_add_co_u32_e32 v16, vcc, s20, v0
	v_addc_co_u32_e32 v17, vcc, v2, v1, vcc
	v_lshlrev_b32_e32 v0, 9, v88
	v_mov_b32_e32 v1, s17
	v_add_co_u32_e32 v0, vcc, s16, v0
	v_addc_co_u32_e32 v1, vcc, 0, v1, vcc
	v_lshlrev_b32_e32 v2, 3, v89
	v_add_co_u32_e32 v0, vcc, v0, v2
	s_mov_b32 s12, s1
	v_addc_co_u32_e32 v1, vcc, 0, v1, vcc
	s_lshl_b64 s[12:13], s[12:13], 3
	v_mov_b32_e32 v2, s23
	v_add_co_u32_e32 v18, vcc, s22, v0
	v_addc_co_u32_e32 v19, vcc, v2, v1, vcc
	s_mul_i32 s16, s0, 63
	s_lshl_b32 s17, s1, 1
	s_mul_i32 s18, s1, 3
	s_lshl_b32 s20, s1, 2
	s_mul_i32 s21, s1, 5
	s_mul_i32 s22, s1, 6
	;; [unrolled: 1-line block ×3, first 2 shown]
	s_lshl_b32 s26, s1, 3
	s_mul_i32 s27, s1, 9
	s_mul_i32 s28, s1, 10
	;; [unrolled: 1-line block ×4, first 2 shown]
	s_lshl_b32 s31, s0, 1
	s_mul_i32 s33, s0, 3
	s_lshl_b32 s34, s0, 2
	s_mul_i32 s35, s0, 5
	s_mul_i32 s36, s0, 6
	;; [unrolled: 1-line block ×3, first 2 shown]
	s_lshl_b32 s38, s0, 3
	s_mul_i32 s39, s0, 9
	s_mul_i32 s40, s0, 10
	s_mul_i32 s41, s0, 11
	s_mul_i32 s42, s0, 12
	s_mul_i32 s43, s0, 13
	s_mul_i32 s44, s0, 14
	s_mul_i32 s45, s0, 15
	s_lshl_b32 s46, s0, 4
	s_mul_i32 s47, s0, 17
	s_mul_i32 s48, s0, 18
	;; [unrolled: 1-line block ×15, first 2 shown]
	s_lshl_b32 s62, s0, 5
	s_mul_i32 s63, s0, 33
	s_mul_i32 s64, s0, 34
	;; [unrolled: 1-line block ×10, first 2 shown]
	v_mov_b32_e32 v95, s73
	s_mul_i32 s73, s0, 43
	v_mov_b32_e32 v96, s74
	s_mul_i32 s74, s0, 44
	v_mov_b32_e32 v97, 0
	v_accvgpr_write_b32 a15, 0
	v_accvgpr_write_b32 a14, 0
	;; [unrolled: 1-line block ×16, first 2 shown]
	v_mov_b32_e32 v98, s5
	v_mov_b32_e32 v99, s13
	s_mul_i32 s5, s0, 45
	s_mul_i32 s13, s0, 46
	;; [unrolled: 1-line block ×18, first 2 shown]
	s_mov_b64 s[0:1], 0
.LBB107_4:                              ; =>This Inner Loop Header: Depth=1
	global_load_dword v20, v[16:17], off
	v_add_u32_e32 v36, s46, v92
	v_ashrrev_i32_e32 v37, 31, v36
	v_lshlrev_b64 v[36:37], 2, v[36:37]
	v_add_u32_e32 v52, s62, v92
	v_ashrrev_i32_e32 v53, 31, v52
	v_lshlrev_b64 v[52:53], 2, v[52:53]
	;; [unrolled: 3-line block ×3, first 2 shown]
	v_accvgpr_read_b32 v0, a12
	v_accvgpr_read_b32 v4, a8
	;; [unrolled: 1-line block ×16, first 2 shown]
	v_accvgpr_write_b32 a0, v0
	v_accvgpr_write_b32 a4, v4
	;; [unrolled: 1-line block ×16, first 2 shown]
	s_waitcnt vmcnt(0)
	ds_write_b32 v93, v20
	v_add_co_u32_e32 v20, vcc, s4, v16
	v_addc_co_u32_e32 v21, vcc, v17, v98, vcc
	global_load_dword v20, v[20:21], off
	s_waitcnt vmcnt(0)
	ds_write_b32 v93, v20 offset:264
	v_add_u32_e32 v20, s31, v92
	v_ashrrev_i32_e32 v21, 31, v20
	v_lshlrev_b64 v[20:21], 2, v[20:21]
	v_add_co_u32_e32 v20, vcc, s6, v20
	v_addc_co_u32_e32 v21, vcc, v95, v21, vcc
	global_load_dword v20, v[20:21], off
	s_waitcnt vmcnt(0)
	ds_write_b32 v93, v20 offset:528
	v_add_u32_e32 v20, s33, v92
	v_ashrrev_i32_e32 v21, 31, v20
	v_lshlrev_b64 v[20:21], 2, v[20:21]
	;; [unrolled: 8-line block ×14, first 2 shown]
	v_add_co_u32_e32 v20, vcc, s6, v20
	v_addc_co_u32_e32 v21, vcc, v95, v21, vcc
	global_load_dword v20, v[20:21], off
	v_add_co_u32_e32 v36, vcc, s6, v36
	v_addc_co_u32_e32 v37, vcc, v95, v37, vcc
	s_waitcnt vmcnt(0)
	ds_write_b32 v93, v20 offset:3960
	ds_read_b64 v[34:35], v94
	ds_read_b64 v[32:33], v94 offset:32
	ds_read_b64 v[30:31], v94 offset:64
	ds_read_b64 v[28:29], v94 offset:96
	ds_read_b64 v[26:27], v94 offset:128
	ds_read_b64 v[24:25], v94 offset:160
	ds_read_b64 v[22:23], v94 offset:192
	ds_read_b64 v[20:21], v94 offset:224
	global_load_dword v36, v[36:37], off
	s_waitcnt vmcnt(0)
	ds_write_b32 v93, v36
	v_add_u32_e32 v36, s47, v92
	v_ashrrev_i32_e32 v37, 31, v36
	v_lshlrev_b64 v[36:37], 2, v[36:37]
	v_add_co_u32_e32 v36, vcc, s6, v36
	v_addc_co_u32_e32 v37, vcc, v95, v37, vcc
	global_load_dword v36, v[36:37], off
	s_waitcnt vmcnt(0)
	ds_write_b32 v93, v36 offset:264
	v_add_u32_e32 v36, s48, v92
	v_ashrrev_i32_e32 v37, 31, v36
	v_lshlrev_b64 v[36:37], 2, v[36:37]
	v_add_co_u32_e32 v36, vcc, s6, v36
	v_addc_co_u32_e32 v37, vcc, v95, v37, vcc
	global_load_dword v36, v[36:37], off
	s_waitcnt vmcnt(0)
	ds_write_b32 v93, v36 offset:528
	;; [unrolled: 8-line block ×14, first 2 shown]
	v_add_u32_e32 v36, s61, v92
	v_ashrrev_i32_e32 v37, 31, v36
	v_lshlrev_b64 v[36:37], 2, v[36:37]
	v_add_co_u32_e32 v36, vcc, s6, v36
	v_addc_co_u32_e32 v37, vcc, v95, v37, vcc
	global_load_dword v36, v[36:37], off
	v_add_co_u32_e32 v52, vcc, s6, v52
	v_addc_co_u32_e32 v53, vcc, v95, v53, vcc
	s_waitcnt vmcnt(0)
	ds_write_b32 v93, v36 offset:3960
	ds_read_b64 v[50:51], v94
	ds_read_b64 v[48:49], v94 offset:32
	ds_read_b64 v[46:47], v94 offset:64
	;; [unrolled: 1-line block ×7, first 2 shown]
	global_load_dword v52, v[52:53], off
	s_waitcnt vmcnt(0)
	ds_write_b32 v93, v52
	v_add_u32_e32 v52, s63, v92
	v_ashrrev_i32_e32 v53, 31, v52
	v_lshlrev_b64 v[52:53], 2, v[52:53]
	v_add_co_u32_e32 v52, vcc, s6, v52
	v_addc_co_u32_e32 v53, vcc, v95, v53, vcc
	global_load_dword v52, v[52:53], off
	s_waitcnt vmcnt(0)
	ds_write_b32 v93, v52 offset:264
	v_add_u32_e32 v52, s64, v92
	v_ashrrev_i32_e32 v53, 31, v52
	v_lshlrev_b64 v[52:53], 2, v[52:53]
	v_add_co_u32_e32 v52, vcc, s6, v52
	v_addc_co_u32_e32 v53, vcc, v95, v53, vcc
	global_load_dword v52, v[52:53], off
	s_waitcnt vmcnt(0)
	ds_write_b32 v93, v52 offset:528
	;; [unrolled: 8-line block ×14, first 2 shown]
	v_add_u32_e32 v52, s75, v92
	v_ashrrev_i32_e32 v53, 31, v52
	v_lshlrev_b64 v[52:53], 2, v[52:53]
	v_add_co_u32_e32 v52, vcc, s6, v52
	v_addc_co_u32_e32 v53, vcc, v95, v53, vcc
	global_load_dword v52, v[52:53], off
	v_add_co_u32_e32 v68, vcc, s6, v68
	v_addc_co_u32_e32 v69, vcc, v95, v69, vcc
	s_waitcnt vmcnt(0)
	ds_write_b32 v93, v52 offset:3960
	ds_read_b64 v[66:67], v94
	ds_read_b64 v[64:65], v94 offset:32
	ds_read_b64 v[62:63], v94 offset:64
	;; [unrolled: 1-line block ×7, first 2 shown]
	global_load_dword v68, v[68:69], off
	s_waitcnt vmcnt(0)
	ds_write_b32 v93, v68
	v_add_u32_e32 v68, s77, v92
	v_ashrrev_i32_e32 v69, 31, v68
	v_lshlrev_b64 v[68:69], 2, v[68:69]
	v_add_co_u32_e32 v68, vcc, s6, v68
	v_addc_co_u32_e32 v69, vcc, v95, v69, vcc
	global_load_dword v68, v[68:69], off
	s_waitcnt vmcnt(0)
	ds_write_b32 v93, v68 offset:264
	v_add_u32_e32 v68, s78, v92
	v_ashrrev_i32_e32 v69, 31, v68
	v_lshlrev_b64 v[68:69], 2, v[68:69]
	v_add_co_u32_e32 v68, vcc, s6, v68
	v_addc_co_u32_e32 v69, vcc, v95, v69, vcc
	global_load_dword v68, v[68:69], off
	s_waitcnt vmcnt(0)
	ds_write_b32 v93, v68 offset:528
	v_add_u32_e32 v68, s79, v92
	v_ashrrev_i32_e32 v69, 31, v68
	v_lshlrev_b64 v[68:69], 2, v[68:69]
	v_add_co_u32_e32 v68, vcc, s6, v68
	v_addc_co_u32_e32 v69, vcc, v95, v69, vcc
	global_load_dword v68, v[68:69], off
	s_waitcnt vmcnt(0)
	ds_write_b32 v93, v68 offset:792
	v_add_u32_e32 v68, s80, v92
	v_ashrrev_i32_e32 v69, 31, v68
	v_lshlrev_b64 v[68:69], 2, v[68:69]
	v_add_co_u32_e32 v68, vcc, s6, v68
	v_addc_co_u32_e32 v69, vcc, v95, v69, vcc
	global_load_dword v68, v[68:69], off
	s_waitcnt vmcnt(0)
	ds_write_b32 v93, v68 offset:1056
	v_add_u32_e32 v68, s81, v92
	v_ashrrev_i32_e32 v69, 31, v68
	v_lshlrev_b64 v[68:69], 2, v[68:69]
	v_add_co_u32_e32 v68, vcc, s6, v68
	v_addc_co_u32_e32 v69, vcc, v95, v69, vcc
	global_load_dword v68, v[68:69], off
	s_waitcnt vmcnt(0)
	ds_write_b32 v93, v68 offset:1320
	v_add_u32_e32 v68, s82, v92
	v_ashrrev_i32_e32 v69, 31, v68
	v_lshlrev_b64 v[68:69], 2, v[68:69]
	v_add_co_u32_e32 v68, vcc, s6, v68
	v_addc_co_u32_e32 v69, vcc, v95, v69, vcc
	global_load_dword v68, v[68:69], off
	s_waitcnt vmcnt(0)
	ds_write_b32 v93, v68 offset:1584
	v_add_u32_e32 v68, s83, v92
	v_ashrrev_i32_e32 v69, 31, v68
	v_lshlrev_b64 v[68:69], 2, v[68:69]
	v_add_co_u32_e32 v68, vcc, s6, v68
	v_addc_co_u32_e32 v69, vcc, v95, v69, vcc
	global_load_dword v68, v[68:69], off
	s_waitcnt vmcnt(0)
	ds_write_b32 v93, v68 offset:1848
	v_add_u32_e32 v68, s84, v92
	v_ashrrev_i32_e32 v69, 31, v68
	v_lshlrev_b64 v[68:69], 2, v[68:69]
	v_add_co_u32_e32 v68, vcc, s6, v68
	v_addc_co_u32_e32 v69, vcc, v95, v69, vcc
	global_load_dword v68, v[68:69], off
	s_waitcnt vmcnt(0)
	ds_write_b32 v93, v68 offset:2112
	v_add_u32_e32 v68, s85, v92
	v_ashrrev_i32_e32 v69, 31, v68
	v_lshlrev_b64 v[68:69], 2, v[68:69]
	v_add_co_u32_e32 v68, vcc, s6, v68
	v_addc_co_u32_e32 v69, vcc, v95, v69, vcc
	global_load_dword v68, v[68:69], off
	s_waitcnt vmcnt(0)
	ds_write_b32 v93, v68 offset:2376
	v_add_u32_e32 v68, s86, v92
	v_ashrrev_i32_e32 v69, 31, v68
	v_lshlrev_b64 v[68:69], 2, v[68:69]
	v_add_co_u32_e32 v68, vcc, s6, v68
	v_addc_co_u32_e32 v69, vcc, v95, v69, vcc
	global_load_dword v68, v[68:69], off
	s_waitcnt vmcnt(0)
	ds_write_b32 v93, v68 offset:2640
	v_add_u32_e32 v68, s87, v92
	v_ashrrev_i32_e32 v69, 31, v68
	v_lshlrev_b64 v[68:69], 2, v[68:69]
	v_add_co_u32_e32 v68, vcc, s6, v68
	v_addc_co_u32_e32 v69, vcc, v95, v69, vcc
	global_load_dword v68, v[68:69], off
	s_waitcnt vmcnt(0)
	ds_write_b32 v93, v68 offset:2904
	v_add_u32_e32 v68, s88, v92
	v_ashrrev_i32_e32 v69, 31, v68
	v_lshlrev_b64 v[68:69], 2, v[68:69]
	v_add_co_u32_e32 v68, vcc, s6, v68
	v_addc_co_u32_e32 v69, vcc, v95, v69, vcc
	global_load_dword v68, v[68:69], off
	s_waitcnt vmcnt(0)
	ds_write_b32 v93, v68 offset:3168
	v_add_u32_e32 v68, s89, v92
	v_ashrrev_i32_e32 v69, 31, v68
	v_lshlrev_b64 v[68:69], 2, v[68:69]
	v_add_co_u32_e32 v68, vcc, s6, v68
	v_addc_co_u32_e32 v69, vcc, v95, v69, vcc
	global_load_dword v68, v[68:69], off
	s_waitcnt vmcnt(0)
	ds_write_b32 v93, v68 offset:3432
	v_add_u32_e32 v68, s90, v92
	v_ashrrev_i32_e32 v69, 31, v68
	v_lshlrev_b64 v[68:69], 2, v[68:69]
	v_add_co_u32_e32 v68, vcc, s6, v68
	v_addc_co_u32_e32 v69, vcc, v95, v69, vcc
	global_load_dword v68, v[68:69], off
	s_waitcnt vmcnt(0)
	ds_write_b32 v93, v68 offset:3696
	v_add_u32_e32 v68, s16, v92
	v_ashrrev_i32_e32 v69, 31, v68
	v_lshlrev_b64 v[68:69], 2, v[68:69]
	v_add_co_u32_e32 v68, vcc, s6, v68
	v_addc_co_u32_e32 v69, vcc, v95, v69, vcc
	global_load_dword v68, v[68:69], off
	s_waitcnt vmcnt(0)
	ds_write_b32 v93, v68 offset:3960
	ds_read_b64 v[82:83], v94
	ds_read_b64 v[80:81], v94 offset:32
	ds_read_b64 v[78:79], v94 offset:64
	;; [unrolled: 1-line block ×7, first 2 shown]
	global_load_dwordx2 v[84:85], v[18:19], off
	s_waitcnt vmcnt(0)
	v_cvt_f16_f32_e32 v84, v84
	v_cvt_f16_f32_e32 v85, v85
	v_pack_b32_f16 v84, v84, v85
	ds_write_b32 v93, v84
	v_add_co_u32_e32 v84, vcc, s12, v18
	v_addc_co_u32_e32 v85, vcc, v19, v99, vcc
	global_load_dwordx2 v[84:85], v[84:85], off
	s_waitcnt vmcnt(0)
	v_cvt_f16_f32_e32 v84, v84
	v_cvt_f16_f32_e32 v85, v85
	v_pack_b32_f16 v84, v84, v85
	ds_write_b32 v93, v84 offset:264
	v_add_u32_e32 v84, s17, v92
	v_ashrrev_i32_e32 v85, 31, v84
	v_lshlrev_b64 v[84:85], 3, v[84:85]
	v_add_co_u32_e32 v84, vcc, s14, v84
	v_addc_co_u32_e32 v85, vcc, v96, v85, vcc
	global_load_dwordx2 v[84:85], v[84:85], off
	s_waitcnt vmcnt(0)
	v_cvt_f16_f32_e32 v84, v84
	v_cvt_f16_f32_e32 v85, v85
	v_pack_b32_f16 v84, v84, v85
	ds_write_b32 v93, v84 offset:528
	v_add_u32_e32 v84, s18, v92
	v_ashrrev_i32_e32 v85, 31, v84
	v_lshlrev_b64 v[84:85], 3, v[84:85]
	;; [unrolled: 11-line block ×11, first 2 shown]
	v_add_co_u32_e32 v84, vcc, s14, v84
	v_addc_co_u32_e32 v85, vcc, v96, v85, vcc
	global_load_dwordx2 v[84:85], v[84:85], off
	v_add_co_u32_e32 v16, vcc, 0x300, v16
	v_addc_co_u32_e32 v17, vcc, 0, v17, vcc
	v_add_co_u32_e32 v18, vcc, 0x600, v18
	v_add_u32_e32 v92, 0xc0, v92
	v_addc_co_u32_e32 v19, vcc, 0, v19, vcc
	v_cmp_le_i32_e32 vcc, s9, v92
	s_or_b64 s[0:1], vcc, s[0:1]
	s_waitcnt vmcnt(0)
	v_cvt_f16_f32_e32 v84, v84
	v_cvt_f16_f32_e32 v85, v85
	v_pack_b32_f16 v84, v84, v85
	ds_write_b32 v93, v84 offset:3168
	ds_write_b32 v93, v97 offset:3432
	;; [unrolled: 1-line block ×4, first 2 shown]
	ds_read_b64 v[86:87], v94
	ds_read_b64 v[84:85], v94 offset:32
	s_waitcnt lgkmcnt(1)
	v_mfma_f32_16x16x16f16 a[0:3], v[34:35], v[86:87], a[0:3]
	ds_read_b64 v[0:1], v94 offset:64
	v_mfma_f32_16x16x16f16 a[4:7], v[50:51], v[86:87], a[4:7]
	v_mfma_f32_16x16x16f16 a[8:11], v[66:67], v[86:87], a[8:11]
	;; [unrolled: 1-line block ×3, first 2 shown]
	s_waitcnt lgkmcnt(1)
	v_mfma_f32_16x16x16f16 a[0:3], v[32:33], v[84:85], a[0:3]
	v_mfma_f32_16x16x16f16 a[4:7], v[48:49], v[84:85], a[4:7]
	;; [unrolled: 1-line block ×4, first 2 shown]
	s_waitcnt lgkmcnt(0)
	v_mfma_f32_16x16x16f16 a[0:3], v[30:31], v[0:1], a[0:3]
	v_mfma_f32_16x16x16f16 a[4:7], v[46:47], v[0:1], a[4:7]
	v_mfma_f32_16x16x16f16 a[8:11], v[62:63], v[0:1], a[8:11]
	v_mfma_f32_16x16x16f16 a[12:15], v[78:79], v[0:1], a[12:15]
	ds_read_b64 v[0:1], v94 offset:96
	s_waitcnt lgkmcnt(0)
	v_mfma_f32_16x16x16f16 a[0:3], v[28:29], v[0:1], a[0:3]
	v_mfma_f32_16x16x16f16 a[4:7], v[44:45], v[0:1], a[4:7]
	v_mfma_f32_16x16x16f16 a[8:11], v[60:61], v[0:1], a[8:11]
	v_mfma_f32_16x16x16f16 a[12:15], v[76:77], v[0:1], a[12:15]
	ds_read_b64 v[0:1], v94 offset:128
	;; [unrolled: 6-line block ×5, first 2 shown]
	s_waitcnt lgkmcnt(0)
	v_mfma_f32_16x16x16f16 a[12:15], v[20:21], v[0:1], a[0:3]
	v_mfma_f32_16x16x16f16 a[8:11], v[36:37], v[0:1], a[4:7]
	;; [unrolled: 1-line block ×4, first 2 shown]
	s_andn2_b64 exec, exec, s[0:1]
	s_cbranch_execnz .LBB107_4
; %bb.5:
	s_or_b64 exec, exec, s[0:1]
.LBB107_6:
	s_or_b64 exec, exec, s[24:25]
	s_mul_hi_i32 s1, s19, s8
	s_mul_i32 s0, s19, s8
	s_lshl_b64 s[0:1], s[0:1], 2
	v_mul_u32_u24_e32 v0, 0x308, v91
	v_lshlrev_b32_e32 v1, 2, v90
	v_or_b32_e32 v2, 12, v89
	s_mul_i32 s4, s7, s15
	s_waitcnt lgkmcnt(0)
	s_add_u32 s6, s10, s0
	v_add3_u32 v0, 0, v0, v1
	v_and_b32_e32 v1, 0x3f0, v89
	v_and_b32_e32 v2, 0x3fc, v2
	s_addc_u32 s7, s11, s1
	s_ashr_i32 s5, s4, 31
	v_add_u32_e32 v1, v0, v1
	v_add_u32_e32 v0, v0, v2
	s_lshl_b64 s[0:1], s[4:5], 2
	s_barrier
	s_movk_i32 s4, 0x308
	ds_write2_b32 v1, a12, a13 offset1:1
	ds_write_b32 v1, a14 offset:8
	ds_write_b32 v0, a15
	ds_write2_b32 v1, a8, a9 offset0:16 offset1:17
	ds_write_b32 v1, a10 offset:72
	ds_write_b32 v0, a11 offset:64
	ds_write2_b32 v1, a4, a5 offset0:32 offset1:33
	ds_write_b32 v1, a6 offset:136
	ds_write_b32 v0, a7 offset:128
	;; [unrolled: 3-line block ×3, first 2 shown]
	v_lshl_add_u32 v1, v89, 2, 0
	v_mad_u32_u24 v8, v88, s4, v1
	s_waitcnt lgkmcnt(0)
	s_barrier
	ds_read2st64_b32 v[2:3], v8 offset1:1
	ds_read_b32 v4, v8 offset:512
	ds_read_b32 v9, v8 offset:2840
	;; [unrolled: 1-line block ×4, first 2 shown]
	s_waitcnt lgkmcnt(4)
	v_add_f32_e32 v2, 0, v2
	v_add_u32_e32 v0, s3, v89
	v_add_f32_e32 v2, v2, v3
	v_add_u32_e32 v6, 24, v8
	s_waitcnt lgkmcnt(3)
	v_add_f32_e32 v12, v2, v4
	v_mad_u64_u32 v[2:3], s[4:5], v88, s2, v[0:1]
	ds_read2st64_b32 v[6:7], v6 offset0:9 offset1:10
	s_add_u32 s0, s6, s0
	v_mov_b32_e32 v3, 0
	s_addc_u32 s1, s7, s1
	v_lshlrev_b64 v[4:5], 2, v[2:3]
	v_mov_b32_e32 v13, s1
	v_add_co_u32_e32 v4, vcc, s0, v4
	v_addc_co_u32_e32 v5, vcc, v13, v5, vcc
	global_store_dword v[4:5], v12, off
	s_waitcnt lgkmcnt(0)
	v_add_f32_e32 v4, 0, v6
	v_add_u32_e32 v6, 48, v8
	v_add_f32_e32 v4, v4, v7
	s_mul_i32 s3, s2, 3
	ds_read2st64_b32 v[6:7], v6 offset0:18 offset1:19
	v_add_u32_e32 v2, s3, v2
	v_add_f32_e32 v9, v4, v9
	v_lshlrev_b64 v[4:5], 2, v[2:3]
	v_mov_b32_e32 v12, s1
	v_add_co_u32_e32 v4, vcc, s0, v4
	v_addc_co_u32_e32 v5, vcc, v12, v5, vcc
	global_store_dword v[4:5], v9, off
	s_waitcnt lgkmcnt(0)
	v_add_f32_e32 v4, 0, v6
	v_add_u32_e32 v6, 0x48, v8
	v_add_f32_e32 v4, v4, v7
	ds_read2st64_b32 v[6:7], v6 offset0:27 offset1:28
	v_add_u32_e32 v2, s3, v2
	v_add_f32_e32 v9, v4, v10
	v_lshlrev_b64 v[4:5], 2, v[2:3]
	v_mov_b32_e32 v10, s1
	v_add_co_u32_e32 v4, vcc, s0, v4
	v_addc_co_u32_e32 v5, vcc, v10, v5, vcc
	global_store_dword v[4:5], v9, off
	s_waitcnt lgkmcnt(0)
	v_add_f32_e32 v4, 0, v6
	v_add_f32_e32 v4, v4, v7
	v_add_u32_e32 v2, s3, v2
	v_add_f32_e32 v6, v4, v11
	v_lshlrev_b64 v[4:5], 2, v[2:3]
	v_mov_b32_e32 v2, s1
	v_add_co_u32_e32 v4, vcc, s0, v4
	v_addc_co_u32_e32 v5, vcc, v2, v5, vcc
	v_cmp_eq_u32_e32 vcc, 0, v88
	global_store_dword v[4:5], v6, off
	s_and_saveexec_b64 s[4:5], vcc
	s_cbranch_execz .LBB107_8
; %bb.7:
	v_add_u32_e32 v2, 0x60, v1
	ds_read2st64_b32 v[4:5], v2 offset0:36 offset1:37
	ds_read_b32 v2, v1 offset:9824
	v_mad_u64_u32 v[0:1], s[2:3], s2, 12, v[0:1]
	v_mov_b32_e32 v1, v3
	s_waitcnt lgkmcnt(1)
	v_add_f32_e32 v3, 0, v4
	v_add_f32_e32 v3, v3, v5
	v_lshlrev_b64 v[0:1], 2, v[0:1]
	s_waitcnt lgkmcnt(0)
	v_add_f32_e32 v2, v3, v2
	v_mov_b32_e32 v3, s1
	v_add_co_u32_e32 v0, vcc, s0, v0
	v_addc_co_u32_e32 v1, vcc, v3, v1, vcc
	global_store_dword v[0:1], v2, off
.LBB107_8:
	s_endpgm
	.section	.rodata,"a",@progbits
	.p2align	6, 0x0
	.amdhsa_kernel _ZL9mul_mat_fI7__half2Li64ELi13ELi3ELb0EEvPKT_PKfPKiPfiiiiiiiiiiiiiiii
		.amdhsa_group_segment_fixed_size 0
		.amdhsa_private_segment_fixed_size 0
		.amdhsa_kernarg_size 96
		.amdhsa_user_sgpr_count 6
		.amdhsa_user_sgpr_private_segment_buffer 1
		.amdhsa_user_sgpr_dispatch_ptr 0
		.amdhsa_user_sgpr_queue_ptr 0
		.amdhsa_user_sgpr_kernarg_segment_ptr 1
		.amdhsa_user_sgpr_dispatch_id 0
		.amdhsa_user_sgpr_flat_scratch_init 0
		.amdhsa_user_sgpr_kernarg_preload_length 0
		.amdhsa_user_sgpr_kernarg_preload_offset 0
		.amdhsa_user_sgpr_private_segment_size 0
		.amdhsa_uses_dynamic_stack 0
		.amdhsa_system_sgpr_private_segment_wavefront_offset 0
		.amdhsa_system_sgpr_workgroup_id_x 1
		.amdhsa_system_sgpr_workgroup_id_y 1
		.amdhsa_system_sgpr_workgroup_id_z 1
		.amdhsa_system_sgpr_workgroup_info 0
		.amdhsa_system_vgpr_workitem_id 1
		.amdhsa_next_free_vgpr 124
		.amdhsa_next_free_sgpr 91
		.amdhsa_accum_offset 100
		.amdhsa_reserve_vcc 1
		.amdhsa_reserve_flat_scratch 0
		.amdhsa_float_round_mode_32 0
		.amdhsa_float_round_mode_16_64 0
		.amdhsa_float_denorm_mode_32 3
		.amdhsa_float_denorm_mode_16_64 3
		.amdhsa_dx10_clamp 1
		.amdhsa_ieee_mode 1
		.amdhsa_fp16_overflow 0
		.amdhsa_tg_split 0
		.amdhsa_exception_fp_ieee_invalid_op 0
		.amdhsa_exception_fp_denorm_src 0
		.amdhsa_exception_fp_ieee_div_zero 0
		.amdhsa_exception_fp_ieee_overflow 0
		.amdhsa_exception_fp_ieee_underflow 0
		.amdhsa_exception_fp_ieee_inexact 0
		.amdhsa_exception_int_div_zero 0
	.end_amdhsa_kernel
	.section	.text._ZL9mul_mat_fI7__half2Li64ELi13ELi3ELb0EEvPKT_PKfPKiPfiiiiiiiiiiiiiiii,"axG",@progbits,_ZL9mul_mat_fI7__half2Li64ELi13ELi3ELb0EEvPKT_PKfPKiPfiiiiiiiiiiiiiiii,comdat
.Lfunc_end107:
	.size	_ZL9mul_mat_fI7__half2Li64ELi13ELi3ELb0EEvPKT_PKfPKiPfiiiiiiiiiiiiiiii, .Lfunc_end107-_ZL9mul_mat_fI7__half2Li64ELi13ELi3ELb0EEvPKT_PKfPKiPfiiiiiiiiiiiiiiii
                                        ; -- End function
	.section	.AMDGPU.csdata,"",@progbits
; Kernel info:
; codeLenInByte = 6236
; NumSgprs: 95
; NumVgprs: 100
; NumAgprs: 24
; TotalNumVgprs: 124
; ScratchSize: 0
; MemoryBound: 0
; FloatMode: 240
; IeeeMode: 1
; LDSByteSize: 0 bytes/workgroup (compile time only)
; SGPRBlocks: 11
; VGPRBlocks: 15
; NumSGPRsForWavesPerEU: 95
; NumVGPRsForWavesPerEU: 124
; AccumOffset: 100
; Occupancy: 4
; WaveLimiterHint : 0
; COMPUTE_PGM_RSRC2:SCRATCH_EN: 0
; COMPUTE_PGM_RSRC2:USER_SGPR: 6
; COMPUTE_PGM_RSRC2:TRAP_HANDLER: 0
; COMPUTE_PGM_RSRC2:TGID_X_EN: 1
; COMPUTE_PGM_RSRC2:TGID_Y_EN: 1
; COMPUTE_PGM_RSRC2:TGID_Z_EN: 1
; COMPUTE_PGM_RSRC2:TIDIG_COMP_CNT: 1
; COMPUTE_PGM_RSRC3_GFX90A:ACCUM_OFFSET: 24
; COMPUTE_PGM_RSRC3_GFX90A:TG_SPLIT: 0
	.section	.text._ZL13mul_mat_f_idsI7__half2Li64ELi13ELi4EEvPKT_PKfPKiS7_S7_Pfiiiiiiiiiiiiii15HIP_vector_typeIjLj3EESA_,"axG",@progbits,_ZL13mul_mat_f_idsI7__half2Li64ELi13ELi4EEvPKT_PKfPKiS7_S7_Pfiiiiiiiiiiiiii15HIP_vector_typeIjLj3EESA_,comdat
	.globl	_ZL13mul_mat_f_idsI7__half2Li64ELi13ELi4EEvPKT_PKfPKiS7_S7_Pfiiiiiiiiiiiiii15HIP_vector_typeIjLj3EESA_ ; -- Begin function _ZL13mul_mat_f_idsI7__half2Li64ELi13ELi4EEvPKT_PKfPKiS7_S7_Pfiiiiiiiiiiiiii15HIP_vector_typeIjLj3EESA_
	.p2align	8
	.type	_ZL13mul_mat_f_idsI7__half2Li64ELi13ELi4EEvPKT_PKfPKiS7_S7_Pfiiiiiiiiiiiiii15HIP_vector_typeIjLj3EESA_,@function
_ZL13mul_mat_f_idsI7__half2Li64ELi13ELi4EEvPKT_PKfPKiS7_S7_Pfiiiiiiiiiiiiii15HIP_vector_typeIjLj3EESA_: ; @_ZL13mul_mat_f_idsI7__half2Li64ELi13ELi4EEvPKT_PKfPKiS7_S7_Pfiiiiiiiiiiiiii15HIP_vector_typeIjLj3EESA_
; %bb.0:
	s_load_dwordx2 s[0:1], s[4:5], 0x20
	s_mov_b32 s34, s7
	s_ashr_i32 s35, s7, 31
	s_lshl_b64 s[2:3], s[34:35], 2
	s_waitcnt lgkmcnt(0)
	s_add_u32 s0, s0, s2
	s_addc_u32 s1, s1, s3
	s_load_dwordx2 s[26:27], s[0:1], 0x0
	s_waitcnt lgkmcnt(0)
	s_sub_i32 s33, s27, s26
	s_add_i32 s0, s33, 12
	s_mul_hi_i32 s0, s0, 0x4ec4ec4f
	s_lshr_b32 s1, s0, 31
	s_ashr_i32 s0, s0, 2
	s_add_i32 s0, s0, s1
	s_cmp_ge_i32 s8, s0
	s_cbranch_scc1 .LBB108_59
; %bb.1:
	v_bfe_u32 v92, v0, 10, 10
	v_lshlrev_b32_e32 v94, 6, v92
	v_and_b32_e32 v93, 0x3ff, v0
	s_load_dwordx4 s[12:15], s[4:5], 0x30
	s_load_dwordx2 s[20:21], s[4:5], 0x40
	s_load_dwordx4 s[0:3], s[4:5], 0x4c
	s_load_dwordx4 s[16:19], s[4:5], 0x68
	s_load_dwordx2 s[24:25], s[4:5], 0x78
	v_add_u32_e32 v96, v94, v93
	s_ashr_i32 s27, s26, 31
	s_waitcnt lgkmcnt(0)
	v_cmp_le_i32_e32 vcc, s12, v96
	v_and_b32_e32 v95, 15, v93
                                        ; implicit-def: $sgpr3
	s_and_saveexec_b64 s[10:11], vcc
	s_xor_b64 s[10:11], exec, s[10:11]
; %bb.2:
	v_and_b32_e32 v95, 15, v93
	s_mov_b32 s3, 0
                                        ; implicit-def: $vgpr96
; %bb.3:
	s_or_saveexec_b64 s[22:23], s[10:11]
	s_load_dwordx2 s[10:11], s[4:5], 0x18
                                        ; implicit-def: $vgpr103 : SGPR spill to VGPR lane
	s_lshl_b32 s7, s6, 6
	s_mul_i32 s6, s8, 13
	v_accvgpr_write_b32 a0, s3
	v_accvgpr_write_b32 a1, s3
	s_waitcnt lgkmcnt(0)
	v_writelane_b32 v103, s10, 0
	v_writelane_b32 v103, s11, 1
	s_load_dwordx2 s[10:11], s[4:5], 0x28
	v_accvgpr_write_b32 a2, s3
	v_accvgpr_write_b32 a3, s3
	;; [unrolled: 1-line block ×4, first 2 shown]
	s_waitcnt lgkmcnt(0)
	v_writelane_b32 v103, s10, 2
	v_writelane_b32 v103, s11, 3
	v_accvgpr_write_b32 a6, s3
	v_accvgpr_write_b32 a7, s3
	;; [unrolled: 1-line block ×10, first 2 shown]
	v_writelane_b32 v103, s22, 4
	v_writelane_b32 v103, s23, 5
	s_xor_b64 exec, exec, s[22:23]
	s_cbranch_execz .LBB108_46
; %bb.4:
	v_writelane_b32 v103, s24, 6
	v_writelane_b32 v103, s25, 7
	s_load_dwordx4 s[8:11], s[4:5], 0x0
	s_load_dwordx2 s[22:23], s[4:5], 0x10
	s_mul_i32 s4, s34, s0
	s_mul_i32 s24, s7, s15
	s_ashr_i32 s5, s4, 31
	s_ashr_i32 s25, s24, 31
	s_lshl_b64 s[24:25], s[24:25], 2
	s_lshl_b64 s[4:5], s[4:5], 2
	s_add_u32 s3, s4, s24
	s_addc_u32 s24, s5, s25
	v_writelane_b32 v103, s7, 8
	s_waitcnt lgkmcnt(0)
	s_add_u32 s0, s3, s8
	s_addc_u32 s25, s24, s9
	v_writelane_b32 v103, s26, 9
	s_lshl_b64 s[4:5], s[26:27], 2
	v_writelane_b32 v103, s27, 10
	s_add_u32 s26, s22, s4
	s_addc_u32 s27, s23, s5
	s_movk_i32 s4, 0x1080
	s_cmp_lt_i32 s6, s33
	v_mad_u32_u24 v0, v92, s4, 0
	s_cselect_b64 s[4:5], -1, 0
	s_ashr_i32 s7, s6, 31
	s_lshl_b64 s[22:23], s[6:7], 2
	s_add_u32 s34, s26, s22
	s_addc_u32 s35, s27, s23
	s_add_i32 s7, s6, 1
	s_cmp_lt_i32 s7, s33
	s_cselect_b64 s[36:37], -1, 0
	s_add_i32 s7, s6, 2
	s_cmp_lt_i32 s7, s33
	s_cselect_b64 s[38:39], -1, 0
	;; [unrolled: 3-line block ×3, first 2 shown]
	s_add_i32 s7, s6, 4
	s_cmp_lt_i32 s7, s33
	v_lshrrev_b32_e32 v3, 1, v93
	s_cselect_b64 s[42:43], -1, 0
	s_add_i32 s7, s6, 5
	v_lshlrev_b32_e32 v1, 2, v93
	v_mul_u32_u24_e32 v2, 0x108, v95
	v_and_b32_e32 v3, 0x1f8, v3
	s_cmp_lt_i32 s7, s33
	v_add_u32_e32 v97, v0, v1
	v_add3_u32 v98, v0, v2, v3
	s_cselect_b64 s[44:45], -1, 0
	s_add_i32 s7, s6, 6
	v_lshlrev_b32_e32 v0, 8, v92
	s_cmp_lt_i32 s7, s33
	v_add_co_u32_e32 v0, vcc, s3, v0
	s_mul_i32 s3, s15, 3
	s_cselect_b64 s[46:47], -1, 0
	s_add_i32 s7, s6, 7
	v_writelane_b32 v103, s3, 11
	s_mul_i32 s3, s15, 5
	s_cmp_lt_i32 s7, s33
	v_writelane_b32 v103, s3, 12
	s_mul_i32 s3, s15, 6
	s_cselect_b64 s[48:49], -1, 0
	s_add_i32 s7, s6, 8
	v_writelane_b32 v103, s3, 13
	s_mul_i32 s3, s15, 7
	s_cmp_lt_i32 s7, s33
	v_writelane_b32 v103, s3, 14
	;; [unrolled: 7-line block ×4, first 2 shown]
	s_mul_i32 s3, s15, 13
	s_cselect_b64 s[54:55], -1, 0
	s_add_i32 s7, s6, 11
	v_writelane_b32 v103, s3, 19
	s_mul_i32 s3, s15, 14
	s_cmp_lt_i32 s7, s33
	v_mov_b32_e32 v2, s24
	v_writelane_b32 v103, s3, 20
	s_mul_i32 s3, s15, 15
	s_cselect_b64 s[56:57], -1, 0
	s_add_i32 s7, s6, 12
	v_addc_co_u32_e32 v2, vcc, 0, v2, vcc
	v_writelane_b32 v103, s3, 21
	s_mul_i32 s3, s15, 17
	s_cmp_lt_i32 s7, s33
	v_add_co_u32_e32 v0, vcc, v0, v1
	v_writelane_b32 v103, s3, 22
	s_mul_i32 s3, s15, 18
	s_cselect_b64 s[58:59], -1, 0
	s_ashr_i32 s23, s15, 31
	s_mov_b32 s22, s15
	v_addc_co_u32_e32 v1, vcc, 0, v2, vcc
	v_writelane_b32 v103, s3, 23
	s_mul_i32 s3, s15, 19
	s_lshl_b64 s[60:61], s[22:23], 2
	v_mov_b32_e32 v2, s9
	v_add_co_u32_e32 v0, vcc, s8, v0
	v_writelane_b32 v103, s3, 24
	s_mul_i32 s3, s15, 20
	v_addc_co_u32_e32 v1, vcc, v2, v1, vcc
	s_lshl_b32 s7, s15, 1
	s_lshl_b32 s63, s15, 2
	;; [unrolled: 1-line block ×4, first 2 shown]
	v_writelane_b32 v103, s3, 25
	s_mul_i32 s80, s15, 21
	s_mul_i32 s81, s15, 22
	;; [unrolled: 1-line block ×9, first 2 shown]
	v_mov_b32_e32 v99, s25
	s_mul_i32 s89, s15, 30
	v_mov_b32_e32 v100, 0
	v_accvgpr_write_b32 a15, 0
	v_accvgpr_write_b32 a14, 0
	;; [unrolled: 1-line block ×16, first 2 shown]
	v_mov_b32_e32 v101, s61
	s_mul_i32 s61, s15, 31
	s_lshl_b32 s90, s15, 5
	s_mul_i32 s91, s15, 33
	s_mul_i32 s92, s15, 34
	;; [unrolled: 1-line block ×31, first 2 shown]
	s_mov_b64 s[8:9], 0
	s_branch .LBB108_6
.LBB108_5:                              ;   in Loop: Header=BB108_6 Depth=1
	s_waitcnt vmcnt(0)
	v_cvt_f16_f32_e32 v66, v66
	v_cvt_f16_f32_e32 v67, v67
	;; [unrolled: 1-line block ×4, first 2 shown]
	v_add_co_u32_e32 v0, vcc, 0x400, v0
	v_pack_b32_f16 v66, v66, v67
	v_cvt_f16_f32_e32 v67, v68
	v_cvt_f16_f32_e32 v68, v69
	;; [unrolled: 1-line block ×4, first 2 shown]
	v_pack_b32_f16 v70, v70, v71
	ds_write2_b32 v97, v66, v70 offset1:66
	v_pack_b32_f16 v66, v67, v68
	v_pack_b32_f16 v67, v69, v74
	v_cvt_f16_f32_e32 v68, v72
	v_cvt_f16_f32_e32 v69, v73
	ds_write2_b32 v97, v66, v67 offset0:132 offset1:198
	v_cvt_f16_f32_e32 v66, v78
	v_cvt_f16_f32_e32 v67, v79
	v_pack_b32_f16 v68, v68, v69
	v_cvt_f16_f32_e32 v69, v76
	v_cvt_f16_f32_e32 v70, v77
	v_pack_b32_f16 v66, v66, v67
	v_add_u32_e32 v67, 0x400, v97
	ds_write2_b32 v67, v68, v66 offset0:8 offset1:74
	v_pack_b32_f16 v66, v69, v70
	v_cvt_f16_f32_e32 v68, v82
	v_cvt_f16_f32_e32 v69, v83
	;; [unrolled: 1-line block ×6, first 2 shown]
	v_pack_b32_f16 v68, v68, v69
	ds_write2_b32 v67, v66, v68 offset0:140 offset1:206
	v_pack_b32_f16 v66, v70, v71
	v_pack_b32_f16 v67, v72, v73
	v_add_u32_e32 v68, 0x800, v97
	ds_write2_b32 v68, v66, v67 offset0:16 offset1:82
	v_cvt_f16_f32_e32 v66, v84
	v_cvt_f16_f32_e32 v67, v85
	;; [unrolled: 1-line block ×6, first 2 shown]
	v_pack_b32_f16 v66, v66, v67
	v_pack_b32_f16 v67, v69, v70
	ds_write2_b32 v68, v66, v67 offset0:148 offset1:214
	v_pack_b32_f16 v66, v71, v72
	v_add_u32_e32 v67, 0xc00, v97
	ds_write2_b32 v67, v66, v100 offset0:24 offset1:90
	ds_write2_b32 v67, v100, v100 offset0:156 offset1:222
	ds_read2_b64 v[66:69], v98 offset1:4
	s_waitcnt lgkmcnt(0)
	v_mfma_f32_16x16x16f16 a[0:3], v[16:17], v[66:67], a[0:3]
	v_add_u32_e32 v96, 0x100, v96
	v_addc_co_u32_e32 v1, vcc, 0, v1, vcc
	v_cmp_le_i32_e32 vcc, s12, v96
	s_or_b64 s[8:9], vcc, s[8:9]
	v_mfma_f32_16x16x16f16 a[4:7], v[34:35], v[66:67], a[4:7]
	v_mfma_f32_16x16x16f16 a[8:11], v[48:49], v[66:67], a[8:11]
	;; [unrolled: 1-line block ×4, first 2 shown]
	ds_read2_b64 v[14:17], v98 offset0:8 offset1:12
	v_mfma_f32_16x16x16f16 a[4:7], v[30:31], v[68:69], a[4:7]
	v_mfma_f32_16x16x16f16 a[8:11], v[46:47], v[68:69], a[8:11]
	;; [unrolled: 1-line block ×3, first 2 shown]
	s_waitcnt lgkmcnt(0)
	v_mfma_f32_16x16x16f16 a[0:3], v[10:11], v[14:15], a[0:3]
	v_mfma_f32_16x16x16f16 a[4:7], v[28:29], v[14:15], a[4:7]
	;; [unrolled: 1-line block ×8, first 2 shown]
	ds_read2_b64 v[14:17], v98 offset0:16 offset1:20
	s_waitcnt lgkmcnt(0)
	v_mfma_f32_16x16x16f16 a[0:3], v[12:13], v[14:15], a[0:3]
	v_mfma_f32_16x16x16f16 a[4:7], v[24:25], v[14:15], a[4:7]
	;; [unrolled: 1-line block ×5, first 2 shown]
	ds_read2_b64 v[6:9], v98 offset0:24 offset1:28
	v_mfma_f32_16x16x16f16 a[4:7], v[22:23], v[16:17], a[4:7]
	v_mfma_f32_16x16x16f16 a[8:11], v[38:39], v[16:17], a[8:11]
	;; [unrolled: 1-line block ×3, first 2 shown]
	s_waitcnt lgkmcnt(0)
	v_mfma_f32_16x16x16f16 a[0:3], v[4:5], v[6:7], a[0:3]
	v_mfma_f32_16x16x16f16 a[4:7], v[20:21], v[6:7], a[4:7]
	;; [unrolled: 1-line block ×8, first 2 shown]
	s_andn2_b64 exec, exec, s[8:9]
	s_cbranch_execz .LBB108_45
.LBB108_6:                              ; =>This Inner Loop Header: Depth=1
	v_add_co_u32_e32 v2, vcc, s60, v0
	v_addc_co_u32_e32 v3, vcc, v1, v101, vcc
	global_load_dword v18, v[0:1], off
	global_load_dword v19, v[2:3], off
	v_add_u32_e32 v2, s7, v96
	v_ashrrev_i32_e32 v3, 31, v2
	v_readlane_b32 s79, v103, 11
	v_lshlrev_b64 v[2:3], 2, v[2:3]
	v_add_u32_e32 v4, s79, v96
	v_add_co_u32_e32 v2, vcc, s0, v2
	v_ashrrev_i32_e32 v5, 31, v4
	v_addc_co_u32_e32 v3, vcc, v99, v3, vcc
	v_lshlrev_b64 v[4:5], 2, v[4:5]
	v_add_u32_e32 v6, s63, v96
	v_add_co_u32_e32 v4, vcc, s0, v4
	v_ashrrev_i32_e32 v7, 31, v6
	v_readlane_b32 s79, v103, 12
	v_addc_co_u32_e32 v5, vcc, v99, v5, vcc
	v_lshlrev_b64 v[6:7], 2, v[6:7]
	v_add_u32_e32 v8, s79, v96
	v_add_co_u32_e32 v6, vcc, s0, v6
	v_ashrrev_i32_e32 v9, 31, v8
	v_readlane_b32 s79, v103, 13
	;; [unrolled: 6-line block ×3, first 2 shown]
	v_addc_co_u32_e32 v9, vcc, v99, v9, vcc
	v_lshlrev_b64 v[10:11], 2, v[10:11]
	v_add_u32_e32 v12, s79, v96
	v_add_co_u32_e32 v10, vcc, s0, v10
	v_ashrrev_i32_e32 v13, 31, v12
	v_addc_co_u32_e32 v11, vcc, v99, v11, vcc
	v_lshlrev_b64 v[12:13], 2, v[12:13]
	v_add_u32_e32 v14, s67, v96
	v_add_co_u32_e32 v12, vcc, s0, v12
	v_ashrrev_i32_e32 v15, 31, v14
	v_readlane_b32 s79, v103, 15
	v_addc_co_u32_e32 v13, vcc, v99, v13, vcc
	v_lshlrev_b64 v[14:15], 2, v[14:15]
	v_add_u32_e32 v16, s79, v96
	v_add_co_u32_e32 v14, vcc, s0, v14
	v_ashrrev_i32_e32 v17, 31, v16
	v_addc_co_u32_e32 v15, vcc, v99, v15, vcc
	v_lshlrev_b64 v[16:17], 2, v[16:17]
	v_add_co_u32_e32 v16, vcc, s0, v16
	v_readlane_b32 s79, v103, 16
	v_addc_co_u32_e32 v17, vcc, v99, v17, vcc
	global_load_dword v20, v[2:3], off
	global_load_dword v21, v[4:5], off
	;; [unrolled: 1-line block ×6, first 2 shown]
	s_nop 0
	global_load_dword v14, v[14:15], off
	s_nop 0
	global_load_dword v15, v[16:17], off
	v_add_u32_e32 v2, s79, v96
	v_ashrrev_i32_e32 v3, 31, v2
	v_readlane_b32 s79, v103, 17
	v_lshlrev_b64 v[2:3], 2, v[2:3]
	v_add_u32_e32 v4, s79, v96
	v_add_co_u32_e32 v2, vcc, s0, v2
	v_ashrrev_i32_e32 v5, 31, v4
	v_readlane_b32 s79, v103, 18
	v_addc_co_u32_e32 v3, vcc, v99, v3, vcc
	v_lshlrev_b64 v[4:5], 2, v[4:5]
	v_add_u32_e32 v6, s79, v96
	v_add_co_u32_e32 v4, vcc, s0, v4
	v_ashrrev_i32_e32 v7, 31, v6
	v_readlane_b32 s79, v103, 19
	v_addc_co_u32_e32 v5, vcc, v99, v5, vcc
	;; [unrolled: 6-line block ×4, first 2 shown]
	v_lshlrev_b64 v[10:11], 2, v[10:11]
	v_add_u32_e32 v12, s79, v96
	v_add_co_u32_e32 v10, vcc, s0, v10
	v_ashrrev_i32_e32 v13, 31, v12
	v_addc_co_u32_e32 v11, vcc, v99, v11, vcc
	v_lshlrev_b64 v[12:13], 2, v[12:13]
	v_add_co_u32_e32 v12, vcc, s0, v12
	v_addc_co_u32_e32 v13, vcc, v99, v13, vcc
	global_load_dword v16, v[2:3], off
	global_load_dword v17, v[4:5], off
	s_nop 0
	global_load_dword v6, v[6:7], off
	s_nop 0
	;; [unrolled: 2-line block ×3, first 2 shown]
	global_load_dword v8, v[10:11], off
	global_load_dword v9, v[12:13], off
	v_add_u32_e32 v2, s75, v96
	v_ashrrev_i32_e32 v3, 31, v2
	v_readlane_b32 s79, v103, 22
	v_lshlrev_b64 v[2:3], 2, v[2:3]
	v_add_u32_e32 v4, s79, v96
	v_add_co_u32_e32 v2, vcc, s0, v2
	v_ashrrev_i32_e32 v5, 31, v4
	v_addc_co_u32_e32 v3, vcc, v99, v3, vcc
	v_lshlrev_b64 v[4:5], 2, v[4:5]
	s_waitcnt vmcnt(15)
	ds_write_b32 v97, v18
	s_waitcnt vmcnt(14)
	ds_write_b32 v97, v19 offset:264
	s_waitcnt vmcnt(13)
	ds_write_b32 v97, v20 offset:528
	;; [unrolled: 2-line block ×9, first 2 shown]
	v_add_co_u32_e32 v4, vcc, s0, v4
	v_readlane_b32 s79, v103, 23
	v_addc_co_u32_e32 v5, vcc, v99, v5, vcc
	global_load_dword v18, v[2:3], off
	global_load_dword v19, v[4:5], off
	v_add_u32_e32 v2, s79, v96
	v_ashrrev_i32_e32 v3, 31, v2
	v_readlane_b32 s79, v103, 24
	v_lshlrev_b64 v[2:3], 2, v[2:3]
	v_add_u32_e32 v4, s79, v96
	v_add_co_u32_e32 v2, vcc, s0, v2
	v_ashrrev_i32_e32 v5, 31, v4
	v_readlane_b32 s79, v103, 25
	s_waitcnt vmcnt(7)
	ds_write_b32 v97, v16 offset:2640
	s_waitcnt vmcnt(6)
	ds_write_b32 v97, v17 offset:2904
	;; [unrolled: 2-line block ×6, first 2 shown]
	v_addc_co_u32_e32 v3, vcc, v99, v3, vcc
	v_lshlrev_b64 v[4:5], 2, v[4:5]
	v_add_u32_e32 v6, s79, v96
	v_add_co_u32_e32 v4, vcc, s0, v4
	v_ashrrev_i32_e32 v7, 31, v6
	v_addc_co_u32_e32 v5, vcc, v99, v5, vcc
	v_lshlrev_b64 v[6:7], 2, v[6:7]
	v_add_u32_e32 v8, s80, v96
	v_add_co_u32_e32 v6, vcc, s0, v6
	v_ashrrev_i32_e32 v9, 31, v8
	v_addc_co_u32_e32 v7, vcc, v99, v7, vcc
	v_lshlrev_b64 v[8:9], 2, v[8:9]
	v_add_u32_e32 v10, s81, v96
	v_add_co_u32_e32 v8, vcc, s0, v8
	v_ashrrev_i32_e32 v11, 31, v10
	v_addc_co_u32_e32 v9, vcc, v99, v9, vcc
	v_lshlrev_b64 v[10:11], 2, v[10:11]
	v_add_u32_e32 v12, s82, v96
	v_add_co_u32_e32 v10, vcc, s0, v10
	v_ashrrev_i32_e32 v13, 31, v12
	v_addc_co_u32_e32 v11, vcc, v99, v11, vcc
	v_lshlrev_b64 v[12:13], 2, v[12:13]
	v_add_u32_e32 v14, s83, v96
	v_add_co_u32_e32 v12, vcc, s0, v12
	v_ashrrev_i32_e32 v15, 31, v14
	v_addc_co_u32_e32 v13, vcc, v99, v13, vcc
	v_lshlrev_b64 v[14:15], 2, v[14:15]
	v_add_u32_e32 v16, s84, v96
	v_add_co_u32_e32 v14, vcc, s0, v14
	v_ashrrev_i32_e32 v17, 31, v16
	v_addc_co_u32_e32 v15, vcc, v99, v15, vcc
	v_lshlrev_b64 v[16:17], 2, v[16:17]
	v_add_co_u32_e32 v16, vcc, s0, v16
	v_addc_co_u32_e32 v17, vcc, v99, v17, vcc
	global_load_dword v24, v[2:3], off
	global_load_dword v25, v[4:5], off
	global_load_dword v26, v[6:7], off
	global_load_dword v27, v[8:9], off
	global_load_dword v28, v[10:11], off
	global_load_dword v29, v[12:13], off
	global_load_dword v30, v[14:15], off
	global_load_dword v31, v[16:17], off
	v_add_u32_e32 v2, s85, v96
	v_ashrrev_i32_e32 v3, 31, v2
	v_lshlrev_b64 v[2:3], 2, v[2:3]
	v_add_u32_e32 v4, s86, v96
	v_add_co_u32_e32 v2, vcc, s0, v2
	v_ashrrev_i32_e32 v5, 31, v4
	v_addc_co_u32_e32 v3, vcc, v99, v3, vcc
	v_lshlrev_b64 v[4:5], 2, v[4:5]
	v_add_u32_e32 v6, s87, v96
	v_add_co_u32_e32 v4, vcc, s0, v4
	v_ashrrev_i32_e32 v7, 31, v6
	v_addc_co_u32_e32 v5, vcc, v99, v5, vcc
	v_lshlrev_b64 v[6:7], 2, v[6:7]
	v_add_u32_e32 v8, s88, v96
	v_add_co_u32_e32 v6, vcc, s0, v6
	v_ashrrev_i32_e32 v9, 31, v8
	v_addc_co_u32_e32 v7, vcc, v99, v7, vcc
	v_lshlrev_b64 v[8:9], 2, v[8:9]
	v_add_u32_e32 v10, s89, v96
	v_add_co_u32_e32 v8, vcc, s0, v8
	v_ashrrev_i32_e32 v11, 31, v10
	v_addc_co_u32_e32 v9, vcc, v99, v9, vcc
	v_lshlrev_b64 v[10:11], 2, v[10:11]
	v_add_u32_e32 v12, s61, v96
	v_add_co_u32_e32 v10, vcc, s0, v10
	v_ashrrev_i32_e32 v13, 31, v12
	v_addc_co_u32_e32 v11, vcc, v99, v11, vcc
	v_lshlrev_b64 v[12:13], 2, v[12:13]
	v_add_u32_e32 v14, s90, v96
	v_add_co_u32_e32 v12, vcc, s0, v12
	v_ashrrev_i32_e32 v15, 31, v14
	v_addc_co_u32_e32 v13, vcc, v99, v13, vcc
	v_lshlrev_b64 v[14:15], 2, v[14:15]
	v_add_u32_e32 v16, s91, v96
	v_add_co_u32_e32 v14, vcc, s0, v14
	v_ashrrev_i32_e32 v17, 31, v16
	v_addc_co_u32_e32 v15, vcc, v99, v15, vcc
	v_lshlrev_b64 v[16:17], 2, v[16:17]
	v_add_co_u32_e32 v16, vcc, s0, v16
	v_addc_co_u32_e32 v17, vcc, v99, v17, vcc
	global_load_dword v32, v[2:3], off
	global_load_dword v33, v[4:5], off
	global_load_dword v34, v[6:7], off
	global_load_dword v35, v[8:9], off
	global_load_dword v36, v[10:11], off
	global_load_dword v37, v[12:13], off
	global_load_dword v38, v[14:15], off
	global_load_dword v39, v[16:17], off
	v_add_u32_e32 v2, s92, v96
	v_ashrrev_i32_e32 v3, 31, v2
	v_lshlrev_b64 v[2:3], 2, v[2:3]
	v_add_u32_e32 v4, s93, v96
	v_add_co_u32_e32 v2, vcc, s0, v2
	v_ashrrev_i32_e32 v5, 31, v4
	;; [unrolled: 48-line block ×5, first 2 shown]
	v_addc_co_u32_e32 v3, vcc, v99, v3, vcc
	v_lshlrev_b64 v[4:5], 2, v[4:5]
	v_add_u32_e32 v6, s76, v96
	v_add_co_u32_e32 v4, vcc, s0, v4
	v_ashrrev_i32_e32 v7, 31, v6
	v_addc_co_u32_e32 v5, vcc, v99, v5, vcc
	v_lshlrev_b64 v[6:7], 2, v[6:7]
	v_add_co_u32_e32 v8, vcc, s0, v6
	v_add_u32_e32 v6, s77, v96
	v_addc_co_u32_e32 v9, vcc, v99, v7, vcc
	v_ashrrev_i32_e32 v7, 31, v6
	v_lshlrev_b64 v[6:7], 2, v[6:7]
	v_add_co_u32_e32 v12, vcc, s0, v6
	v_add_u32_e32 v6, s78, v96
	v_addc_co_u32_e32 v13, vcc, v99, v7, vcc
	v_ashrrev_i32_e32 v7, 31, v6
	;; [unrolled: 5-line block ×3, first 2 shown]
	v_lshlrev_b64 v[6:7], 2, v[6:7]
	v_add_co_u32_e32 v22, vcc, s0, v6
	v_addc_co_u32_e32 v23, vcc, v99, v7, vcc
	ds_read_b64 v[16:17], v98
	ds_read_b64 v[14:15], v98 offset:32
	ds_read_b64 v[10:11], v98 offset:64
	;; [unrolled: 1-line block ×3, first 2 shown]
	global_load_dword v64, v[2:3], off
	global_load_dword v65, v[4:5], off
	;; [unrolled: 1-line block ×6, first 2 shown]
	ds_read_b64 v[12:13], v98 offset:128
	ds_read_b64 v[8:9], v98 offset:160
	ds_read_b64 v[4:5], v98 offset:192
	ds_read_b64 v[2:3], v98 offset:224
	s_waitcnt vmcnt(47)
	ds_write_b32 v97, v18
	s_waitcnt vmcnt(46)
	ds_write_b32 v97, v19 offset:264
	s_waitcnt vmcnt(45)
	ds_write_b32 v97, v24 offset:528
	s_waitcnt vmcnt(44)
	ds_write_b32 v97, v25 offset:792
	s_waitcnt vmcnt(43)
	ds_write_b32 v97, v26 offset:1056
	s_waitcnt vmcnt(42)
	ds_write_b32 v97, v27 offset:1320
	s_waitcnt vmcnt(41)
	ds_write_b32 v97, v28 offset:1584
	s_waitcnt vmcnt(40)
	ds_write_b32 v97, v29 offset:1848
	s_waitcnt vmcnt(39)
	ds_write_b32 v97, v30 offset:2112
	s_waitcnt vmcnt(38)
	ds_write_b32 v97, v31 offset:2376
	s_waitcnt vmcnt(37)
	ds_write_b32 v97, v32 offset:2640
	s_waitcnt vmcnt(36)
	ds_write_b32 v97, v33 offset:2904
	s_waitcnt vmcnt(35)
	ds_write_b32 v97, v34 offset:3168
	s_waitcnt vmcnt(34)
	ds_write_b32 v97, v35 offset:3432
	s_waitcnt vmcnt(33)
	ds_write_b32 v97, v36 offset:3696
	s_waitcnt vmcnt(32)
	ds_write_b32 v97, v37 offset:3960
	ds_read_b64 v[34:35], v98
	ds_read_b64 v[30:31], v98 offset:32
	ds_read_b64 v[28:29], v98 offset:64
	ds_read_b64 v[26:27], v98 offset:96
	ds_read_b64 v[24:25], v98 offset:128
	ds_read_b64 v[22:23], v98 offset:160
	ds_read_b64 v[20:21], v98 offset:192
	ds_read_b64 v[18:19], v98 offset:224
	s_waitcnt vmcnt(31)
	ds_write_b32 v97, v38
	s_waitcnt vmcnt(30)
	ds_write_b32 v97, v39 offset:264
	s_waitcnt vmcnt(29)
	ds_write_b32 v97, v40 offset:528
	s_waitcnt vmcnt(28)
	ds_write_b32 v97, v41 offset:792
	s_waitcnt vmcnt(27)
	ds_write_b32 v97, v42 offset:1056
	s_waitcnt vmcnt(26)
	ds_write_b32 v97, v43 offset:1320
	s_waitcnt vmcnt(25)
	ds_write_b32 v97, v44 offset:1584
	s_waitcnt vmcnt(24)
	ds_write_b32 v97, v45 offset:1848
	s_waitcnt vmcnt(23)
	ds_write_b32 v97, v46 offset:2112
	s_waitcnt vmcnt(22)
	ds_write_b32 v97, v47 offset:2376
	s_waitcnt vmcnt(21)
	ds_write_b32 v97, v48 offset:2640
	s_waitcnt vmcnt(20)
	ds_write_b32 v97, v49 offset:2904
	s_waitcnt vmcnt(19)
	ds_write_b32 v97, v50 offset:3168
	s_waitcnt vmcnt(18)
	ds_write_b32 v97, v51 offset:3432
	s_waitcnt vmcnt(17)
	ds_write_b32 v97, v52 offset:3696
	s_waitcnt vmcnt(16)
	ds_write_b32 v97, v53 offset:3960
	ds_read_b64 v[48:49], v98
	ds_read_b64 v[46:47], v98 offset:32
	ds_read_b64 v[44:45], v98 offset:64
	ds_read_b64 v[42:43], v98 offset:96
	ds_read_b64 v[40:41], v98 offset:128
	ds_read_b64 v[38:39], v98 offset:160
	ds_read_b64 v[36:37], v98 offset:192
	ds_read_b64 v[32:33], v98 offset:224
	s_waitcnt vmcnt(15)
	ds_write_b32 v97, v54
	s_waitcnt vmcnt(14)
	ds_write_b32 v97, v55 offset:264
	s_waitcnt vmcnt(13)
	ds_write_b32 v97, v56 offset:528
	s_waitcnt vmcnt(12)
	ds_write_b32 v97, v57 offset:792
	s_waitcnt vmcnt(11)
	ds_write_b32 v97, v58 offset:1056
	s_waitcnt vmcnt(10)
	ds_write_b32 v97, v59 offset:1320
	s_waitcnt vmcnt(9)
	ds_write_b32 v97, v60 offset:1584
	s_waitcnt vmcnt(8)
	ds_write_b32 v97, v61 offset:1848
	s_waitcnt vmcnt(7)
	ds_write_b32 v97, v62 offset:2112
	s_waitcnt vmcnt(6)
	ds_write_b32 v97, v63 offset:2376
	s_waitcnt vmcnt(5)
	ds_write_b32 v97, v64 offset:2640
	s_waitcnt vmcnt(4)
	ds_write_b32 v97, v65 offset:2904
	s_waitcnt vmcnt(3)
	ds_write_b32 v97, v66 offset:3168
	s_waitcnt vmcnt(2)
	ds_write_b32 v97, v67 offset:3432
	s_waitcnt vmcnt(1)
	ds_write_b32 v97, v68 offset:3696
	s_waitcnt vmcnt(0)
	ds_write_b32 v97, v69 offset:3960
	ds_read_b64 v[64:65], v98
	ds_read_b64 v[62:63], v98 offset:32
	ds_read_b64 v[58:59], v98 offset:64
	ds_read_b64 v[54:55], v98 offset:96
	ds_read_b64 v[60:61], v98 offset:128
	ds_read_b64 v[56:57], v98 offset:160
	ds_read_b64 v[52:53], v98 offset:192
	ds_read_b64 v[50:51], v98 offset:224
	s_andn2_b64 vcc, exec, s[4:5]
	v_mov_b32_e32 v66, 0
	v_mov_b32_e32 v67, 0
	s_cbranch_vccnz .LBB108_9
; %bb.7:                                ;   in Loop: Header=BB108_6 Depth=1
	s_load_dword vcc_lo, s[34:35], 0x0
	v_mov_b32_e32 v67, 0
	v_mov_b32_e32 v66, 0
	s_waitcnt lgkmcnt(0)
	s_mul_hi_u32 vcc_hi, vcc_lo, s16
	s_add_i32 vcc_hi, vcc_lo, vcc_hi
	s_lshr_b32 s79, vcc_hi, s17
	s_cmp_ge_i32 s79, s13
	s_cbranch_scc1 .LBB108_9
; %bb.8:                                ;   in Loop: Header=BB108_6 Depth=1
	s_mul_i32 vcc_hi, s79, s18
	s_sub_i32 vcc_lo, vcc_lo, vcc_hi
	s_mul_i32 s79, s79, s20
	s_mul_i32 vcc_lo, vcc_lo, s1
	v_add_u32_e32 v66, s79, v96
	v_lshl_add_u32 v66, v66, 1, vcc_lo
	v_ashrrev_i32_e32 v67, 31, v66
	v_lshlrev_b64 v[66:67], 2, v[66:67]
	v_mov_b32_e32 v68, s11
	v_add_co_u32_e32 v66, vcc, s10, v66
	v_addc_co_u32_e32 v67, vcc, v68, v67, vcc
	global_load_dwordx2 v[66:67], v[66:67], off
.LBB108_9:                              ;   in Loop: Header=BB108_6 Depth=1
	s_andn2_b64 vcc, exec, s[36:37]
	v_mov_b32_e32 v68, 0
	v_mov_b32_e32 v70, 0
	v_mov_b32_e32 v71, 0
	s_cbranch_vccnz .LBB108_12
; %bb.10:                               ;   in Loop: Header=BB108_6 Depth=1
	s_load_dword vcc_lo, s[34:35], 0x4
	v_mov_b32_e32 v71, 0
	v_mov_b32_e32 v70, 0
	s_waitcnt lgkmcnt(0)
	s_mul_hi_u32 s79, vcc_lo, s16
	s_add_i32 s79, vcc_lo, s79
	s_lshr_b32 vcc_hi, s79, s17
	s_cmp_ge_i32 vcc_hi, s13
	s_cbranch_scc1 .LBB108_12
; %bb.11:                               ;   in Loop: Header=BB108_6 Depth=1
	s_mul_i32 s79, vcc_hi, s18
	s_sub_i32 s79, vcc_lo, s79
	s_mul_i32 vcc_hi, vcc_hi, s20
	s_mul_i32 s79, s79, s1
	v_add_u32_e32 v69, vcc_hi, v96
	v_lshl_add_u32 v70, v69, 1, s79
	v_ashrrev_i32_e32 v71, 31, v70
	v_lshlrev_b64 v[70:71], 2, v[70:71]
	v_mov_b32_e32 v69, s11
	v_add_co_u32_e32 v70, vcc, s10, v70
	v_addc_co_u32_e32 v71, vcc, v69, v71, vcc
	global_load_dwordx2 v[70:71], v[70:71], off
.LBB108_12:                             ;   in Loop: Header=BB108_6 Depth=1
	s_andn2_b64 vcc, exec, s[38:39]
	v_mov_b32_e32 v69, 0
	s_cbranch_vccnz .LBB108_15
; %bb.13:                               ;   in Loop: Header=BB108_6 Depth=1
	s_load_dword vcc_lo, s[34:35], 0x8
	v_mov_b32_e32 v69, 0
	v_mov_b32_e32 v68, 0
	s_waitcnt lgkmcnt(0)
	s_mul_hi_u32 s79, vcc_lo, s16
	s_add_i32 s79, vcc_lo, s79
	s_lshr_b32 vcc_hi, s79, s17
	s_cmp_ge_i32 vcc_hi, s13
	s_cbranch_scc1 .LBB108_15
; %bb.14:                               ;   in Loop: Header=BB108_6 Depth=1
	s_mul_i32 s79, vcc_hi, s18
	s_sub_i32 s79, vcc_lo, s79
	s_mul_i32 vcc_hi, vcc_hi, s20
	s_mul_i32 s79, s79, s1
	v_add_u32_e32 v68, vcc_hi, v96
	v_lshl_add_u32 v68, v68, 1, s79
	v_ashrrev_i32_e32 v69, 31, v68
	v_lshlrev_b64 v[68:69], 2, v[68:69]
	v_mov_b32_e32 v72, s11
	v_add_co_u32_e32 v68, vcc, s10, v68
	v_addc_co_u32_e32 v69, vcc, v72, v69, vcc
	global_load_dwordx2 v[68:69], v[68:69], off
.LBB108_15:                             ;   in Loop: Header=BB108_6 Depth=1
	s_andn2_b64 vcc, exec, s[40:41]
	v_mov_b32_e32 v72, 0
	v_mov_b32_e32 v74, 0
	v_mov_b32_e32 v75, 0
	s_cbranch_vccnz .LBB108_18
; %bb.16:                               ;   in Loop: Header=BB108_6 Depth=1
	s_load_dword vcc_lo, s[34:35], 0xc
	v_mov_b32_e32 v75, 0
	v_mov_b32_e32 v74, 0
	s_waitcnt lgkmcnt(0)
	s_mul_hi_u32 s79, vcc_lo, s16
	s_add_i32 s79, vcc_lo, s79
	s_lshr_b32 vcc_hi, s79, s17
	s_cmp_ge_i32 vcc_hi, s13
	s_cbranch_scc1 .LBB108_18
; %bb.17:                               ;   in Loop: Header=BB108_6 Depth=1
	s_mul_i32 s79, vcc_hi, s18
	s_sub_i32 s79, vcc_lo, s79
	s_mul_i32 vcc_hi, vcc_hi, s20
	s_mul_i32 s79, s79, s1
	v_add_u32_e32 v73, vcc_hi, v96
	v_lshl_add_u32 v74, v73, 1, s79
	v_ashrrev_i32_e32 v75, 31, v74
	v_lshlrev_b64 v[74:75], 2, v[74:75]
	v_mov_b32_e32 v73, s11
	v_add_co_u32_e32 v74, vcc, s10, v74
	v_addc_co_u32_e32 v75, vcc, v73, v75, vcc
	global_load_dwordx2 v[74:75], v[74:75], off
.LBB108_18:                             ;   in Loop: Header=BB108_6 Depth=1
	s_andn2_b64 vcc, exec, s[42:43]
	v_mov_b32_e32 v73, 0
	s_cbranch_vccnz .LBB108_21
; %bb.19:                               ;   in Loop: Header=BB108_6 Depth=1
	s_load_dword vcc_lo, s[34:35], 0x10
	v_mov_b32_e32 v73, 0
	v_mov_b32_e32 v72, 0
	s_waitcnt lgkmcnt(0)
	s_mul_hi_u32 s79, vcc_lo, s16
	s_add_i32 s79, vcc_lo, s79
	s_lshr_b32 vcc_hi, s79, s17
	s_cmp_ge_i32 vcc_hi, s13
	s_cbranch_scc1 .LBB108_21
; %bb.20:                               ;   in Loop: Header=BB108_6 Depth=1
	s_mul_i32 s79, vcc_hi, s18
	s_sub_i32 s79, vcc_lo, s79
	s_mul_i32 vcc_hi, vcc_hi, s20
	s_mul_i32 s79, s79, s1
	v_add_u32_e32 v72, vcc_hi, v96
	v_lshl_add_u32 v72, v72, 1, s79
	v_ashrrev_i32_e32 v73, 31, v72
	v_lshlrev_b64 v[72:73], 2, v[72:73]
	v_mov_b32_e32 v76, s11
	v_add_co_u32_e32 v72, vcc, s10, v72
	v_addc_co_u32_e32 v73, vcc, v76, v73, vcc
	global_load_dwordx2 v[72:73], v[72:73], off
.LBB108_21:                             ;   in Loop: Header=BB108_6 Depth=1
	;; [unrolled: 56-line block ×5, first 2 shown]
	s_andn2_b64 vcc, exec, s[56:57]
	v_mov_b32_e32 v88, 0
	v_mov_b32_e32 v90, 0
	;; [unrolled: 1-line block ×3, first 2 shown]
	s_cbranch_vccnz .LBB108_42
; %bb.40:                               ;   in Loop: Header=BB108_6 Depth=1
	s_load_dword vcc_lo, s[34:35], 0x2c
	v_mov_b32_e32 v91, 0
	v_mov_b32_e32 v90, 0
	s_waitcnt lgkmcnt(0)
	s_mul_hi_u32 s79, vcc_lo, s16
	s_add_i32 s79, vcc_lo, s79
	s_lshr_b32 vcc_hi, s79, s17
	s_cmp_ge_i32 vcc_hi, s13
	s_cbranch_scc1 .LBB108_42
; %bb.41:                               ;   in Loop: Header=BB108_6 Depth=1
	s_mul_i32 s79, vcc_hi, s18
	s_sub_i32 s79, vcc_lo, s79
	s_mul_i32 vcc_hi, vcc_hi, s20
	s_mul_i32 s79, s79, s1
	v_add_u32_e32 v89, vcc_hi, v96
	v_lshl_add_u32 v90, v89, 1, s79
	v_ashrrev_i32_e32 v91, 31, v90
	v_lshlrev_b64 v[90:91], 2, v[90:91]
	v_mov_b32_e32 v89, s11
	v_add_co_u32_e32 v90, vcc, s10, v90
	v_addc_co_u32_e32 v91, vcc, v89, v91, vcc
	global_load_dwordx2 v[90:91], v[90:91], off
.LBB108_42:                             ;   in Loop: Header=BB108_6 Depth=1
	s_andn2_b64 vcc, exec, s[58:59]
	v_mov_b32_e32 v89, 0
	s_cbranch_vccnz .LBB108_5
; %bb.43:                               ;   in Loop: Header=BB108_6 Depth=1
	s_load_dword vcc_lo, s[34:35], 0x30
	v_mov_b32_e32 v89, 0
	v_mov_b32_e32 v88, 0
	s_waitcnt lgkmcnt(0)
	s_mul_hi_u32 s79, vcc_lo, s16
	s_add_i32 s79, vcc_lo, s79
	s_lshr_b32 vcc_hi, s79, s17
	s_cmp_ge_i32 vcc_hi, s13
	s_cbranch_scc1 .LBB108_5
; %bb.44:                               ;   in Loop: Header=BB108_6 Depth=1
	s_mul_i32 s79, vcc_hi, s18
	s_sub_i32 s79, vcc_lo, s79
	s_mul_i32 vcc_hi, vcc_hi, s20
	s_mul_i32 s79, s79, s1
	v_add_u32_e32 v88, vcc_hi, v96
	v_lshl_add_u32 v88, v88, 1, s79
	v_ashrrev_i32_e32 v89, 31, v88
	v_lshlrev_b64 v[88:89], 2, v[88:89]
	v_mov_b32_e32 v102, s11
	v_add_co_u32_e32 v88, vcc, s10, v88
	v_addc_co_u32_e32 v89, vcc, v102, v89, vcc
	global_load_dwordx2 v[88:89], v[88:89], off
	s_branch .LBB108_5
.LBB108_45:
	s_or_b64 exec, exec, s[8:9]
	v_readlane_b32 s24, v103, 6
	v_readlane_b32 s26, v103, 9
	;; [unrolled: 1-line block ×5, first 2 shown]
.LBB108_46:
	v_readlane_b32 s0, v103, 4
	v_readlane_b32 s1, v103, 5
	s_or_b64 exec, exec, s[0:1]
	s_lshl_b64 s[0:1], s[26:27], 2
	v_readlane_b32 s4, v103, 0
	v_mul_u32_u24_e32 v0, 0x408, v95
	v_lshlrev_b32_e32 v1, 2, v94
	v_or_b32_e32 v2, 12, v93
	v_readlane_b32 s5, v103, 1
	s_add_u32 s3, s4, s0
	v_add3_u32 v0, 0, v0, v1
	v_and_b32_e32 v1, 0x3f0, v93
	v_and_b32_e32 v2, 0x3fc, v2
	s_addc_u32 s8, s5, s1
	v_add_u32_e32 v1, v0, v1
	v_add_u32_e32 v0, v0, v2
	s_barrier
	ds_write2_b32 v1, a0, a1 offset1:1
	ds_write_b32 v1, a2 offset:8
	ds_write_b32 v0, a3
	ds_write2_b32 v1, a4, a5 offset0:16 offset1:17
	ds_write_b32 v1, a6 offset:72
	ds_write_b32 v0, a7 offset:64
	ds_write2_b32 v1, a8, a9 offset0:32 offset1:33
	ds_write_b32 v1, a10 offset:136
	ds_write_b32 v0, a11 offset:128
	;; [unrolled: 3-line block ×3, first 2 shown]
	s_cmp_gt_i32 s14, 0
	v_add_u32_e32 v0, s6, v92
	s_cselect_b64 s[4:5], -1, 0
	v_cmp_gt_i32_e64 s[0:1], s33, v0
	v_cmp_gt_u32_e32 vcc, 13, v92
	s_and_b64 s[0:1], s[4:5], s[0:1]
	v_lshl_add_u32 v5, v93, 2, 0
	v_add_u32_e32 v4, s7, v93
	v_mul_u32_u24_e32 v6, 0x408, v92
	s_and_b64 s[10:11], vcc, s[0:1]
	s_waitcnt lgkmcnt(0)
	s_barrier
	s_and_saveexec_b64 s[0:1], s[10:11]
	s_cbranch_execz .LBB108_49
; %bb.47:
	v_ashrrev_i32_e32 v1, 31, v0
	v_lshlrev_b64 v[2:3], 2, v[0:1]
	v_mov_b32_e32 v1, s8
	v_add_co_u32_e32 v2, vcc, s3, v2
	v_addc_co_u32_e32 v3, vcc, v1, v3, vcc
	global_load_dword v2, v[2:3], off
	s_waitcnt vmcnt(0)
	v_mul_hi_u32 v1, v2, s19
	v_add_u32_e32 v1, v2, v1
	v_lshrrev_b32_e32 v1, s24, v1
	v_cmp_gt_i32_e32 vcc, s13, v1
	s_and_b64 exec, exec, vcc
	s_cbranch_execz .LBB108_49
; %bb.48:
	v_add_u32_e32 v3, v5, v6
	ds_read2st64_b32 v[8:9], v3 offset1:1
	ds_read2st64_b32 v[10:11], v3 offset0:2 offset1:3
	v_mul_lo_u32 v7, v1, s25
	v_sub_u32_e32 v2, v2, v7
	v_mul_lo_u32 v2, v2, s2
	s_waitcnt lgkmcnt(1)
	v_add_f32_e32 v3, 0, v8
	v_add_f32_e32 v3, v3, v9
	s_waitcnt lgkmcnt(0)
	v_add_f32_e32 v3, v3, v10
	v_mul_lo_u32 v1, v1, s21
	v_add_f32_e32 v7, v3, v11
	v_add3_u32 v2, v4, v1, v2
	v_mov_b32_e32 v3, 0
	v_readlane_b32 s10, v103, 2
	v_lshlrev_b64 v[2:3], 2, v[2:3]
	v_readlane_b32 s11, v103, 3
	v_mov_b32_e32 v1, s11
	v_add_co_u32_e32 v2, vcc, s10, v2
	v_addc_co_u32_e32 v3, vcc, v1, v3, vcc
	global_store_dword v[2:3], v7, off
.LBB108_49:
	s_or_b64 exec, exec, s[0:1]
	v_add_u32_e32 v1, 4, v0
	v_cmp_gt_i32_e64 s[0:1], s33, v1
	v_cmp_gt_u32_e32 vcc, 9, v92
	s_and_b64 s[0:1], s[4:5], s[0:1]
	s_and_b64 s[10:11], vcc, s[0:1]
	s_and_saveexec_b64 s[0:1], s[10:11]
	s_cbranch_execz .LBB108_52
; %bb.50:
	s_ashr_i32 s7, s6, 31
	v_mov_b32_e32 v1, s7
	v_add_co_u32_e32 v2, vcc, s6, v92
	v_addc_co_u32_e32 v3, vcc, 0, v1, vcc
	v_lshlrev_b64 v[2:3], 2, v[2:3]
	v_mov_b32_e32 v1, s8
	v_add_co_u32_e32 v2, vcc, s3, v2
	v_addc_co_u32_e32 v3, vcc, v1, v3, vcc
	global_load_dword v2, v[2:3], off offset:16
	v_mov_b32_e32 v3, 0
	s_waitcnt vmcnt(0)
	v_mul_hi_u32 v1, v2, s19
	v_add_u32_e32 v1, v2, v1
	v_lshrrev_b32_e32 v1, s24, v1
	v_cmp_gt_i32_e32 vcc, s13, v1
	s_and_b64 exec, exec, vcc
	s_cbranch_execz .LBB108_52
; %bb.51:
	v_add_u32_e32 v7, v6, v5
	v_add_u32_e32 v7, 32, v7
	ds_read2st64_b32 v[8:9], v7 offset0:16 offset1:17
	ds_read2st64_b32 v[10:11], v7 offset0:18 offset1:19
	v_mul_lo_u32 v12, v1, s25
	v_sub_u32_e32 v2, v2, v12
	v_mul_lo_u32 v2, v2, s2
	v_mul_lo_u32 v1, v1, s21
	s_waitcnt lgkmcnt(1)
	v_add_f32_e32 v7, 0, v8
	v_add3_u32 v2, v4, v1, v2
	v_readlane_b32 s10, v103, 2
	v_add_f32_e32 v7, v7, v9
	v_lshlrev_b64 v[2:3], 2, v[2:3]
	v_readlane_b32 s11, v103, 3
	s_waitcnt lgkmcnt(0)
	v_add_f32_e32 v7, v7, v10
	v_mov_b32_e32 v1, s11
	v_add_co_u32_e32 v2, vcc, s10, v2
	v_add_f32_e32 v7, v7, v11
	v_addc_co_u32_e32 v3, vcc, v1, v3, vcc
	global_store_dword v[2:3], v7, off
.LBB108_52:
	s_or_b64 exec, exec, s[0:1]
	v_add_u32_e32 v0, 8, v0
	v_cmp_gt_i32_e64 s[0:1], s33, v0
	v_cmp_gt_u32_e32 vcc, 5, v92
	s_and_b64 s[0:1], s[4:5], s[0:1]
	s_and_b64 s[10:11], vcc, s[0:1]
	s_and_saveexec_b64 s[0:1], s[10:11]
	s_cbranch_execz .LBB108_55
; %bb.53:
	s_ashr_i32 s7, s6, 31
	v_mov_b32_e32 v1, s7
	v_add_co_u32_e32 v0, vcc, s6, v92
	v_addc_co_u32_e32 v1, vcc, 0, v1, vcc
	v_lshlrev_b64 v[0:1], 2, v[0:1]
	v_mov_b32_e32 v2, s8
	v_add_co_u32_e32 v0, vcc, s3, v0
	v_addc_co_u32_e32 v1, vcc, v2, v1, vcc
	global_load_dword v2, v[0:1], off offset:32
	v_mov_b32_e32 v1, 0
	s_waitcnt vmcnt(0)
	v_mul_hi_u32 v0, v2, s19
	v_add_u32_e32 v0, v2, v0
	v_lshrrev_b32_e32 v0, s24, v0
	v_cmp_gt_i32_e32 vcc, s13, v0
	s_and_b64 exec, exec, vcc
	s_cbranch_execz .LBB108_55
; %bb.54:
	v_add_u32_e32 v3, v5, v6
	v_add_u32_e32 v3, 64, v3
	ds_read2st64_b32 v[6:7], v3 offset0:32 offset1:33
	ds_read2st64_b32 v[8:9], v3 offset0:34 offset1:35
	v_mul_lo_u32 v10, v0, s25
	v_sub_u32_e32 v2, v2, v10
	v_mul_lo_u32 v2, v2, s2
	v_mul_lo_u32 v0, v0, s21
	s_waitcnt lgkmcnt(1)
	v_add_f32_e32 v3, 0, v6
	v_add3_u32 v0, v4, v0, v2
	v_readlane_b32 s10, v103, 2
	v_add_f32_e32 v3, v3, v7
	v_lshlrev_b64 v[0:1], 2, v[0:1]
	v_readlane_b32 s11, v103, 3
	s_waitcnt lgkmcnt(0)
	v_add_f32_e32 v3, v3, v8
	v_mov_b32_e32 v2, s11
	v_add_co_u32_e32 v0, vcc, s10, v0
	v_add_f32_e32 v3, v3, v9
	v_addc_co_u32_e32 v1, vcc, v2, v1, vcc
	global_store_dword v[0:1], v3, off
.LBB108_55:
	s_or_b64 exec, exec, s[0:1]
	v_cmp_eq_u32_e32 vcc, 0, v92
	s_and_saveexec_b64 s[0:1], vcc
	s_cbranch_execz .LBB108_59
; %bb.56:
	s_add_i32 s0, s6, 12
	s_cmp_ge_i32 s0, s33
	s_cselect_b64 s[0:1], -1, 0
	s_xor_b64 s[4:5], s[4:5], -1
	s_or_b64 s[0:1], s[4:5], s[0:1]
	s_and_b64 vcc, exec, s[0:1]
	s_cbranch_vccnz .LBB108_59
; %bb.57:
	s_ashr_i32 s7, s6, 31
	s_lshl_b64 s[0:1], s[6:7], 2
	s_add_u32 s0, s3, s0
	s_addc_u32 s1, s8, s1
	s_load_dword s1, s[0:1], 0x30
	s_waitcnt lgkmcnt(0)
	s_mul_hi_u32 s0, s1, s19
	s_add_i32 s0, s1, s0
	s_lshr_b32 s0, s0, s24
	s_cmp_ge_i32 s0, s13
	s_cbranch_scc1 .LBB108_59
; %bb.58:
	v_add_u32_e32 v2, 0x60, v5
	ds_read2st64_b32 v[0:1], v2 offset0:48 offset1:49
	ds_read2st64_b32 v[2:3], v2 offset0:50 offset1:51
	s_mul_i32 s3, s0, s25
	s_sub_i32 s1, s1, s3
	s_mul_i32 s1, s1, s2
	s_waitcnt lgkmcnt(1)
	v_add_f32_e32 v0, 0, v0
	v_add_f32_e32 v0, v0, v1
	s_mul_i32 s0, s0, s21
	s_waitcnt lgkmcnt(0)
	v_add_f32_e32 v0, v0, v2
	s_add_i32 s1, s1, s0
	v_add_f32_e32 v2, v0, v3
	v_add_u32_e32 v0, s1, v4
	v_mov_b32_e32 v1, 0
	v_readlane_b32 s0, v103, 2
	v_lshlrev_b64 v[0:1], 2, v[0:1]
	v_readlane_b32 s1, v103, 3
	v_mov_b32_e32 v3, s1
	v_add_co_u32_e32 v0, vcc, s0, v0
	v_addc_co_u32_e32 v1, vcc, v3, v1, vcc
	global_store_dword v[0:1], v2, off
.LBB108_59:
	s_endpgm
	.section	.rodata,"a",@progbits
	.p2align	6, 0x0
	.amdhsa_kernel _ZL13mul_mat_f_idsI7__half2Li64ELi13ELi4EEvPKT_PKfPKiS7_S7_Pfiiiiiiiiiiiiii15HIP_vector_typeIjLj3EESA_
		.amdhsa_group_segment_fixed_size 0
		.amdhsa_private_segment_fixed_size 0
		.amdhsa_kernarg_size 128
		.amdhsa_user_sgpr_count 6
		.amdhsa_user_sgpr_private_segment_buffer 1
		.amdhsa_user_sgpr_dispatch_ptr 0
		.amdhsa_user_sgpr_queue_ptr 0
		.amdhsa_user_sgpr_kernarg_segment_ptr 1
		.amdhsa_user_sgpr_dispatch_id 0
		.amdhsa_user_sgpr_flat_scratch_init 0
		.amdhsa_user_sgpr_kernarg_preload_length 0
		.amdhsa_user_sgpr_kernarg_preload_offset 0
		.amdhsa_user_sgpr_private_segment_size 0
		.amdhsa_uses_dynamic_stack 0
		.amdhsa_system_sgpr_private_segment_wavefront_offset 0
		.amdhsa_system_sgpr_workgroup_id_x 1
		.amdhsa_system_sgpr_workgroup_id_y 1
		.amdhsa_system_sgpr_workgroup_id_z 1
		.amdhsa_system_sgpr_workgroup_info 0
		.amdhsa_system_vgpr_workitem_id 1
		.amdhsa_next_free_vgpr 120
		.amdhsa_next_free_sgpr 96
		.amdhsa_accum_offset 104
		.amdhsa_reserve_vcc 1
		.amdhsa_reserve_flat_scratch 0
		.amdhsa_float_round_mode_32 0
		.amdhsa_float_round_mode_16_64 0
		.amdhsa_float_denorm_mode_32 3
		.amdhsa_float_denorm_mode_16_64 3
		.amdhsa_dx10_clamp 1
		.amdhsa_ieee_mode 1
		.amdhsa_fp16_overflow 0
		.amdhsa_tg_split 0
		.amdhsa_exception_fp_ieee_invalid_op 0
		.amdhsa_exception_fp_denorm_src 0
		.amdhsa_exception_fp_ieee_div_zero 0
		.amdhsa_exception_fp_ieee_overflow 0
		.amdhsa_exception_fp_ieee_underflow 0
		.amdhsa_exception_fp_ieee_inexact 0
		.amdhsa_exception_int_div_zero 0
	.end_amdhsa_kernel
	.section	.text._ZL13mul_mat_f_idsI7__half2Li64ELi13ELi4EEvPKT_PKfPKiS7_S7_Pfiiiiiiiiiiiiii15HIP_vector_typeIjLj3EESA_,"axG",@progbits,_ZL13mul_mat_f_idsI7__half2Li64ELi13ELi4EEvPKT_PKfPKiS7_S7_Pfiiiiiiiiiiiiii15HIP_vector_typeIjLj3EESA_,comdat
.Lfunc_end108:
	.size	_ZL13mul_mat_f_idsI7__half2Li64ELi13ELi4EEvPKT_PKfPKiS7_S7_Pfiiiiiiiiiiiiii15HIP_vector_typeIjLj3EESA_, .Lfunc_end108-_ZL13mul_mat_f_idsI7__half2Li64ELi13ELi4EEvPKT_PKfPKiS7_S7_Pfiiiiiiiiiiiiii15HIP_vector_typeIjLj3EESA_
                                        ; -- End function
	.section	.AMDGPU.csdata,"",@progbits
; Kernel info:
; codeLenInByte = 7816
; NumSgprs: 100
; NumVgprs: 104
; NumAgprs: 16
; TotalNumVgprs: 120
; ScratchSize: 0
; MemoryBound: 0
; FloatMode: 240
; IeeeMode: 1
; LDSByteSize: 0 bytes/workgroup (compile time only)
; SGPRBlocks: 12
; VGPRBlocks: 14
; NumSGPRsForWavesPerEU: 100
; NumVGPRsForWavesPerEU: 120
; AccumOffset: 104
; Occupancy: 4
; WaveLimiterHint : 1
; COMPUTE_PGM_RSRC2:SCRATCH_EN: 0
; COMPUTE_PGM_RSRC2:USER_SGPR: 6
; COMPUTE_PGM_RSRC2:TRAP_HANDLER: 0
; COMPUTE_PGM_RSRC2:TGID_X_EN: 1
; COMPUTE_PGM_RSRC2:TGID_Y_EN: 1
; COMPUTE_PGM_RSRC2:TGID_Z_EN: 1
; COMPUTE_PGM_RSRC2:TIDIG_COMP_CNT: 1
; COMPUTE_PGM_RSRC3_GFX90A:ACCUM_OFFSET: 25
; COMPUTE_PGM_RSRC3_GFX90A:TG_SPLIT: 0
	.section	.text._ZL9mul_mat_fI7__half2Li64ELi13ELi4ELb1EEvPKT_PKfPKiPfiiiiiiiiiiiiiiii,"axG",@progbits,_ZL9mul_mat_fI7__half2Li64ELi13ELi4ELb1EEvPKT_PKfPKiPfiiiiiiiiiiiiiiii,comdat
	.globl	_ZL9mul_mat_fI7__half2Li64ELi13ELi4ELb1EEvPKT_PKfPKiPfiiiiiiiiiiiiiiii ; -- Begin function _ZL9mul_mat_fI7__half2Li64ELi13ELi4ELb1EEvPKT_PKfPKiPfiiiiiiiiiiiiiiii
	.p2align	8
	.type	_ZL9mul_mat_fI7__half2Li64ELi13ELi4ELb1EEvPKT_PKfPKiPfiiiiiiiiiiiiiiii,@function
_ZL9mul_mat_fI7__half2Li64ELi13ELi4ELb1EEvPKT_PKfPKiPfiiiiiiiiiiiiiiii: ; @_ZL9mul_mat_fI7__half2Li64ELi13ELi4ELb1EEvPKT_PKfPKiPfiiiiiiiiiiiiiiii
; %bb.0:
	s_load_dwordx8 s[20:27], s[4:5], 0x20
	v_bfe_u32 v72, v0, 10, 10
	s_waitcnt lgkmcnt(0)
	s_add_i32 s0, s21, 12
	s_mul_hi_i32 s0, s0, 0x4ec4ec4f
	s_lshr_b32 s1, s0, 31
	s_ashr_i32 s0, s0, 2
	s_add_i32 s0, s0, s1
	v_cvt_f32_u32_e32 v1, s0
	s_load_dwordx4 s[28:31], s[4:5], 0x44
	s_load_dword s1, s[4:5], 0x64
	s_add_u32 s34, s4, 0x60
	s_addc_u32 s35, s5, 0
	v_rcp_iflag_f32_e32 v1, v1
	s_sub_i32 s2, 0, s0
	v_mul_f32_e32 v1, 0x4f7ffffe, v1
	v_cvt_u32_f32_e32 v1, v1
	v_readfirstlane_b32 s3, v1
	s_mul_i32 s2, s2, s3
	s_mul_hi_u32 s2, s3, s2
	s_add_i32 s3, s3, s2
	s_waitcnt lgkmcnt(0)
	s_mul_hi_u32 s2, s1, s3
	s_mul_i32 s3, s2, s0
	s_sub_i32 s1, s1, s3
	s_add_i32 s9, s2, 1
	s_sub_i32 s3, s1, s0
	s_cmp_ge_u32 s1, s0
	s_cselect_b32 s2, s9, s2
	s_cselect_b32 s1, s3, s1
	s_add_i32 s3, s2, 1
	s_cmp_ge_u32 s1, s0
	s_cselect_b32 s10, s3, s2
	v_cvt_f32_u32_e32 v1, s10
	s_abs_i32 s42, s31
	v_cvt_f32_u32_e32 v2, s42
	s_load_dwordx2 s[0:1], s[4:5], 0x10
	v_rcp_iflag_f32_e32 v1, v1
	s_sub_i32 s2, 0, s10
	v_rcp_iflag_f32_e32 v2, v2
	v_mul_f32_e32 v1, 0x4f7ffffe, v1
	v_cvt_u32_f32_e32 v1, v1
	v_mul_f32_e32 v2, 0x4f7ffffe, v2
	v_cvt_u32_f32_e32 v3, v2
	v_and_b32_e32 v2, 0x3ff, v0
	v_readfirstlane_b32 s3, v1
	s_mul_i32 s2, s2, s3
	s_mul_hi_u32 s2, s3, s2
	s_add_i32 s3, s3, s2
	v_readfirstlane_b32 s9, v3
	s_mul_hi_u32 s11, s7, s3
	v_cmp_eq_u32_e32 vcc, 0, v2
	s_and_saveexec_b64 s[2:3], vcc
	s_cbranch_execz .LBB109_2
; %bb.1:
	v_mov_b32_e32 v1, 0x100
	v_lshl_add_u32 v1, v72, 2, v1
	v_mov_b32_e32 v3, -1
	ds_write_b32 v1, v3
.LBB109_2:
	s_or_b64 exec, exec, s[2:3]
	s_mul_i32 s2, s11, s10
	s_sub_i32 s2, s7, s2
	s_add_i32 s3, s11, 1
	s_sub_i32 s12, s2, s10
	s_cmp_ge_u32 s2, s10
	s_cselect_b32 s3, s3, s11
	s_cselect_b32 s2, s12, s2
	s_add_i32 s11, s3, 1
	s_cmp_ge_u32 s2, s10
	s_cselect_b32 s2, s11, s3
	s_mul_i32 s3, s2, s10
	s_mul_i32 s54, s2, 13
	s_sub_i32 s7, s7, s3
	s_mul_hi_i32 s3, s54, s27
	s_mul_i32 s2, s54, s27
	s_lshl_b64 s[2:3], s[2:3], 2
	s_waitcnt lgkmcnt(0)
	s_add_u32 s0, s0, s2
	v_add_u32_e32 v1, s54, v72
	s_addc_u32 s1, s1, s3
	v_cmp_gt_i32_e64 s[10:11], s22, v2
	v_cmp_gt_i32_e64 s[44:45], s21, v1
	v_mov_b32_e32 v1, 0
	s_and_saveexec_b64 s[14:15], s[44:45]
	s_cbranch_execz .LBB109_10
; %bb.3:
	v_mov_b32_e32 v1, 0
	s_and_saveexec_b64 s[16:17], s[10:11]
	s_cbranch_execz .LBB109_9
; %bb.4:
	v_mul_lo_u32 v4, v72, s27
	v_ashrrev_i32_e32 v5, 31, v4
	v_lshlrev_b64 v[4:5], 2, v[4:5]
	v_mov_b32_e32 v1, s1
	v_add_co_u32_e64 v3, s[2:3], s0, v4
	v_addc_co_u32_e64 v6, s[2:3], v1, v5, s[2:3]
	v_mov_b32_e32 v1, 0x100
	v_lshl_add_u32 v7, v72, 2, v1
	v_mul_lo_u32 v4, v2, s26
	s_lshl_b32 s33, s26, 6
	s_mov_b64 s[18:19], 0
	v_mov_b32_e32 v1, 0
	v_mov_b32_e32 v8, v2
	s_branch .LBB109_6
.LBB109_5:                              ;   in Loop: Header=BB109_6 Depth=1
	s_or_b64 exec, exec, s[36:37]
	v_add_u32_e32 v8, 64, v8
	v_cmp_le_i32_e64 s[12:13], s22, v8
	s_xor_b64 s[2:3], s[2:3], -1
	s_or_b64 s[2:3], s[2:3], s[12:13]
	s_and_b64 s[2:3], exec, s[2:3]
	s_or_b64 s[18:19], s[2:3], s[18:19]
	v_add_u32_e32 v4, s33, v4
	s_andn2_b64 exec, exec, s[18:19]
	s_cbranch_execz .LBB109_8
.LBB109_6:                              ; =>This Inner Loop Header: Depth=1
	v_ashrrev_i32_e32 v5, 31, v4
	v_lshlrev_b64 v[10:11], 2, v[4:5]
	v_add_co_u32_e64 v10, s[2:3], v3, v10
	v_addc_co_u32_e64 v11, s[2:3], v6, v11, s[2:3]
	global_load_dword v5, v[10:11], off
	s_waitcnt vmcnt(0)
	v_cmp_ne_u32_e64 s[2:3], s7, v5
	v_cmp_eq_u32_e64 s[12:13], s7, v5
	s_and_saveexec_b64 s[36:37], s[12:13]
	s_cbranch_execz .LBB109_5
; %bb.7:                                ;   in Loop: Header=BB109_6 Depth=1
	v_mov_b32_e32 v1, 1
	ds_write_b32 v7, v8
	s_branch .LBB109_5
.LBB109_8:
	s_or_b64 exec, exec, s[18:19]
.LBB109_9:
	s_or_b64 exec, exec, s[16:17]
.LBB109_10:
	s_or_b64 exec, exec, s[14:15]
	s_and_saveexec_b64 s[2:3], vcc
	s_cbranch_execz .LBB109_12
; %bb.11:
	v_mov_b32_e32 v3, 0x100
	v_lshl_add_u32 v3, v72, 2, v3
	v_mov_b32_e32 v4, -1
	ds_write_b32 v3, v4 offset:16
.LBB109_12:
	s_or_b64 exec, exec, s[2:3]
	v_add_u32_e32 v73, 4, v72
	v_add_u32_e32 v3, s54, v73
	v_cmp_gt_i32_e64 s[2:3], s21, v3
	s_mov_b64 s[16:17], exec
                                        ; implicit-def: $vgpr85 : SGPR spill to VGPR lane
	v_writelane_b32 v85, s2, 0
	v_writelane_b32 v85, s3, 1
	s_and_b64 s[2:3], s[16:17], s[2:3]
	s_mov_b64 exec, s[2:3]
	s_cbranch_execz .LBB109_20
; %bb.13:
	s_and_saveexec_b64 s[18:19], s[10:11]
	s_cbranch_execz .LBB109_19
; %bb.14:
	v_mul_lo_u32 v4, v73, s27
	v_ashrrev_i32_e32 v5, 31, v4
	v_lshlrev_b64 v[4:5], 2, v[4:5]
	v_mov_b32_e32 v6, s1
	v_add_co_u32_e64 v3, s[12:13], s0, v4
	v_mov_b32_e32 v4, 0x100
	v_addc_co_u32_e64 v6, s[12:13], v6, v5, s[12:13]
	v_lshl_add_u32 v7, v72, 2, v4
	v_mul_lo_u32 v4, v2, s26
	s_lshl_b32 s2, s26, 6
	s_mov_b64 s[36:37], 0
	v_mov_b32_e32 v8, v2
	s_branch .LBB109_16
.LBB109_15:                             ;   in Loop: Header=BB109_16 Depth=1
	s_or_b64 exec, exec, s[38:39]
	v_add_u32_e32 v8, 64, v8
	v_cmp_le_i32_e64 s[14:15], s22, v8
	s_xor_b64 s[12:13], s[12:13], -1
	s_or_b64 s[12:13], s[12:13], s[14:15]
	s_and_b64 s[12:13], exec, s[12:13]
	s_or_b64 s[36:37], s[12:13], s[36:37]
	v_add_u32_e32 v4, s2, v4
	s_andn2_b64 exec, exec, s[36:37]
	s_cbranch_execz .LBB109_18
.LBB109_16:                             ; =>This Inner Loop Header: Depth=1
	v_ashrrev_i32_e32 v5, 31, v4
	v_lshlrev_b64 v[10:11], 2, v[4:5]
	v_add_co_u32_e64 v10, s[12:13], v3, v10
	v_addc_co_u32_e64 v11, s[12:13], v6, v11, s[12:13]
	global_load_dword v5, v[10:11], off
	s_waitcnt vmcnt(0)
	v_cmp_ne_u32_e64 s[12:13], s7, v5
	v_cmp_eq_u32_e64 s[14:15], s7, v5
	s_and_saveexec_b64 s[38:39], s[14:15]
	s_cbranch_execz .LBB109_15
; %bb.17:                               ;   in Loop: Header=BB109_16 Depth=1
	v_mov_b32_e32 v1, 1
	ds_write_b32 v7, v8 offset:16
	s_branch .LBB109_15
.LBB109_18:
	s_or_b64 exec, exec, s[36:37]
.LBB109_19:
	s_or_b64 exec, exec, s[18:19]
.LBB109_20:
	s_or_b64 exec, exec, s[16:17]
	s_sub_i32 s2, 0, s42
	s_and_saveexec_b64 s[12:13], vcc
	s_cbranch_execz .LBB109_22
; %bb.21:
	v_mov_b32_e32 v3, 0x100
	v_lshl_add_u32 v3, v72, 2, v3
	v_mov_b32_e32 v4, -1
	ds_write_b32 v3, v4 offset:32
.LBB109_22:
	s_or_b64 exec, exec, s[12:13]
	v_add_u32_e32 v74, 8, v72
	s_mul_i32 s2, s2, s9
	v_add_u32_e32 v3, s54, v74
	v_cmp_gt_i32_e64 s[12:13], s21, v3
	s_mov_b64 s[18:19], exec
	v_writelane_b32 v85, s12, 2
	v_writelane_b32 v85, s13, 3
	s_and_b64 s[12:13], s[18:19], s[12:13]
	s_mov_b64 exec, s[12:13]
	s_cbranch_execz .LBB109_30
; %bb.23:
	s_and_saveexec_b64 s[36:37], s[10:11]
	s_cbranch_execz .LBB109_29
; %bb.24:
	v_mul_lo_u32 v4, v74, s27
	v_ashrrev_i32_e32 v5, 31, v4
	v_lshlrev_b64 v[4:5], 2, v[4:5]
	v_mov_b32_e32 v6, s1
	v_add_co_u32_e64 v3, s[14:15], s0, v4
	v_mov_b32_e32 v4, 0x100
	v_addc_co_u32_e64 v6, s[14:15], v6, v5, s[14:15]
	v_lshl_add_u32 v7, v72, 2, v4
	v_mul_lo_u32 v4, v2, s26
	s_lshl_b32 s3, s26, 6
	s_mov_b64 s[38:39], 0
	v_mov_b32_e32 v8, v2
	s_branch .LBB109_26
.LBB109_25:                             ;   in Loop: Header=BB109_26 Depth=1
	s_or_b64 exec, exec, s[40:41]
	v_add_u32_e32 v8, 64, v8
	v_cmp_le_i32_e64 s[16:17], s22, v8
	s_xor_b64 s[12:13], s[14:15], -1
	s_or_b64 s[12:13], s[12:13], s[16:17]
	s_and_b64 s[12:13], exec, s[12:13]
	s_or_b64 s[38:39], s[12:13], s[38:39]
	v_add_u32_e32 v4, s3, v4
	s_andn2_b64 exec, exec, s[38:39]
	s_cbranch_execz .LBB109_28
.LBB109_26:                             ; =>This Inner Loop Header: Depth=1
	v_ashrrev_i32_e32 v5, 31, v4
	v_lshlrev_b64 v[10:11], 2, v[4:5]
	v_add_co_u32_e64 v10, s[14:15], v3, v10
	v_addc_co_u32_e64 v11, s[14:15], v6, v11, s[14:15]
	global_load_dword v5, v[10:11], off
	s_waitcnt vmcnt(0)
	v_cmp_ne_u32_e64 s[14:15], s7, v5
	v_cmp_eq_u32_e64 s[16:17], s7, v5
	s_and_saveexec_b64 s[40:41], s[16:17]
	s_cbranch_execz .LBB109_25
; %bb.27:                               ;   in Loop: Header=BB109_26 Depth=1
	v_mov_b32_e32 v1, 1
	ds_write_b32 v7, v8 offset:32
	s_branch .LBB109_25
.LBB109_28:
	s_or_b64 exec, exec, s[38:39]
.LBB109_29:
	s_or_b64 exec, exec, s[36:37]
.LBB109_30:
	s_or_b64 exec, exec, s[18:19]
	s_mul_hi_u32 s3, s9, s2
	s_and_saveexec_b64 s[14:15], vcc
	s_cbranch_execz .LBB109_32
; %bb.31:
	v_mov_b32_e32 v3, 0x100
	v_lshl_add_u32 v3, v72, 2, v3
	v_mov_b32_e32 v4, -1
	ds_write_b32 v3, v4 offset:48
.LBB109_32:
	s_or_b64 exec, exec, s[14:15]
	s_load_dwordx4 s[16:19], s[4:5], 0x54
	v_add_u32_e32 v75, 12, v72
	s_abs_i32 s2, s8
	s_add_i32 s9, s9, s3
	v_add_u32_e32 v3, s54, v75
	v_cmp_gt_i32_e64 s[12:13], s21, v3
	s_mov_b64 s[36:37], exec
	v_writelane_b32 v85, s12, 4
	v_writelane_b32 v85, s13, 5
	s_and_b64 s[12:13], s[36:37], s[12:13]
	s_mov_b64 exec, s[12:13]
	s_cbranch_execz .LBB109_40
; %bb.33:
	s_and_saveexec_b64 s[38:39], s[10:11]
	s_cbranch_execz .LBB109_39
; %bb.34:
	v_mul_lo_u32 v4, v75, s27
	v_ashrrev_i32_e32 v5, 31, v4
	v_lshlrev_b64 v[4:5], 2, v[4:5]
	v_mov_b32_e32 v6, s1
	v_add_co_u32_e32 v3, vcc, s0, v4
	v_mov_b32_e32 v4, 0x100
	v_addc_co_u32_e32 v6, vcc, v6, v5, vcc
	v_lshl_add_u32 v7, v72, 2, v4
	v_mul_lo_u32 v4, v2, s26
	s_lshl_b32 s0, s26, 6
	s_mov_b64 s[26:27], 0
	v_mov_b32_e32 v8, v2
	s_branch .LBB109_36
.LBB109_35:                             ;   in Loop: Header=BB109_36 Depth=1
	s_or_b64 exec, exec, s[40:41]
	v_add_u32_e32 v8, 64, v8
	v_cmp_le_i32_e64 s[10:11], s22, v8
	s_xor_b64 s[12:13], vcc, -1
	s_or_b64 s[10:11], s[12:13], s[10:11]
	s_and_b64 s[10:11], exec, s[10:11]
	s_or_b64 s[26:27], s[10:11], s[26:27]
	v_add_u32_e32 v4, s0, v4
	s_andn2_b64 exec, exec, s[26:27]
	s_cbranch_execz .LBB109_38
.LBB109_36:                             ; =>This Inner Loop Header: Depth=1
	v_ashrrev_i32_e32 v5, 31, v4
	v_lshlrev_b64 v[10:11], 2, v[4:5]
	v_add_co_u32_e32 v10, vcc, v3, v10
	v_addc_co_u32_e32 v11, vcc, v6, v11, vcc
	global_load_dword v5, v[10:11], off
	s_waitcnt vmcnt(0)
	v_cmp_ne_u32_e32 vcc, s7, v5
	v_cmp_eq_u32_e64 s[10:11], s7, v5
	s_and_saveexec_b64 s[40:41], s[10:11]
	s_cbranch_execz .LBB109_35
; %bb.37:                               ;   in Loop: Header=BB109_36 Depth=1
	v_mov_b32_e32 v1, 1
	ds_write_b32 v7, v8 offset:48
	s_branch .LBB109_35
.LBB109_38:
	s_or_b64 exec, exec, s[26:27]
.LBB109_39:
	s_or_b64 exec, exec, s[38:39]
.LBB109_40:
	s_or_b64 exec, exec, s[36:37]
	s_load_dwordx2 s[10:11], s[34:35], 0xc
	s_load_dwordx4 s[36:39], s[4:5], 0x0
	s_load_dwordx2 s[0:1], s[4:5], 0x18
	v_cmp_ne_u32_e32 vcc, 0, v1
	v_cndmask_b32_e64 v1, 0, 1, vcc
                                        ; kill: killed $sgpr4 killed $sgpr5
	s_waitcnt lgkmcnt(0)
	s_lshr_b32 s4, s10, 16
	s_and_b32 s3, s10, 0xffff
	v_or_b32_dpp v1, v1, v1 row_shl:1 row_mask:0xf bank_mask:0xf bound_ctrl:1
	v_writelane_b32 v85, s0, 6
	s_mul_i32 s5, s4, s3
	v_or_b32_dpp v1, v1, v1 row_shl:2 row_mask:0xf bank_mask:0xf bound_ctrl:1
	v_writelane_b32 v85, s1, 7
	s_and_b32 s1, s11, 0xffff
	v_or_b32_dpp v1, v1, v1 row_shl:4 row_mask:0xf bank_mask:0xf bound_ctrl:1
	s_bfe_i32 s5, s5, 0x180000
	s_mul_i32 s1, s5, s1
	v_or_b32_dpp v1, v1, v1 row_shl:8 row_mask:0xf bank_mask:0xf bound_ctrl:1
	s_add_i32 s5, s1, 63
	s_bitcmp1_b32 exec_hi, 0
	v_mov_b32_dpp v3, v1 wave_shl:1 row_mask:0xf bank_mask:0xf bound_ctrl:1
	s_mul_hi_u32 s0, s2, s9
                                        ; kill: killed $sgpr34 killed $sgpr35
	s_nop 0
	v_or_b32_dpp v1, v3, v1 row_mirror row_mask:0xf bank_mask:0xf bound_ctrl:1
	v_readlane_b32 s1, v1, 32
	s_cselect_b32 s1, s1, 0
	v_readlane_b32 s9, v1, 0
	s_or_b32 s1, s1, s9
	s_andn2_b32 s5, s5, 63
	s_cmp_lg_u32 s5, 64
	v_mov_b32_e32 v1, s1
	s_cbranch_scc0 .LBB109_47
; %bb.41:
	v_mbcnt_lo_u32_b32 v1, -1, 0
	v_bfe_u32 v0, v0, 20, 10
	v_mbcnt_hi_u32_b32 v3, -1, v1
	v_mad_u32_u24 v0, v0, s4, v72
	v_mad_u64_u32 v[0:1], s[4:5], v0, s3, v[2:3]
	v_lshrrev_b32_e32 v1, 6, v0
	v_or_b32_e32 v1, v3, v1
	v_cmp_eq_u32_e32 vcc, 0, v1
	s_and_saveexec_b64 s[4:5], vcc
	s_cbranch_execz .LBB109_43
; %bb.42:
	v_mov_b32_e32 v1, 0
	v_mov_b32_e32 v4, s1
	ds_write_b32 v1, v4
.LBB109_43:
	s_or_b64 exec, exec, s[4:5]
	v_cmp_eq_u32_e32 vcc, 0, v3
	v_cmp_lt_u32_e64 s[4:5], 63, v0
	s_and_b64 s[10:11], s[4:5], vcc
	s_waitcnt lgkmcnt(0)
	s_barrier
	s_and_saveexec_b64 s[4:5], s[10:11]
	s_cbranch_execz .LBB109_46
; %bb.44:
	v_mbcnt_lo_u32_b32 v0, exec_lo, 0
	v_mbcnt_hi_u32_b32 v0, exec_hi, v0
	v_cmp_eq_u32_e32 vcc, 0, v0
	s_and_b64 exec, exec, vcc
	s_cbranch_execz .LBB109_46
; %bb.45:
	v_mov_b32_e32 v0, 0
	v_mov_b32_e32 v1, s1
	ds_or_b32 v0, v1
.LBB109_46:
	s_or_b64 exec, exec, s[4:5]
	v_mov_b32_e32 v0, 0
	s_waitcnt lgkmcnt(0)
	s_barrier
	ds_read_b32 v1, v0
	s_waitcnt lgkmcnt(0)
	s_barrier
.LBB109_47:
	v_cmp_ne_u32_e32 vcc, 0, v1
	s_ashr_i32 s1, s8, 31
	s_ashr_i32 s3, s31, 31
	s_cbranch_vccz .LBB109_108
; %bb.48:
	v_lshlrev_b32_e32 v3, 6, v72
	v_add_u32_e32 v77, v3, v2
	v_cmp_le_i32_e32 vcc, s20, v77
	v_and_b32_e32 v76, 15, v2
                                        ; implicit-def: $sgpr9
	s_and_saveexec_b64 s[4:5], vcc
	s_xor_b64 s[4:5], exec, s[4:5]
; %bb.49:
	v_and_b32_e32 v76, 15, v2
	s_mov_b32 s9, 0
                                        ; implicit-def: $vgpr77
; %bb.50:
	s_or_saveexec_b64 s[4:5], s[4:5]
	s_lshl_b32 s6, s6, 6
	v_accvgpr_write_b32 a8, s9
	v_accvgpr_write_b32 a9, s9
	v_accvgpr_write_b32 a10, s9
	v_accvgpr_write_b32 a11, s9
	v_accvgpr_write_b32 a0, s9
	v_accvgpr_write_b32 a1, s9
	v_accvgpr_write_b32 a2, s9
	v_accvgpr_write_b32 a3, s9
	v_accvgpr_write_b32 a4, s9
	v_accvgpr_write_b32 a5, s9
	v_accvgpr_write_b32 a6, s9
	v_accvgpr_write_b32 a7, s9
	v_accvgpr_write_b32 a12, s9
	v_accvgpr_write_b32 a13, s9
	v_accvgpr_write_b32 a14, s9
	v_accvgpr_write_b32 a15, s9
	v_writelane_b32 v85, s4, 8
	v_writelane_b32 v85, s5, 9
	s_xor_b64 exec, exec, s[4:5]
	s_cbranch_execz .LBB109_93
; %bb.51:
	s_xor_b32 s1, s1, s3
	s_mul_i32 s3, s0, s42
	s_sub_i32 s2, s2, s3
	s_add_i32 s3, s0, 1
	s_sub_i32 s4, s2, s42
	s_cmp_ge_u32 s2, s42
	s_cselect_b32 s0, s3, s0
	s_cselect_b32 s2, s4, s2
	s_add_i32 s3, s0, 1
	s_cmp_ge_u32 s2, s42
	s_cselect_b32 s0, s3, s0
	s_xor_b32 s0, s0, s1
	s_sub_i32 s0, s0, s1
	s_mul_hi_i32 s1, s0, s16
	s_mul_i32 s0, s0, s16
	s_mul_i32 s2, s7, s28
	v_writelane_b32 v85, s44, 10
	s_ashr_i32 s3, s2, 31
	s_lshl_b64 s[0:1], s[0:1], 2
	v_writelane_b32 v85, s45, 11
	s_add_u32 s5, s36, s0
	v_writelane_b32 v85, s6, 12
	s_mul_i32 s4, s6, s23
	s_addc_u32 s6, s37, s1
	s_lshl_b64 s[2:3], s[2:3], 2
	s_add_u32 s7, s5, s2
	s_addc_u32 s6, s6, s3
	s_ashr_i32 s5, s4, 31
	s_lshl_b64 s[4:5], s[4:5], 2
	s_add_u32 s28, s7, s4
	s_addc_u32 s10, s6, s5
	s_movk_i32 s6, 0x1080
	v_mov_b32_e32 v78, 0x100
	v_writelane_b32 v85, s8, 13
	v_mad_u32_u24 v0, v72, s6, v78
	s_mul_hi_i32 s7, s17, s8
	v_writelane_b32 v85, s16, 14
	s_mul_i32 s6, s17, s8
	s_mul_hi_i32 s9, s24, s54
	s_mul_i32 s8, s24, s54
	s_lshl_b64 s[8:9], s[8:9], 3
	s_lshl_b64 s[6:7], s[6:7], 2
	s_add_u32 s6, s38, s6
	s_addc_u32 s7, s39, s7
	s_add_u32 s31, s6, s8
	s_addc_u32 s33, s7, s9
	s_cmp_lt_i32 s54, s21
	v_writelane_b32 v85, s17, 15
	s_cselect_b64 s[6:7], -1, 0
	s_add_i32 s8, s54, 1
	v_writelane_b32 v85, s18, 16
	s_cmp_lt_i32 s8, s21
	v_writelane_b32 v85, s19, 17
	s_cselect_b64 s[16:17], -1, 0
	s_add_i32 s8, s54, 2
	s_cmp_lt_i32 s8, s21
	s_cselect_b64 s[26:27], -1, 0
	s_lshl_b32 s8, s24, 2
	v_writelane_b32 v85, s8, 18
	s_add_i32 s8, s54, 3
	s_cmp_lt_i32 s8, s21
	s_cselect_b64 s[34:35], -1, 0
	s_add_i32 s8, s54, 4
	s_cmp_lt_i32 s8, s21
	s_cselect_b64 s[38:39], -1, 0
	s_lshl_b32 s8, s24, 3
	v_writelane_b32 v85, s8, 19
	s_add_i32 s8, s54, 5
	s_cmp_lt_i32 s8, s21
	s_cselect_b64 s[40:41], -1, 0
	s_add_i32 s8, s54, 6
	s_cmp_lt_i32 s8, s21
	s_mul_i32 s8, s24, 6
	s_cselect_b64 s[42:43], -1, 0
	v_writelane_b32 v85, s8, 20
	s_add_i32 s8, s54, 7
	s_cmp_lt_i32 s8, s21
	s_cselect_b64 s[44:45], -1, 0
	s_add_i32 s8, s54, 8
	s_cmp_lt_i32 s8, s21
	s_cselect_b64 s[46:47], -1, 0
	s_lshl_b32 s8, s24, 4
	v_writelane_b32 v85, s8, 21
	s_add_i32 s8, s54, 9
	s_cmp_lt_i32 s8, s21
	s_cselect_b64 s[48:49], -1, 0
	s_add_i32 s8, s54, 10
	s_cmp_lt_i32 s8, s21
	s_mul_i32 s8, s24, 10
	s_cselect_b64 s[50:51], -1, 0
	v_writelane_b32 v85, s8, 22
	s_add_i32 s8, s54, 11
	s_cmp_lt_i32 s8, s21
	s_cselect_b64 s[52:53], -1, 0
	s_add_i32 s8, s54, 12
	v_writelane_b32 v85, s54, 23
	s_cmp_lt_i32 s8, s21
	s_mul_i32 s8, s24, 12
	s_cselect_b64 s[54:55], -1, 0
	v_writelane_b32 v85, s8, 24
	s_ashr_i32 s9, s23, 31
	s_mov_b32 s8, s23
	s_lshl_b64 s[56:57], s[8:9], 2
	s_add_u32 s0, s0, s4
	v_lshrrev_b32_e32 v4, 1, v2
	s_addc_u32 s1, s1, s5
	v_mul_u32_u24_e32 v1, 0x108, v76
	v_and_b32_e32 v4, 0x1f8, v4
	s_add_u32 s0, s0, s2
	v_lshl_add_u32 v79, v2, 2, v0
	v_add3_u32 v80, v0, v1, v4
	v_lshlrev_b32_e32 v0, 1, v2
	s_addc_u32 s1, s1, s3
	v_lshl_add_u32 v81, v72, 7, v0
	v_lshlrev_b32_e32 v0, 2, v77
	s_add_u32 s0, s36, s0
	v_add_co_u32_e32 v0, vcc, s0, v0
	s_mul_i32 s0, s24, 24
	v_writelane_b32 v85, s0, 25
	s_mul_i32 s0, s24, 22
	v_writelane_b32 v85, s0, 26
	;; [unrolled: 2-line block ×4, first 2 shown]
	s_mul_i32 s0, s24, 14
	s_addc_u32 s1, s37, s1
	v_writelane_b32 v85, s0, 29
	s_lshl_b32 s0, s24, 1
	v_writelane_b32 v85, s0, 30
	s_mul_i32 s0, s23, 3
	v_writelane_b32 v85, s0, 31
	s_mul_i32 s0, s23, 5
	v_mov_b32_e32 v1, s1
	v_writelane_b32 v85, s0, 32
	s_mul_i32 s0, s23, 6
	v_addc_co_u32_e32 v1, vcc, 0, v1, vcc
	s_lshl_b32 s66, s23, 1
	s_lshl_b32 s68, s23, 2
	v_writelane_b32 v85, s0, 33
	s_mul_i32 s71, s23, 7
	s_lshl_b32 s72, s23, 3
	s_mul_i32 s73, s23, 9
	s_mul_i32 s74, s23, 10
	s_mul_i32 s75, s23, 11
	s_mul_i32 s76, s23, 12
	s_mul_i32 s77, s23, 13
	s_mul_i32 s78, s23, 14
	s_mul_i32 s79, s23, 15
	s_lshl_b32 s80, s23, 4
	v_mov_b32_e32 v82, s10
	s_mul_i32 s81, s23, 17
	v_mov_b32_e32 v83, 0
	v_accvgpr_write_b32 a15, 0
	v_accvgpr_write_b32 a14, 0
	;; [unrolled: 1-line block ×16, first 2 shown]
	v_mov_b32_e32 v84, s57
	s_mul_i32 s57, s23, 18
	s_mul_i32 s82, s23, 19
	;; [unrolled: 1-line block ×14, first 2 shown]
	s_lshl_b32 s95, s23, 5
	s_mul_i32 s10, s23, 33
	s_mul_i32 s11, s23, 34
	;; [unrolled: 1-line block ×31, first 2 shown]
	s_mov_b64 s[22:23], 0
	s_branch .LBB109_53
.LBB109_52:                             ;   in Loop: Header=BB109_53 Depth=1
	s_waitcnt vmcnt(0)
	v_cvt_f16_f32_e32 v68, v68
	v_cvt_f16_f32_e32 v69, v69
	v_add_u32_e32 v70, 0xc00, v79
	ds_write2_b32 v70, v83, v83 offset0:172 offset1:238
	v_add_co_u32_e32 v0, vcc, 0x400, v0
	v_pack_b32_f16 v68, v68, v69
	ds_write2_b32 v70, v68, v83 offset0:40 offset1:106
	ds_read2_b64 v[68:71], v80 offset0:8 offset1:12
	v_add_u32_e32 v77, 0x100, v77
	v_addc_co_u32_e32 v1, vcc, 0, v1, vcc
	s_waitcnt lgkmcnt(0)
	v_mfma_f32_16x16x16f16 a[12:15], v[18:19], v[68:69], a[12:15]
	v_cmp_le_i32_e32 vcc, s20, v77
	v_add_u32_e32 v81, 0x200, v81
	s_or_b64 s[22:23], vcc, s[22:23]
	v_mfma_f32_16x16x16f16 a[4:7], v[36:37], v[68:69], a[4:7]
	v_mfma_f32_16x16x16f16 a[0:3], v[50:51], v[68:69], a[0:3]
	;; [unrolled: 1-line block ×4, first 2 shown]
	ds_read2_b64 v[16:19], v80 offset0:16 offset1:20
	v_mfma_f32_16x16x16f16 a[4:7], v[34:35], v[70:71], a[4:7]
	v_mfma_f32_16x16x16f16 a[0:3], v[48:49], v[70:71], a[0:3]
	;; [unrolled: 1-line block ×3, first 2 shown]
	s_waitcnt lgkmcnt(0)
	v_mfma_f32_16x16x16f16 a[12:15], v[12:13], v[16:17], a[12:15]
	v_mfma_f32_16x16x16f16 a[4:7], v[30:31], v[16:17], a[4:7]
	;; [unrolled: 1-line block ×8, first 2 shown]
	ds_read2_b64 v[16:19], v80 offset0:24 offset1:28
	s_waitcnt lgkmcnt(0)
	v_mfma_f32_16x16x16f16 a[12:15], v[14:15], v[16:17], a[12:15]
	v_mfma_f32_16x16x16f16 a[4:7], v[26:27], v[16:17], a[4:7]
	;; [unrolled: 1-line block ×5, first 2 shown]
	ds_read2_b64 v[8:11], v80 offset0:32 offset1:36
	v_mfma_f32_16x16x16f16 a[4:7], v[24:25], v[18:19], a[4:7]
	v_mfma_f32_16x16x16f16 a[0:3], v[40:41], v[18:19], a[0:3]
	;; [unrolled: 1-line block ×3, first 2 shown]
	s_waitcnt lgkmcnt(0)
	v_mfma_f32_16x16x16f16 a[12:15], v[6:7], v[8:9], a[12:15]
	v_mfma_f32_16x16x16f16 a[4:7], v[22:23], v[8:9], a[4:7]
	;; [unrolled: 1-line block ×8, first 2 shown]
	s_andn2_b64 exec, exec, s[22:23]
	s_cbranch_execz .LBB109_92
.LBB109_53:                             ; =>This Inner Loop Header: Depth=1
	v_add_co_u32_e32 v4, vcc, s56, v0
	v_addc_co_u32_e32 v5, vcc, v1, v84, vcc
	global_load_dword v20, v[0:1], off
	global_load_dword v21, v[4:5], off
	v_add_u32_e32 v4, s66, v77
	v_ashrrev_i32_e32 v5, 31, v4
	v_lshlrev_b64 v[4:5], 2, v[4:5]
	v_add_co_u32_e32 v4, vcc, s28, v4
	v_addc_co_u32_e32 v5, vcc, v82, v5, vcc
	v_readlane_b32 vcc_lo, v85, 31
	v_add_u32_e32 v6, vcc_lo, v77
	v_ashrrev_i32_e32 v7, 31, v6
	v_lshlrev_b64 v[6:7], 2, v[6:7]
	v_add_u32_e32 v8, s68, v77
	v_add_co_u32_e32 v6, vcc, s28, v6
	v_ashrrev_i32_e32 v9, 31, v8
	v_addc_co_u32_e32 v7, vcc, v82, v7, vcc
	v_lshlrev_b64 v[8:9], 2, v[8:9]
	v_add_co_u32_e32 v8, vcc, s28, v8
	v_addc_co_u32_e32 v9, vcc, v82, v9, vcc
	v_readlane_b32 vcc_lo, v85, 32
	v_add_u32_e32 v10, vcc_lo, v77
	v_ashrrev_i32_e32 v11, 31, v10
	v_lshlrev_b64 v[10:11], 2, v[10:11]
	v_add_co_u32_e32 v10, vcc, s28, v10
	v_addc_co_u32_e32 v11, vcc, v82, v11, vcc
	v_readlane_b32 vcc_lo, v85, 33
	v_add_u32_e32 v12, vcc_lo, v77
	v_ashrrev_i32_e32 v13, 31, v12
	v_lshlrev_b64 v[12:13], 2, v[12:13]
	v_add_u32_e32 v14, s71, v77
	v_add_co_u32_e32 v12, vcc, s28, v12
	v_ashrrev_i32_e32 v15, 31, v14
	v_addc_co_u32_e32 v13, vcc, v82, v13, vcc
	v_lshlrev_b64 v[14:15], 2, v[14:15]
	v_add_u32_e32 v16, s72, v77
	v_add_co_u32_e32 v14, vcc, s28, v14
	v_ashrrev_i32_e32 v17, 31, v16
	v_addc_co_u32_e32 v15, vcc, v82, v15, vcc
	;; [unrolled: 5-line block ×3, first 2 shown]
	v_lshlrev_b64 v[18:19], 2, v[18:19]
	v_add_co_u32_e32 v18, vcc, s28, v18
	v_addc_co_u32_e32 v19, vcc, v82, v19, vcc
	global_load_dword v22, v[4:5], off
	global_load_dword v23, v[6:7], off
	global_load_dword v24, v[8:9], off
	global_load_dword v25, v[10:11], off
	global_load_dword v26, v[12:13], off
	global_load_dword v27, v[14:15], off
	s_nop 0
	global_load_dword v16, v[16:17], off
	s_nop 0
	global_load_dword v17, v[18:19], off
	v_add_u32_e32 v4, s74, v77
	v_ashrrev_i32_e32 v5, 31, v4
	v_lshlrev_b64 v[4:5], 2, v[4:5]
	v_add_u32_e32 v6, s75, v77
	v_add_co_u32_e32 v4, vcc, s28, v4
	v_ashrrev_i32_e32 v7, 31, v6
	v_addc_co_u32_e32 v5, vcc, v82, v5, vcc
	v_lshlrev_b64 v[6:7], 2, v[6:7]
	v_add_u32_e32 v8, s76, v77
	v_add_co_u32_e32 v6, vcc, s28, v6
	v_ashrrev_i32_e32 v9, 31, v8
	v_addc_co_u32_e32 v7, vcc, v82, v7, vcc
	;; [unrolled: 5-line block ×5, first 2 shown]
	v_lshlrev_b64 v[14:15], 2, v[14:15]
	v_add_co_u32_e32 v14, vcc, s28, v14
	v_addc_co_u32_e32 v15, vcc, v82, v15, vcc
	global_load_dword v18, v[4:5], off
	global_load_dword v19, v[6:7], off
	s_nop 0
	global_load_dword v8, v[8:9], off
	s_nop 0
	;; [unrolled: 2-line block ×3, first 2 shown]
	global_load_dword v10, v[12:13], off
	global_load_dword v11, v[14:15], off
	v_add_u32_e32 v4, s80, v77
	v_ashrrev_i32_e32 v5, 31, v4
	v_lshlrev_b64 v[4:5], 2, v[4:5]
	v_add_u32_e32 v6, s81, v77
	v_add_co_u32_e32 v4, vcc, s28, v4
	v_ashrrev_i32_e32 v7, 31, v6
	v_addc_co_u32_e32 v5, vcc, v82, v5, vcc
	v_lshlrev_b64 v[6:7], 2, v[6:7]
	s_waitcnt vmcnt(15)
	ds_write_b32 v79, v20 offset:64
	s_waitcnt vmcnt(14)
	ds_write_b32 v79, v21 offset:328
	;; [unrolled: 2-line block ×10, first 2 shown]
	v_add_co_u32_e32 v6, vcc, s28, v6
	v_addc_co_u32_e32 v7, vcc, v82, v7, vcc
	global_load_dword v20, v[4:5], off
	global_load_dword v21, v[6:7], off
	v_add_u32_e32 v4, s57, v77
	v_ashrrev_i32_e32 v5, 31, v4
	v_lshlrev_b64 v[4:5], 2, v[4:5]
	v_add_u32_e32 v6, s82, v77
	v_add_co_u32_e32 v4, vcc, s28, v4
	v_ashrrev_i32_e32 v7, 31, v6
	s_waitcnt vmcnt(7)
	ds_write_b32 v79, v18 offset:2704
	s_waitcnt vmcnt(6)
	ds_write_b32 v79, v19 offset:2968
	;; [unrolled: 2-line block ×6, first 2 shown]
	v_addc_co_u32_e32 v5, vcc, v82, v5, vcc
	v_lshlrev_b64 v[6:7], 2, v[6:7]
	v_add_u32_e32 v8, s83, v77
	v_add_co_u32_e32 v6, vcc, s28, v6
	v_ashrrev_i32_e32 v9, 31, v8
	v_addc_co_u32_e32 v7, vcc, v82, v7, vcc
	v_lshlrev_b64 v[8:9], 2, v[8:9]
	v_add_u32_e32 v10, s84, v77
	v_add_co_u32_e32 v8, vcc, s28, v8
	v_ashrrev_i32_e32 v11, 31, v10
	v_addc_co_u32_e32 v9, vcc, v82, v9, vcc
	v_lshlrev_b64 v[10:11], 2, v[10:11]
	v_add_u32_e32 v12, s85, v77
	v_add_co_u32_e32 v10, vcc, s28, v10
	v_ashrrev_i32_e32 v13, 31, v12
	v_addc_co_u32_e32 v11, vcc, v82, v11, vcc
	v_lshlrev_b64 v[12:13], 2, v[12:13]
	v_add_u32_e32 v14, s86, v77
	v_add_co_u32_e32 v12, vcc, s28, v12
	v_ashrrev_i32_e32 v15, 31, v14
	v_addc_co_u32_e32 v13, vcc, v82, v13, vcc
	v_lshlrev_b64 v[14:15], 2, v[14:15]
	v_add_u32_e32 v16, s87, v77
	v_add_co_u32_e32 v14, vcc, s28, v14
	v_ashrrev_i32_e32 v17, 31, v16
	v_addc_co_u32_e32 v15, vcc, v82, v15, vcc
	v_lshlrev_b64 v[16:17], 2, v[16:17]
	v_add_u32_e32 v18, s88, v77
	v_add_co_u32_e32 v16, vcc, s28, v16
	v_ashrrev_i32_e32 v19, 31, v18
	v_addc_co_u32_e32 v17, vcc, v82, v17, vcc
	v_lshlrev_b64 v[18:19], 2, v[18:19]
	v_add_co_u32_e32 v18, vcc, s28, v18
	v_addc_co_u32_e32 v19, vcc, v82, v19, vcc
	global_load_dword v26, v[4:5], off
	global_load_dword v27, v[6:7], off
	global_load_dword v28, v[8:9], off
	global_load_dword v29, v[10:11], off
	global_load_dword v30, v[12:13], off
	global_load_dword v31, v[14:15], off
	global_load_dword v32, v[16:17], off
	global_load_dword v33, v[18:19], off
	v_add_u32_e32 v4, s89, v77
	v_ashrrev_i32_e32 v5, 31, v4
	v_lshlrev_b64 v[4:5], 2, v[4:5]
	v_add_u32_e32 v6, s90, v77
	v_add_co_u32_e32 v4, vcc, s28, v4
	v_ashrrev_i32_e32 v7, 31, v6
	v_addc_co_u32_e32 v5, vcc, v82, v5, vcc
	v_lshlrev_b64 v[6:7], 2, v[6:7]
	v_add_u32_e32 v8, s91, v77
	v_add_co_u32_e32 v6, vcc, s28, v6
	v_ashrrev_i32_e32 v9, 31, v8
	v_addc_co_u32_e32 v7, vcc, v82, v7, vcc
	v_lshlrev_b64 v[8:9], 2, v[8:9]
	v_add_u32_e32 v10, s92, v77
	v_add_co_u32_e32 v8, vcc, s28, v8
	v_ashrrev_i32_e32 v11, 31, v10
	v_addc_co_u32_e32 v9, vcc, v82, v9, vcc
	v_lshlrev_b64 v[10:11], 2, v[10:11]
	v_add_u32_e32 v12, s93, v77
	v_add_co_u32_e32 v10, vcc, s28, v10
	v_ashrrev_i32_e32 v13, 31, v12
	v_addc_co_u32_e32 v11, vcc, v82, v11, vcc
	v_lshlrev_b64 v[12:13], 2, v[12:13]
	v_add_u32_e32 v14, s94, v77
	v_add_co_u32_e32 v12, vcc, s28, v12
	v_ashrrev_i32_e32 v15, 31, v14
	v_addc_co_u32_e32 v13, vcc, v82, v13, vcc
	v_lshlrev_b64 v[14:15], 2, v[14:15]
	v_add_u32_e32 v16, s95, v77
	v_add_co_u32_e32 v14, vcc, s28, v14
	v_ashrrev_i32_e32 v17, 31, v16
	v_addc_co_u32_e32 v15, vcc, v82, v15, vcc
	v_lshlrev_b64 v[16:17], 2, v[16:17]
	v_add_u32_e32 v18, s10, v77
	v_add_co_u32_e32 v16, vcc, s28, v16
	v_ashrrev_i32_e32 v19, 31, v18
	v_addc_co_u32_e32 v17, vcc, v82, v17, vcc
	v_lshlrev_b64 v[18:19], 2, v[18:19]
	v_add_co_u32_e32 v18, vcc, s28, v18
	v_addc_co_u32_e32 v19, vcc, v82, v19, vcc
	global_load_dword v34, v[4:5], off
	global_load_dword v35, v[6:7], off
	global_load_dword v36, v[8:9], off
	global_load_dword v37, v[10:11], off
	global_load_dword v38, v[12:13], off
	global_load_dword v39, v[14:15], off
	global_load_dword v40, v[16:17], off
	global_load_dword v41, v[18:19], off
	v_add_u32_e32 v4, s11, v77
	v_ashrrev_i32_e32 v5, 31, v4
	v_lshlrev_b64 v[4:5], 2, v[4:5]
	v_add_u32_e32 v6, s19, v77
	v_add_co_u32_e32 v4, vcc, s28, v4
	v_ashrrev_i32_e32 v7, 31, v6
	;; [unrolled: 48-line block ×5, first 2 shown]
	v_addc_co_u32_e32 v5, vcc, v82, v5, vcc
	v_lshlrev_b64 v[6:7], 2, v[6:7]
	v_add_u32_e32 v8, s9, v77
	v_add_co_u32_e32 v6, vcc, s28, v6
	v_ashrrev_i32_e32 v9, 31, v8
	v_addc_co_u32_e32 v7, vcc, v82, v7, vcc
	v_lshlrev_b64 v[8:9], 2, v[8:9]
	v_add_co_u32_e32 v10, vcc, s28, v8
	v_add_u32_e32 v8, s67, v77
	v_addc_co_u32_e32 v11, vcc, v82, v9, vcc
	v_ashrrev_i32_e32 v9, 31, v8
	v_lshlrev_b64 v[8:9], 2, v[8:9]
	v_add_co_u32_e32 v14, vcc, s28, v8
	v_add_u32_e32 v8, s69, v77
	v_addc_co_u32_e32 v15, vcc, v82, v9, vcc
	v_ashrrev_i32_e32 v9, 31, v8
	v_lshlrev_b64 v[8:9], 2, v[8:9]
	v_add_co_u32_e32 v22, vcc, s28, v8
	v_add_u32_e32 v8, s70, v77
	v_addc_co_u32_e32 v23, vcc, v82, v9, vcc
	v_ashrrev_i32_e32 v9, 31, v8
	v_lshlrev_b64 v[8:9], 2, v[8:9]
	v_add_co_u32_e32 v24, vcc, s28, v8
	v_addc_co_u32_e32 v25, vcc, v82, v9, vcc
	ds_read_b64 v[18:19], v80 offset:64
	ds_read_b64 v[16:17], v80 offset:96
	;; [unrolled: 1-line block ×4, first 2 shown]
	global_load_dword v66, v[4:5], off
	global_load_dword v67, v[6:7], off
	;; [unrolled: 1-line block ×6, first 2 shown]
	ds_read_b64 v[14:15], v80 offset:192
	ds_read_b64 v[10:11], v80 offset:224
	ds_read_b64 v[6:7], v80 offset:256
	ds_read_b64 v[4:5], v80 offset:288
	s_waitcnt vmcnt(47)
	ds_write_b32 v79, v20 offset:64
	s_waitcnt vmcnt(46)
	ds_write_b32 v79, v21 offset:328
	s_waitcnt vmcnt(45)
	ds_write_b32 v79, v26 offset:592
	s_waitcnt vmcnt(44)
	ds_write_b32 v79, v27 offset:856
	s_waitcnt vmcnt(43)
	ds_write_b32 v79, v28 offset:1120
	s_waitcnt vmcnt(42)
	ds_write_b32 v79, v29 offset:1384
	s_waitcnt vmcnt(41)
	ds_write_b32 v79, v30 offset:1648
	s_waitcnt vmcnt(40)
	ds_write_b32 v79, v31 offset:1912
	s_waitcnt vmcnt(39)
	ds_write_b32 v79, v32 offset:2176
	s_waitcnt vmcnt(38)
	ds_write_b32 v79, v33 offset:2440
	s_waitcnt vmcnt(37)
	ds_write_b32 v79, v34 offset:2704
	s_waitcnt vmcnt(36)
	ds_write_b32 v79, v35 offset:2968
	s_waitcnt vmcnt(35)
	ds_write_b32 v79, v36 offset:3232
	s_waitcnt vmcnt(34)
	ds_write_b32 v79, v37 offset:3496
	s_waitcnt vmcnt(33)
	ds_write_b32 v79, v38 offset:3760
	s_waitcnt vmcnt(32)
	ds_write_b32 v79, v39 offset:4024
	ds_read_b64 v[36:37], v80 offset:64
	ds_read_b64 v[34:35], v80 offset:96
	ds_read_b64 v[30:31], v80 offset:128
	ds_read_b64 v[28:29], v80 offset:160
	ds_read_b64 v[26:27], v80 offset:192
	ds_read_b64 v[24:25], v80 offset:224
	ds_read_b64 v[22:23], v80 offset:256
	ds_read_b64 v[20:21], v80 offset:288
	s_waitcnt vmcnt(31)
	ds_write_b32 v79, v40 offset:64
	s_waitcnt vmcnt(30)
	ds_write_b32 v79, v41 offset:328
	s_waitcnt vmcnt(29)
	ds_write_b32 v79, v42 offset:592
	s_waitcnt vmcnt(28)
	ds_write_b32 v79, v43 offset:856
	s_waitcnt vmcnt(27)
	ds_write_b32 v79, v44 offset:1120
	s_waitcnt vmcnt(26)
	ds_write_b32 v79, v45 offset:1384
	s_waitcnt vmcnt(25)
	ds_write_b32 v79, v46 offset:1648
	s_waitcnt vmcnt(24)
	ds_write_b32 v79, v47 offset:1912
	s_waitcnt vmcnt(23)
	ds_write_b32 v79, v48 offset:2176
	s_waitcnt vmcnt(22)
	ds_write_b32 v79, v49 offset:2440
	s_waitcnt vmcnt(21)
	ds_write_b32 v79, v50 offset:2704
	s_waitcnt vmcnt(20)
	ds_write_b32 v79, v51 offset:2968
	s_waitcnt vmcnt(19)
	ds_write_b32 v79, v52 offset:3232
	s_waitcnt vmcnt(18)
	ds_write_b32 v79, v53 offset:3496
	s_waitcnt vmcnt(17)
	ds_write_b32 v79, v54 offset:3760
	s_waitcnt vmcnt(16)
	ds_write_b32 v79, v55 offset:4024
	ds_read_b64 v[50:51], v80 offset:64
	ds_read_b64 v[48:49], v80 offset:96
	ds_read_b64 v[46:47], v80 offset:128
	ds_read_b64 v[44:45], v80 offset:160
	;; [unrolled: 40-line block ×3, first 2 shown]
	ds_read_b64 v[62:63], v80 offset:192
	ds_read_b64 v[58:59], v80 offset:224
	;; [unrolled: 1-line block ×4, first 2 shown]
	s_andn2_b64 vcc, exec, s[6:7]
	v_mov_b32_e32 v68, 0
	v_mov_b32_e32 v69, 0
	s_cbranch_vccnz .LBB109_56
; %bb.54:                               ;   in Loop: Header=BB109_53 Depth=1
	ds_read_b32 v70, v78
	v_mov_b32_e32 v69, 0
	v_mov_b32_e32 v68, 0
	s_waitcnt lgkmcnt(0)
	v_cmp_gt_i32_e32 vcc, 0, v70
	s_cbranch_vccnz .LBB109_56
; %bb.55:                               ;   in Loop: Header=BB109_53 Depth=1
	v_mul_lo_u32 v68, v70, s29
	v_add_u32_e32 v68, v81, v68
	v_ashrrev_i32_e32 v69, 31, v68
	v_lshlrev_b64 v[68:69], 2, v[68:69]
	v_mov_b32_e32 v70, s33
	v_add_co_u32_e32 v68, vcc, s31, v68
	v_addc_co_u32_e32 v69, vcc, v70, v69, vcc
	global_load_dwordx2 v[68:69], v[68:69], off
.LBB109_56:                             ;   in Loop: Header=BB109_53 Depth=1
	s_waitcnt vmcnt(0)
	v_cvt_f16_f32_e32 v68, v68
	v_cvt_f16_f32_e32 v69, v69
	s_andn2_b64 vcc, exec, s[16:17]
	v_mov_b32_e32 v70, 0
	v_mov_b32_e32 v71, 0
	v_pack_b32_f16 v68, v68, v69
	ds_write_b32 v79, v68 offset:64
	v_mov_b32_e32 v68, 0
	s_cbranch_vccnz .LBB109_59
; %bb.57:                               ;   in Loop: Header=BB109_53 Depth=1
	ds_read_b32 v69, v78 offset:4
	v_mov_b32_e32 v71, 0
	v_mov_b32_e32 v70, 0
	s_waitcnt lgkmcnt(0)
	v_cmp_gt_i32_e32 vcc, 0, v69
	s_cbranch_vccnz .LBB109_59
; %bb.58:                               ;   in Loop: Header=BB109_53 Depth=1
	v_mul_lo_u32 v69, v69, s29
	v_readlane_b32 vcc_lo, v85, 30
	v_add_u32_e32 v69, vcc_lo, v69
	v_add_u32_e32 v70, v69, v81
	v_ashrrev_i32_e32 v71, 31, v70
	v_lshlrev_b64 v[70:71], 2, v[70:71]
	v_mov_b32_e32 v69, s33
	v_add_co_u32_e32 v70, vcc, s31, v70
	v_addc_co_u32_e32 v71, vcc, v69, v71, vcc
	global_load_dwordx2 v[70:71], v[70:71], off
.LBB109_59:                             ;   in Loop: Header=BB109_53 Depth=1
	s_waitcnt vmcnt(0)
	v_cvt_f16_f32_e32 v69, v70
	v_cvt_f16_f32_e32 v70, v71
	s_andn2_b64 vcc, exec, s[26:27]
	v_pack_b32_f16 v69, v69, v70
	ds_write_b32 v79, v69 offset:328
	v_mov_b32_e32 v69, 0
	s_cbranch_vccnz .LBB109_62
; %bb.60:                               ;   in Loop: Header=BB109_53 Depth=1
	ds_read_b32 v70, v78 offset:8
	v_mov_b32_e32 v69, 0
	v_mov_b32_e32 v68, 0
	s_waitcnt lgkmcnt(0)
	v_cmp_gt_i32_e32 vcc, 0, v70
	s_cbranch_vccnz .LBB109_62
; %bb.61:                               ;   in Loop: Header=BB109_53 Depth=1
	v_mul_lo_u32 v68, v70, s29
	v_readlane_b32 vcc_lo, v85, 18
	v_add_u32_e32 v68, vcc_lo, v68
	v_add_u32_e32 v68, v68, v81
	v_ashrrev_i32_e32 v69, 31, v68
	v_lshlrev_b64 v[68:69], 2, v[68:69]
	v_mov_b32_e32 v70, s33
	v_add_co_u32_e32 v68, vcc, s31, v68
	v_addc_co_u32_e32 v69, vcc, v70, v69, vcc
	global_load_dwordx2 v[68:69], v[68:69], off
.LBB109_62:                             ;   in Loop: Header=BB109_53 Depth=1
	s_waitcnt vmcnt(0)
	v_cvt_f16_f32_e32 v68, v68
	v_cvt_f16_f32_e32 v69, v69
	s_andn2_b64 vcc, exec, s[34:35]
	v_mov_b32_e32 v70, 0
	v_mov_b32_e32 v71, 0
	v_pack_b32_f16 v68, v68, v69
	ds_write_b32 v79, v68 offset:592
	v_mov_b32_e32 v68, 0
	s_cbranch_vccnz .LBB109_65
; %bb.63:                               ;   in Loop: Header=BB109_53 Depth=1
	ds_read_b32 v69, v78 offset:12
	v_mov_b32_e32 v71, 0
	v_mov_b32_e32 v70, 0
	s_waitcnt lgkmcnt(0)
	v_cmp_gt_i32_e32 vcc, 0, v69
	s_cbranch_vccnz .LBB109_65
; %bb.64:                               ;   in Loop: Header=BB109_53 Depth=1
	v_mul_lo_u32 v69, v69, s29
	v_readlane_b32 vcc_lo, v85, 20
	v_add_u32_e32 v69, vcc_lo, v69
	v_add_u32_e32 v70, v69, v81
	v_ashrrev_i32_e32 v71, 31, v70
	v_lshlrev_b64 v[70:71], 2, v[70:71]
	v_mov_b32_e32 v69, s33
	v_add_co_u32_e32 v70, vcc, s31, v70
	v_addc_co_u32_e32 v71, vcc, v69, v71, vcc
	global_load_dwordx2 v[70:71], v[70:71], off
.LBB109_65:                             ;   in Loop: Header=BB109_53 Depth=1
	s_waitcnt vmcnt(0)
	v_cvt_f16_f32_e32 v69, v70
	v_cvt_f16_f32_e32 v70, v71
	s_andn2_b64 vcc, exec, s[38:39]
	v_pack_b32_f16 v69, v69, v70
	ds_write_b32 v79, v69 offset:856
	v_mov_b32_e32 v69, 0
	s_cbranch_vccnz .LBB109_68
; %bb.66:                               ;   in Loop: Header=BB109_53 Depth=1
	ds_read_b32 v70, v78 offset:16
	v_mov_b32_e32 v69, 0
	v_mov_b32_e32 v68, 0
	s_waitcnt lgkmcnt(0)
	v_cmp_gt_i32_e32 vcc, 0, v70
	s_cbranch_vccnz .LBB109_68
; %bb.67:                               ;   in Loop: Header=BB109_53 Depth=1
	v_mul_lo_u32 v68, v70, s29
	v_readlane_b32 vcc_lo, v85, 19
	v_add_u32_e32 v68, vcc_lo, v68
	v_add_u32_e32 v68, v68, v81
	v_ashrrev_i32_e32 v69, 31, v68
	v_lshlrev_b64 v[68:69], 2, v[68:69]
	v_mov_b32_e32 v70, s33
	v_add_co_u32_e32 v68, vcc, s31, v68
	v_addc_co_u32_e32 v69, vcc, v70, v69, vcc
	global_load_dwordx2 v[68:69], v[68:69], off
.LBB109_68:                             ;   in Loop: Header=BB109_53 Depth=1
	;; [unrolled: 56-line block ×5, first 2 shown]
	s_waitcnt vmcnt(0)
	v_cvt_f16_f32_e32 v68, v68
	v_cvt_f16_f32_e32 v69, v69
	s_andn2_b64 vcc, exec, s[52:53]
	v_mov_b32_e32 v70, 0
	v_mov_b32_e32 v71, 0
	v_pack_b32_f16 v68, v68, v69
	ds_write_b32 v79, v68 offset:2704
	v_mov_b32_e32 v68, 0
	s_cbranch_vccnz .LBB109_89
; %bb.87:                               ;   in Loop: Header=BB109_53 Depth=1
	ds_read_b32 v69, v78 offset:44
	v_mov_b32_e32 v71, 0
	v_mov_b32_e32 v70, 0
	s_waitcnt lgkmcnt(0)
	v_cmp_gt_i32_e32 vcc, 0, v69
	s_cbranch_vccnz .LBB109_89
; %bb.88:                               ;   in Loop: Header=BB109_53 Depth=1
	v_mul_lo_u32 v69, v69, s29
	v_readlane_b32 vcc_lo, v85, 26
	v_add_u32_e32 v69, vcc_lo, v69
	v_add_u32_e32 v70, v69, v81
	v_ashrrev_i32_e32 v71, 31, v70
	v_lshlrev_b64 v[70:71], 2, v[70:71]
	v_mov_b32_e32 v69, s33
	v_add_co_u32_e32 v70, vcc, s31, v70
	v_addc_co_u32_e32 v71, vcc, v69, v71, vcc
	global_load_dwordx2 v[70:71], v[70:71], off
.LBB109_89:                             ;   in Loop: Header=BB109_53 Depth=1
	s_waitcnt vmcnt(0)
	v_cvt_f16_f32_e32 v69, v70
	v_cvt_f16_f32_e32 v70, v71
	s_andn2_b64 vcc, exec, s[54:55]
	v_pack_b32_f16 v69, v69, v70
	ds_write_b32 v79, v69 offset:2968
	v_mov_b32_e32 v69, 0
	s_cbranch_vccnz .LBB109_52
; %bb.90:                               ;   in Loop: Header=BB109_53 Depth=1
	ds_read_b32 v70, v78 offset:48
	v_mov_b32_e32 v69, 0
	v_mov_b32_e32 v68, 0
	s_waitcnt lgkmcnt(0)
	v_cmp_gt_i32_e32 vcc, 0, v70
	s_cbranch_vccnz .LBB109_52
; %bb.91:                               ;   in Loop: Header=BB109_53 Depth=1
	v_mul_lo_u32 v68, v70, s29
	v_readlane_b32 vcc_lo, v85, 25
	v_add_u32_e32 v68, vcc_lo, v68
	v_add_u32_e32 v68, v68, v81
	v_ashrrev_i32_e32 v69, 31, v68
	v_lshlrev_b64 v[68:69], 2, v[68:69]
	v_mov_b32_e32 v70, s33
	v_add_co_u32_e32 v68, vcc, s31, v68
	v_addc_co_u32_e32 v69, vcc, v70, v69, vcc
	global_load_dwordx2 v[68:69], v[68:69], off
	s_branch .LBB109_52
.LBB109_92:
	s_or_b64 exec, exec, s[22:23]
	v_readlane_b32 s44, v85, 10
	v_readlane_b32 s16, v85, 14
	v_readlane_b32 s8, v85, 13
	v_readlane_b32 s54, v85, 23
	v_readlane_b32 s45, v85, 11
	v_readlane_b32 s18, v85, 16
	v_readlane_b32 s6, v85, 12
	v_readlane_b32 s17, v85, 15
	v_readlane_b32 s19, v85, 17
.LBB109_93:
	v_readlane_b32 s0, v85, 8
	v_readlane_b32 s1, v85, 9
	s_or_b64 exec, exec, s[0:1]
	v_mul_u32_u24_e32 v0, 0x408, v76
	s_movk_i32 s1, 0x100
	v_lshlrev_b32_e32 v1, 2, v3
	v_add3_u32 v0, s1, v0, v1
	v_and_b32_e32 v3, 0x3f0, v2
	v_add_u32_e32 v4, v0, v3
	s_barrier
	ds_write2_b32 v4, a12, a13 offset0:16 offset1:17
	v_or_b32_e32 v4, 12, v2
	v_add_u32_e32 v1, 64, v0
	v_and_b32_e32 v4, 0x3fc, v4
	v_add_u32_e32 v3, v1, v3
	v_add_u32_e32 v0, v0, v4
	ds_write_b32 v3, a14 offset:8
	ds_write_b32 v0, a15 offset:64
	ds_write2_b32 v3, a4, a5 offset0:16 offset1:17
	ds_write_b32 v3, a6 offset:72
	v_add_u32_e32 v0, v1, v4
	v_mov_b32_e32 v6, 0x100
	s_movk_i32 s0, 0x408
	ds_write_b32 v0, a7 offset:64
	ds_write2_b32 v3, a0, a1 offset0:32 offset1:33
	ds_write_b32 v3, a2 offset:136
	ds_write_b32 v0, a3 offset:128
	ds_write2_b32 v3, a8, a9 offset0:48 offset1:49
	ds_write_b32 v3, a10 offset:200
	ds_write_b32 v0, a11 offset:192
	v_lshl_add_u32 v3, v2, 2, v6
	v_mad_u32_u24 v0, v72, s0, v3
	s_waitcnt lgkmcnt(0)
	s_barrier
	ds_read2_b32 v[4:5], v0 offset0:16 offset1:80
	ds_read2_b32 v[0:1], v0 offset0:144 offset1:208
	v_cmp_gt_u32_e32 vcc, 13, v72
	v_mov_b32_e32 v8, -1
	s_and_saveexec_b64 s[4:5], vcc
	s_cbranch_execz .LBB109_95
; %bb.94:
	v_lshl_add_u32 v6, v72, 2, v6
	ds_read_b32 v8, v6
.LBB109_95:
	s_or_b64 exec, exec, s[4:5]
	s_mul_hi_i32 s1, s18, s8
	s_mul_i32 s0, s18, s8
	s_lshl_b64 s[0:1], s[0:1], 2
	v_readlane_b32 s4, v85, 6
	s_mul_hi_i32 s3, s54, s25
	s_mul_i32 s2, s54, s25
	v_readlane_b32 s5, v85, 7
	s_add_u32 s4, s4, s0
	s_addc_u32 s5, s5, s1
	s_lshl_b64 s[0:1], s[2:3], 2
	s_add_u32 s2, s4, s0
	s_waitcnt lgkmcnt(0)
	v_cmp_lt_i32_e32 vcc, -1, v8
	v_mul_u32_u24_e32 v7, 0x408, v72
	v_add_u32_e32 v6, s6, v2
	s_addc_u32 s3, s5, s1
	s_and_b64 s[4:5], vcc, s[44:45]
	s_and_saveexec_b64 s[0:1], s[4:5]
	s_cbranch_execz .LBB109_97
; %bb.96:
	v_add_f32_e32 v2, 0, v4
	v_add_f32_e32 v2, v2, v5
	;; [unrolled: 1-line block ×4, first 2 shown]
	v_mul_lo_u32 v0, v8, s30
	v_mul_lo_u32 v1, v72, s25
	v_add3_u32 v0, v6, v1, v0
	v_mov_b32_e32 v1, 0
	v_lshlrev_b64 v[0:1], 2, v[0:1]
	v_mov_b32_e32 v4, s3
	v_add_co_u32_e32 v0, vcc, s2, v0
	v_addc_co_u32_e32 v1, vcc, v4, v1, vcc
	global_store_dword v[0:1], v2, off
.LBB109_97:
	s_or_b64 exec, exec, s[0:1]
	v_add_u32_e32 v4, v7, v3
	v_add_u32_e32 v0, 0x60, v4
	ds_read2st64_b32 v[2:3], v0 offset0:16 offset1:17
	ds_read2st64_b32 v[0:1], v0 offset0:18 offset1:19
	v_cmp_gt_u32_e32 vcc, 9, v72
	v_mov_b32_e32 v5, -1
	s_and_saveexec_b64 s[0:1], vcc
	s_cbranch_execz .LBB109_99
; %bb.98:
	v_mov_b32_e32 v5, 0x100
	v_lshl_add_u32 v5, v72, 2, v5
	ds_read_b32 v5, v5 offset:16
.LBB109_99:
	s_or_b64 exec, exec, s[0:1]
	v_readlane_b32 s0, v85, 0
	s_waitcnt lgkmcnt(0)
	v_cmp_lt_i32_e32 vcc, -1, v5
	v_readlane_b32 s1, v85, 1
	s_and_b64 s[4:5], vcc, s[0:1]
	s_and_saveexec_b64 s[0:1], s[4:5]
	s_cbranch_execz .LBB109_101
; %bb.100:
	v_add_f32_e32 v2, 0, v2
	v_add_f32_e32 v2, v2, v3
	;; [unrolled: 1-line block ×4, first 2 shown]
	v_mul_lo_u32 v0, v5, s30
	v_mul_lo_u32 v1, v73, s25
	v_add3_u32 v0, v6, v1, v0
	v_mov_b32_e32 v1, 0
	v_lshlrev_b64 v[0:1], 2, v[0:1]
	v_mov_b32_e32 v3, s3
	v_add_co_u32_e32 v0, vcc, s2, v0
	v_addc_co_u32_e32 v1, vcc, v3, v1, vcc
	global_store_dword v[0:1], v2, off
.LBB109_101:
	s_or_b64 exec, exec, s[0:1]
	v_add_u32_e32 v0, 0x80, v4
	ds_read2st64_b32 v[2:3], v0 offset0:32 offset1:33
	ds_read2st64_b32 v[0:1], v0 offset0:34 offset1:35
	v_cmp_gt_u32_e32 vcc, 5, v72
	v_mov_b32_e32 v5, -1
	s_and_saveexec_b64 s[0:1], vcc
	s_cbranch_execz .LBB109_103
; %bb.102:
	v_mov_b32_e32 v5, 0x100
	v_lshl_add_u32 v5, v72, 2, v5
	ds_read_b32 v5, v5 offset:32
.LBB109_103:
	s_or_b64 exec, exec, s[0:1]
	v_readlane_b32 s0, v85, 2
	s_waitcnt lgkmcnt(0)
	v_cmp_lt_i32_e32 vcc, -1, v5
	v_readlane_b32 s1, v85, 3
	s_and_b64 s[4:5], vcc, s[0:1]
	s_and_saveexec_b64 s[0:1], s[4:5]
	s_cbranch_execz .LBB109_105
; %bb.104:
	v_add_f32_e32 v2, 0, v2
	v_add_f32_e32 v2, v2, v3
	;; [unrolled: 1-line block ×4, first 2 shown]
	v_mul_lo_u32 v0, v5, s30
	v_mul_lo_u32 v1, v74, s25
	v_add3_u32 v0, v6, v1, v0
	v_mov_b32_e32 v1, 0
	v_lshlrev_b64 v[0:1], 2, v[0:1]
	v_mov_b32_e32 v3, s3
	v_add_co_u32_e32 v0, vcc, s2, v0
	v_addc_co_u32_e32 v1, vcc, v3, v1, vcc
	global_store_dword v[0:1], v2, off
.LBB109_105:
	s_or_b64 exec, exec, s[0:1]
	v_cmp_eq_u32_e32 vcc, 0, v72
	s_and_saveexec_b64 s[0:1], vcc
	s_cbranch_execz .LBB109_108
; %bb.106:
	v_mov_b32_e32 v0, 0x100
	ds_read_b32 v0, v0 offset:48
	v_readlane_b32 s4, v85, 4
	v_readlane_b32 s5, v85, 5
	s_waitcnt lgkmcnt(0)
	v_readfirstlane_b32 s0, v0
	s_cmp_gt_i32 s0, -1
	s_cselect_b64 s[0:1], -1, 0
	s_and_b64 s[0:1], s[0:1], s[4:5]
	s_and_b64 exec, exec, s[0:1]
	s_cbranch_execz .LBB109_108
; %bb.107:
	v_add_u32_e32 v1, 0xa0, v4
	ds_read2st64_b32 v[2:3], v1 offset0:48 offset1:49
	v_mul_lo_u32 v4, v0, s30
	ds_read2st64_b32 v[0:1], v1 offset0:50 offset1:51
	v_mul_lo_u32 v5, v75, s25
	v_add3_u32 v4, v6, v5, v4
	s_waitcnt lgkmcnt(1)
	v_add_f32_e32 v2, 0, v2
	v_add_f32_e32 v2, v2, v3
	s_waitcnt lgkmcnt(0)
	v_add_f32_e32 v0, v2, v0
	v_mov_b32_e32 v5, 0
	v_add_f32_e32 v2, v0, v1
	v_lshlrev_b64 v[0:1], 2, v[4:5]
	v_mov_b32_e32 v3, s3
	v_add_co_u32_e32 v0, vcc, s2, v0
	v_addc_co_u32_e32 v1, vcc, v3, v1, vcc
	global_store_dword v[0:1], v2, off
.LBB109_108:
	s_endpgm
	.section	.rodata,"a",@progbits
	.p2align	6, 0x0
	.amdhsa_kernel _ZL9mul_mat_fI7__half2Li64ELi13ELi4ELb1EEvPKT_PKfPKiPfiiiiiiiiiiiiiiii
		.amdhsa_group_segment_fixed_size 256
		.amdhsa_private_segment_fixed_size 0
		.amdhsa_kernarg_size 352
		.amdhsa_user_sgpr_count 6
		.amdhsa_user_sgpr_private_segment_buffer 1
		.amdhsa_user_sgpr_dispatch_ptr 0
		.amdhsa_user_sgpr_queue_ptr 0
		.amdhsa_user_sgpr_kernarg_segment_ptr 1
		.amdhsa_user_sgpr_dispatch_id 0
		.amdhsa_user_sgpr_flat_scratch_init 0
		.amdhsa_user_sgpr_kernarg_preload_length 0
		.amdhsa_user_sgpr_kernarg_preload_offset 0
		.amdhsa_user_sgpr_private_segment_size 0
		.amdhsa_uses_dynamic_stack 0
		.amdhsa_system_sgpr_private_segment_wavefront_offset 0
		.amdhsa_system_sgpr_workgroup_id_x 1
		.amdhsa_system_sgpr_workgroup_id_y 1
		.amdhsa_system_sgpr_workgroup_id_z 1
		.amdhsa_system_sgpr_workgroup_info 0
		.amdhsa_system_vgpr_workitem_id 2
		.amdhsa_next_free_vgpr 104
		.amdhsa_next_free_sgpr 96
		.amdhsa_accum_offset 88
		.amdhsa_reserve_vcc 1
		.amdhsa_reserve_flat_scratch 0
		.amdhsa_float_round_mode_32 0
		.amdhsa_float_round_mode_16_64 0
		.amdhsa_float_denorm_mode_32 3
		.amdhsa_float_denorm_mode_16_64 3
		.amdhsa_dx10_clamp 1
		.amdhsa_ieee_mode 1
		.amdhsa_fp16_overflow 0
		.amdhsa_tg_split 0
		.amdhsa_exception_fp_ieee_invalid_op 0
		.amdhsa_exception_fp_denorm_src 0
		.amdhsa_exception_fp_ieee_div_zero 0
		.amdhsa_exception_fp_ieee_overflow 0
		.amdhsa_exception_fp_ieee_underflow 0
		.amdhsa_exception_fp_ieee_inexact 0
		.amdhsa_exception_int_div_zero 0
	.end_amdhsa_kernel
	.section	.text._ZL9mul_mat_fI7__half2Li64ELi13ELi4ELb1EEvPKT_PKfPKiPfiiiiiiiiiiiiiiii,"axG",@progbits,_ZL9mul_mat_fI7__half2Li64ELi13ELi4ELb1EEvPKT_PKfPKiPfiiiiiiiiiiiiiiii,comdat
.Lfunc_end109:
	.size	_ZL9mul_mat_fI7__half2Li64ELi13ELi4ELb1EEvPKT_PKfPKiPfiiiiiiiiiiiiiiii, .Lfunc_end109-_ZL9mul_mat_fI7__half2Li64ELi13ELi4ELb1EEvPKT_PKfPKiPfiiiiiiiiiiiiiiii
                                        ; -- End function
	.section	.AMDGPU.csdata,"",@progbits
; Kernel info:
; codeLenInByte = 9380
; NumSgprs: 100
; NumVgprs: 86
; NumAgprs: 16
; TotalNumVgprs: 104
; ScratchSize: 0
; MemoryBound: 0
; FloatMode: 240
; IeeeMode: 1
; LDSByteSize: 256 bytes/workgroup (compile time only)
; SGPRBlocks: 12
; VGPRBlocks: 12
; NumSGPRsForWavesPerEU: 100
; NumVGPRsForWavesPerEU: 104
; AccumOffset: 88
; Occupancy: 4
; WaveLimiterHint : 0
; COMPUTE_PGM_RSRC2:SCRATCH_EN: 0
; COMPUTE_PGM_RSRC2:USER_SGPR: 6
; COMPUTE_PGM_RSRC2:TRAP_HANDLER: 0
; COMPUTE_PGM_RSRC2:TGID_X_EN: 1
; COMPUTE_PGM_RSRC2:TGID_Y_EN: 1
; COMPUTE_PGM_RSRC2:TGID_Z_EN: 1
; COMPUTE_PGM_RSRC2:TIDIG_COMP_CNT: 2
; COMPUTE_PGM_RSRC3_GFX90A:ACCUM_OFFSET: 21
; COMPUTE_PGM_RSRC3_GFX90A:TG_SPLIT: 0
	.section	.text._ZL9mul_mat_fI7__half2Li64ELi13ELi4ELb0EEvPKT_PKfPKiPfiiiiiiiiiiiiiiii,"axG",@progbits,_ZL9mul_mat_fI7__half2Li64ELi13ELi4ELb0EEvPKT_PKfPKiPfiiiiiiiiiiiiiiii,comdat
	.globl	_ZL9mul_mat_fI7__half2Li64ELi13ELi4ELb0EEvPKT_PKfPKiPfiiiiiiiiiiiiiiii ; -- Begin function _ZL9mul_mat_fI7__half2Li64ELi13ELi4ELb0EEvPKT_PKfPKiPfiiiiiiiiiiiiiiii
	.p2align	8
	.type	_ZL9mul_mat_fI7__half2Li64ELi13ELi4ELb0EEvPKT_PKfPKiPfiiiiiiiiiiiiiiii,@function
_ZL9mul_mat_fI7__half2Li64ELi13ELi4ELb0EEvPKT_PKfPKiPfiiiiiiiiiiiiiiii: ; @_ZL9mul_mat_fI7__half2Li64ELi13ELi4ELb0EEvPKT_PKfPKiPfiiiiiiiiiiiiiiii
; %bb.0:
	s_load_dwordx8 s[12:19], s[4:5], 0x40
	s_load_dword s9, s[4:5], 0x20
	s_load_dwordx4 s[0:3], s[4:5], 0x2c
	v_bfe_u32 v88, v0, 10, 10
	v_lshlrev_b32_e32 v90, 6, v88
	v_and_b32_e32 v89, 0x3ff, v0
	s_waitcnt lgkmcnt(0)
	s_abs_i32 s27, s12
	s_abs_i32 s26, s16
	v_cvt_f32_u32_e32 v1, s27
	v_cvt_f32_u32_e32 v2, s26
	v_add_u32_e32 v92, v90, v89
	s_mov_b32 s22, 0
	v_rcp_iflag_f32_e32 v1, v1
	v_rcp_iflag_f32_e32 v2, v2
	s_ashr_i32 s28, s8, 31
	v_cmp_le_i32_e32 vcc, s9, v92
	v_mul_f32_e32 v1, 0x4f7ffffe, v1
	v_mul_f32_e32 v2, 0x4f7ffffe, v2
	v_cvt_u32_f32_e32 v1, v1
	v_cvt_u32_f32_e32 v2, v2
	v_and_b32_e32 v91, 15, v89
	v_readfirstlane_b32 s21, v1
	v_readfirstlane_b32 s20, v2
	s_and_saveexec_b64 s[10:11], vcc
	s_xor_b64 s[10:11], exec, s[10:11]
; %bb.1:
	v_and_b32_e32 v91, 15, v89
                                        ; implicit-def: $vgpr92
; %bb.2:
	s_or_saveexec_b64 s[24:25], s[10:11]
	s_load_dwordx2 s[10:11], s[4:5], 0x18
	s_lshl_b32 s3, s6, 6
	v_accvgpr_write_b32 a0, s22
	v_accvgpr_write_b32 a1, s22
	;; [unrolled: 1-line block ×16, first 2 shown]
	s_xor_b64 exec, exec, s[24:25]
	s_cbranch_execz .LBB110_6
; %bb.3:
	s_sub_i32 s6, 0, s27
	s_sub_i32 s22, 0, s26
	s_mul_i32 s6, s6, s21
	s_mul_i32 s22, s22, s20
	s_mul_hi_u32 s6, s21, s6
	s_mul_hi_u32 s22, s20, s22
	s_abs_i32 s29, s7
	s_add_i32 s6, s21, s6
	s_add_i32 s31, s20, s22
	s_load_dwordx4 s[20:23], s[4:5], 0x0
	s_mul_hi_u32 s4, s29, s6
	s_ashr_i32 s6, s7, 31
	s_ashr_i32 s12, s12, 31
	s_xor_b32 s6, s6, s12
	s_mul_i32 s12, s4, s27
	s_abs_i32 s30, s8
	s_sub_i32 s12, s29, s12
	s_mul_hi_u32 s5, s30, s31
	s_ashr_i32 s16, s16, 31
	s_add_i32 s29, s4, 1
	s_sub_i32 s31, s12, s27
	s_cmp_ge_u32 s12, s27
	s_cselect_b32 s4, s29, s4
	s_cselect_b32 s12, s31, s12
	s_add_i32 s29, s4, 1
	s_cmp_ge_u32 s12, s27
	s_cselect_b32 s4, s29, s4
	s_mul_i32 s12, s5, s26
	s_xor_b32 s4, s4, s6
	s_sub_i32 s12, s30, s12
	s_sub_i32 s6, s4, s6
	s_xor_b32 s4, s28, s16
	s_add_i32 s16, s5, 1
	s_sub_i32 s27, s12, s26
	s_cmp_ge_u32 s12, s26
	s_cselect_b32 s5, s16, s5
	s_cselect_b32 s12, s27, s12
	s_add_i32 s16, s5, 1
	s_cmp_ge_u32 s12, s26
	s_cselect_b32 s5, s16, s5
	s_xor_b32 s5, s5, s4
	s_sub_i32 s4, s5, s4
	s_mul_hi_i32 s5, s4, s17
	s_mul_i32 s4, s4, s17
	s_mul_i32 s12, s6, s13
	s_ashr_i32 s13, s12, 31
	s_lshl_b64 s[26:27], s[4:5], 2
	s_mul_i32 s16, s3, s0
	s_waitcnt lgkmcnt(0)
	s_add_u32 s6, s20, s26
	s_addc_u32 s29, s21, s27
	s_ashr_i32 s17, s16, 31
	s_lshl_b64 s[16:17], s[16:17], 2
	s_lshl_b64 s[12:13], s[12:13], 2
	s_mul_hi_i32 s5, s18, s8
	s_mul_i32 s4, s18, s8
	s_add_u32 s18, s12, s16
	s_addc_u32 s30, s13, s17
	s_mul_i32 s28, s7, s14
	s_add_u32 s6, s18, s6
	s_addc_u32 s73, s30, s29
	s_ashr_i32 s29, s28, 31
	s_lshl_b64 s[16:17], s[4:5], 2
	s_lshl_b64 s[4:5], s[28:29], 2
	s_add_u32 s22, s22, s4
	s_addc_u32 s23, s23, s5
	s_add_u32 s14, s22, s16
	s_movk_i32 s4, 0x1080
	s_addc_u32 s74, s23, s17
	v_mad_u32_u24 v0, v88, s4, 0
	s_ashr_i32 s5, s0, 31
	s_mov_b32 s4, s0
	v_lshrrev_b32_e32 v3, 1, v89
	s_ashr_i32 s13, s1, 31
	s_lshl_b64 s[4:5], s[4:5], 2
	v_lshlrev_b32_e32 v1, 2, v89
	v_mul_u32_u24_e32 v2, 0x108, v91
	v_and_b32_e32 v3, 0x1f8, v3
	s_add_u32 s18, s18, s26
	v_add_u32_e32 v93, v0, v1
	v_add3_u32 v94, v0, v2, v3
	v_lshlrev_b32_e32 v0, 8, v88
	s_addc_u32 s26, s30, s27
	v_mov_b32_e32 v2, s26
	v_add_co_u32_e32 v0, vcc, s18, v0
	v_addc_co_u32_e32 v2, vcc, 0, v2, vcc
	v_add_co_u32_e32 v0, vcc, v0, v1
	v_addc_co_u32_e32 v1, vcc, 0, v2, vcc
	v_mov_b32_e32 v2, s21
	v_add_co_u32_e32 v16, vcc, s20, v0
	v_addc_co_u32_e32 v17, vcc, v2, v1, vcc
	v_lshlrev_b32_e32 v0, 9, v88
	v_mov_b32_e32 v1, s17
	v_add_co_u32_e32 v0, vcc, s16, v0
	v_addc_co_u32_e32 v1, vcc, 0, v1, vcc
	v_lshlrev_b32_e32 v2, 3, v89
	v_add_co_u32_e32 v0, vcc, v0, v2
	s_mov_b32 s12, s1
	v_addc_co_u32_e32 v1, vcc, 0, v1, vcc
	s_lshl_b64 s[12:13], s[12:13], 3
	v_mov_b32_e32 v2, s23
	v_add_co_u32_e32 v18, vcc, s22, v0
	v_addc_co_u32_e32 v19, vcc, v2, v1, vcc
	s_mul_i32 s16, s0, 63
	s_lshl_b32 s17, s1, 1
	s_mul_i32 s18, s1, 3
	s_lshl_b32 s20, s1, 2
	s_mul_i32 s21, s1, 5
	s_mul_i32 s22, s1, 6
	;; [unrolled: 1-line block ×3, first 2 shown]
	s_lshl_b32 s26, s1, 3
	s_mul_i32 s27, s1, 9
	s_mul_i32 s28, s1, 10
	s_mul_i32 s29, s1, 11
	s_mul_i32 s30, s1, 12
	s_lshl_b32 s31, s0, 1
	s_mul_i32 s33, s0, 3
	s_lshl_b32 s34, s0, 2
	s_mul_i32 s35, s0, 5
	s_mul_i32 s36, s0, 6
	;; [unrolled: 1-line block ×3, first 2 shown]
	s_lshl_b32 s38, s0, 3
	s_mul_i32 s39, s0, 9
	s_mul_i32 s40, s0, 10
	;; [unrolled: 1-line block ×7, first 2 shown]
	s_lshl_b32 s46, s0, 4
	s_mul_i32 s47, s0, 17
	s_mul_i32 s48, s0, 18
	;; [unrolled: 1-line block ×15, first 2 shown]
	s_lshl_b32 s62, s0, 5
	s_mul_i32 s63, s0, 33
	s_mul_i32 s64, s0, 34
	;; [unrolled: 1-line block ×10, first 2 shown]
	v_mov_b32_e32 v95, s73
	s_mul_i32 s73, s0, 43
	v_mov_b32_e32 v96, s74
	s_mul_i32 s74, s0, 44
	v_mov_b32_e32 v97, 0
	v_accvgpr_write_b32 a15, 0
	v_accvgpr_write_b32 a14, 0
	;; [unrolled: 1-line block ×16, first 2 shown]
	v_mov_b32_e32 v98, s5
	v_mov_b32_e32 v99, s13
	s_mul_i32 s5, s0, 45
	s_mul_i32 s13, s0, 46
	;; [unrolled: 1-line block ×18, first 2 shown]
	s_mov_b64 s[0:1], 0
.LBB110_4:                              ; =>This Inner Loop Header: Depth=1
	global_load_dword v20, v[16:17], off
	v_add_u32_e32 v36, s46, v92
	v_ashrrev_i32_e32 v37, 31, v36
	v_lshlrev_b64 v[36:37], 2, v[36:37]
	v_add_u32_e32 v52, s62, v92
	v_ashrrev_i32_e32 v53, 31, v52
	v_lshlrev_b64 v[52:53], 2, v[52:53]
	v_add_u32_e32 v68, s76, v92
	v_ashrrev_i32_e32 v69, 31, v68
	v_lshlrev_b64 v[68:69], 2, v[68:69]
	v_accvgpr_read_b32 v0, a12
	v_accvgpr_read_b32 v4, a8
	;; [unrolled: 1-line block ×16, first 2 shown]
	v_accvgpr_write_b32 a0, v0
	v_accvgpr_write_b32 a4, v4
	;; [unrolled: 1-line block ×16, first 2 shown]
	s_waitcnt vmcnt(0)
	ds_write_b32 v93, v20
	v_add_co_u32_e32 v20, vcc, s4, v16
	v_addc_co_u32_e32 v21, vcc, v17, v98, vcc
	global_load_dword v20, v[20:21], off
	s_waitcnt vmcnt(0)
	ds_write_b32 v93, v20 offset:264
	v_add_u32_e32 v20, s31, v92
	v_ashrrev_i32_e32 v21, 31, v20
	v_lshlrev_b64 v[20:21], 2, v[20:21]
	v_add_co_u32_e32 v20, vcc, s6, v20
	v_addc_co_u32_e32 v21, vcc, v95, v21, vcc
	global_load_dword v20, v[20:21], off
	s_waitcnt vmcnt(0)
	ds_write_b32 v93, v20 offset:528
	v_add_u32_e32 v20, s33, v92
	v_ashrrev_i32_e32 v21, 31, v20
	v_lshlrev_b64 v[20:21], 2, v[20:21]
	;; [unrolled: 8-line block ×14, first 2 shown]
	v_add_co_u32_e32 v20, vcc, s6, v20
	v_addc_co_u32_e32 v21, vcc, v95, v21, vcc
	global_load_dword v20, v[20:21], off
	v_add_co_u32_e32 v36, vcc, s6, v36
	v_addc_co_u32_e32 v37, vcc, v95, v37, vcc
	s_waitcnt vmcnt(0)
	ds_write_b32 v93, v20 offset:3960
	ds_read_b64 v[34:35], v94
	ds_read_b64 v[32:33], v94 offset:32
	ds_read_b64 v[30:31], v94 offset:64
	;; [unrolled: 1-line block ×7, first 2 shown]
	global_load_dword v36, v[36:37], off
	s_waitcnt vmcnt(0)
	ds_write_b32 v93, v36
	v_add_u32_e32 v36, s47, v92
	v_ashrrev_i32_e32 v37, 31, v36
	v_lshlrev_b64 v[36:37], 2, v[36:37]
	v_add_co_u32_e32 v36, vcc, s6, v36
	v_addc_co_u32_e32 v37, vcc, v95, v37, vcc
	global_load_dword v36, v[36:37], off
	s_waitcnt vmcnt(0)
	ds_write_b32 v93, v36 offset:264
	v_add_u32_e32 v36, s48, v92
	v_ashrrev_i32_e32 v37, 31, v36
	v_lshlrev_b64 v[36:37], 2, v[36:37]
	v_add_co_u32_e32 v36, vcc, s6, v36
	v_addc_co_u32_e32 v37, vcc, v95, v37, vcc
	global_load_dword v36, v[36:37], off
	s_waitcnt vmcnt(0)
	ds_write_b32 v93, v36 offset:528
	;; [unrolled: 8-line block ×14, first 2 shown]
	v_add_u32_e32 v36, s61, v92
	v_ashrrev_i32_e32 v37, 31, v36
	v_lshlrev_b64 v[36:37], 2, v[36:37]
	v_add_co_u32_e32 v36, vcc, s6, v36
	v_addc_co_u32_e32 v37, vcc, v95, v37, vcc
	global_load_dword v36, v[36:37], off
	v_add_co_u32_e32 v52, vcc, s6, v52
	v_addc_co_u32_e32 v53, vcc, v95, v53, vcc
	s_waitcnt vmcnt(0)
	ds_write_b32 v93, v36 offset:3960
	ds_read_b64 v[50:51], v94
	ds_read_b64 v[48:49], v94 offset:32
	ds_read_b64 v[46:47], v94 offset:64
	;; [unrolled: 1-line block ×7, first 2 shown]
	global_load_dword v52, v[52:53], off
	s_waitcnt vmcnt(0)
	ds_write_b32 v93, v52
	v_add_u32_e32 v52, s63, v92
	v_ashrrev_i32_e32 v53, 31, v52
	v_lshlrev_b64 v[52:53], 2, v[52:53]
	v_add_co_u32_e32 v52, vcc, s6, v52
	v_addc_co_u32_e32 v53, vcc, v95, v53, vcc
	global_load_dword v52, v[52:53], off
	s_waitcnt vmcnt(0)
	ds_write_b32 v93, v52 offset:264
	v_add_u32_e32 v52, s64, v92
	v_ashrrev_i32_e32 v53, 31, v52
	v_lshlrev_b64 v[52:53], 2, v[52:53]
	v_add_co_u32_e32 v52, vcc, s6, v52
	v_addc_co_u32_e32 v53, vcc, v95, v53, vcc
	global_load_dword v52, v[52:53], off
	s_waitcnt vmcnt(0)
	ds_write_b32 v93, v52 offset:528
	;; [unrolled: 8-line block ×14, first 2 shown]
	v_add_u32_e32 v52, s75, v92
	v_ashrrev_i32_e32 v53, 31, v52
	v_lshlrev_b64 v[52:53], 2, v[52:53]
	v_add_co_u32_e32 v52, vcc, s6, v52
	v_addc_co_u32_e32 v53, vcc, v95, v53, vcc
	global_load_dword v52, v[52:53], off
	v_add_co_u32_e32 v68, vcc, s6, v68
	v_addc_co_u32_e32 v69, vcc, v95, v69, vcc
	s_waitcnt vmcnt(0)
	ds_write_b32 v93, v52 offset:3960
	ds_read_b64 v[66:67], v94
	ds_read_b64 v[64:65], v94 offset:32
	ds_read_b64 v[62:63], v94 offset:64
	;; [unrolled: 1-line block ×7, first 2 shown]
	global_load_dword v68, v[68:69], off
	s_waitcnt vmcnt(0)
	ds_write_b32 v93, v68
	v_add_u32_e32 v68, s77, v92
	v_ashrrev_i32_e32 v69, 31, v68
	v_lshlrev_b64 v[68:69], 2, v[68:69]
	v_add_co_u32_e32 v68, vcc, s6, v68
	v_addc_co_u32_e32 v69, vcc, v95, v69, vcc
	global_load_dword v68, v[68:69], off
	s_waitcnt vmcnt(0)
	ds_write_b32 v93, v68 offset:264
	v_add_u32_e32 v68, s78, v92
	v_ashrrev_i32_e32 v69, 31, v68
	v_lshlrev_b64 v[68:69], 2, v[68:69]
	v_add_co_u32_e32 v68, vcc, s6, v68
	v_addc_co_u32_e32 v69, vcc, v95, v69, vcc
	global_load_dword v68, v[68:69], off
	s_waitcnt vmcnt(0)
	ds_write_b32 v93, v68 offset:528
	;; [unrolled: 8-line block ×15, first 2 shown]
	ds_read_b64 v[82:83], v94
	ds_read_b64 v[80:81], v94 offset:32
	ds_read_b64 v[78:79], v94 offset:64
	;; [unrolled: 1-line block ×7, first 2 shown]
	global_load_dwordx2 v[84:85], v[18:19], off
	s_waitcnt vmcnt(0)
	v_cvt_f16_f32_e32 v84, v84
	v_cvt_f16_f32_e32 v85, v85
	v_pack_b32_f16 v84, v84, v85
	ds_write_b32 v93, v84
	v_add_co_u32_e32 v84, vcc, s12, v18
	v_addc_co_u32_e32 v85, vcc, v19, v99, vcc
	global_load_dwordx2 v[84:85], v[84:85], off
	s_waitcnt vmcnt(0)
	v_cvt_f16_f32_e32 v84, v84
	v_cvt_f16_f32_e32 v85, v85
	v_pack_b32_f16 v84, v84, v85
	ds_write_b32 v93, v84 offset:264
	v_add_u32_e32 v84, s17, v92
	v_ashrrev_i32_e32 v85, 31, v84
	v_lshlrev_b64 v[84:85], 3, v[84:85]
	v_add_co_u32_e32 v84, vcc, s14, v84
	v_addc_co_u32_e32 v85, vcc, v96, v85, vcc
	global_load_dwordx2 v[84:85], v[84:85], off
	s_waitcnt vmcnt(0)
	v_cvt_f16_f32_e32 v84, v84
	v_cvt_f16_f32_e32 v85, v85
	v_pack_b32_f16 v84, v84, v85
	ds_write_b32 v93, v84 offset:528
	v_add_u32_e32 v84, s18, v92
	v_ashrrev_i32_e32 v85, 31, v84
	v_lshlrev_b64 v[84:85], 3, v[84:85]
	;; [unrolled: 11-line block ×11, first 2 shown]
	v_add_co_u32_e32 v84, vcc, s14, v84
	v_addc_co_u32_e32 v85, vcc, v96, v85, vcc
	global_load_dwordx2 v[84:85], v[84:85], off
	v_add_co_u32_e32 v16, vcc, 0x400, v16
	v_addc_co_u32_e32 v17, vcc, 0, v17, vcc
	v_add_co_u32_e32 v18, vcc, 0x800, v18
	v_add_u32_e32 v92, 0x100, v92
	v_addc_co_u32_e32 v19, vcc, 0, v19, vcc
	v_cmp_le_i32_e32 vcc, s9, v92
	s_or_b64 s[0:1], vcc, s[0:1]
	s_waitcnt vmcnt(0)
	v_cvt_f16_f32_e32 v84, v84
	v_cvt_f16_f32_e32 v85, v85
	v_pack_b32_f16 v84, v84, v85
	ds_write_b32 v93, v84 offset:3168
	ds_write_b32 v93, v97 offset:3432
	ds_write_b32 v93, v97 offset:3696
	ds_write_b32 v93, v97 offset:3960
	ds_read_b64 v[86:87], v94
	ds_read_b64 v[84:85], v94 offset:32
	s_waitcnt lgkmcnt(1)
	v_mfma_f32_16x16x16f16 a[0:3], v[34:35], v[86:87], a[0:3]
	ds_read_b64 v[0:1], v94 offset:64
	v_mfma_f32_16x16x16f16 a[4:7], v[50:51], v[86:87], a[4:7]
	v_mfma_f32_16x16x16f16 a[8:11], v[66:67], v[86:87], a[8:11]
	;; [unrolled: 1-line block ×3, first 2 shown]
	s_waitcnt lgkmcnt(1)
	v_mfma_f32_16x16x16f16 a[0:3], v[32:33], v[84:85], a[0:3]
	v_mfma_f32_16x16x16f16 a[4:7], v[48:49], v[84:85], a[4:7]
	;; [unrolled: 1-line block ×4, first 2 shown]
	s_waitcnt lgkmcnt(0)
	v_mfma_f32_16x16x16f16 a[0:3], v[30:31], v[0:1], a[0:3]
	v_mfma_f32_16x16x16f16 a[4:7], v[46:47], v[0:1], a[4:7]
	v_mfma_f32_16x16x16f16 a[8:11], v[62:63], v[0:1], a[8:11]
	v_mfma_f32_16x16x16f16 a[12:15], v[78:79], v[0:1], a[12:15]
	ds_read_b64 v[0:1], v94 offset:96
	s_waitcnt lgkmcnt(0)
	v_mfma_f32_16x16x16f16 a[0:3], v[28:29], v[0:1], a[0:3]
	v_mfma_f32_16x16x16f16 a[4:7], v[44:45], v[0:1], a[4:7]
	v_mfma_f32_16x16x16f16 a[8:11], v[60:61], v[0:1], a[8:11]
	v_mfma_f32_16x16x16f16 a[12:15], v[76:77], v[0:1], a[12:15]
	ds_read_b64 v[0:1], v94 offset:128
	;; [unrolled: 6-line block ×5, first 2 shown]
	s_waitcnt lgkmcnt(0)
	v_mfma_f32_16x16x16f16 a[12:15], v[20:21], v[0:1], a[0:3]
	v_mfma_f32_16x16x16f16 a[8:11], v[36:37], v[0:1], a[4:7]
	;; [unrolled: 1-line block ×4, first 2 shown]
	s_andn2_b64 exec, exec, s[0:1]
	s_cbranch_execnz .LBB110_4
; %bb.5:
	s_or_b64 exec, exec, s[0:1]
.LBB110_6:
	s_or_b64 exec, exec, s[24:25]
	s_mul_hi_i32 s1, s19, s8
	s_mul_i32 s0, s19, s8
	s_lshl_b64 s[0:1], s[0:1], 2
	v_mul_u32_u24_e32 v0, 0x408, v91
	v_lshlrev_b32_e32 v1, 2, v90
	v_or_b32_e32 v2, 12, v89
	s_mul_i32 s4, s7, s15
	s_waitcnt lgkmcnt(0)
	s_add_u32 s6, s10, s0
	v_add3_u32 v0, 0, v0, v1
	v_and_b32_e32 v1, 0x3f0, v89
	v_and_b32_e32 v2, 0x3fc, v2
	s_addc_u32 s7, s11, s1
	s_ashr_i32 s5, s4, 31
	v_add_u32_e32 v1, v0, v1
	v_add_u32_e32 v0, v0, v2
	s_lshl_b64 s[0:1], s[4:5], 2
	s_barrier
	s_movk_i32 s4, 0x408
	ds_write2_b32 v1, a12, a13 offset1:1
	ds_write_b32 v1, a14 offset:8
	ds_write_b32 v0, a15
	ds_write2_b32 v1, a8, a9 offset0:16 offset1:17
	ds_write_b32 v1, a10 offset:72
	ds_write_b32 v0, a11 offset:64
	ds_write2_b32 v1, a4, a5 offset0:32 offset1:33
	ds_write_b32 v1, a6 offset:136
	ds_write_b32 v0, a7 offset:128
	;; [unrolled: 3-line block ×3, first 2 shown]
	v_lshl_add_u32 v1, v89, 2, 0
	v_mad_u32_u24 v10, v88, s4, v1
	s_waitcnt lgkmcnt(0)
	s_barrier
	ds_read2st64_b32 v[2:3], v10 offset1:1
	ds_read2st64_b32 v[4:5], v10 offset0:2 offset1:3
	v_add_u32_e32 v0, s3, v89
	v_add_u32_e32 v8, 32, v10
	s_add_u32 s0, s6, s0
	s_waitcnt lgkmcnt(1)
	v_add_f32_e32 v2, 0, v2
	v_add_f32_e32 v2, v2, v3
	s_waitcnt lgkmcnt(0)
	v_add_f32_e32 v2, v2, v4
	v_add_f32_e32 v11, v2, v5
	v_mad_u64_u32 v[2:3], s[4:5], v88, s2, v[0:1]
	v_mov_b32_e32 v3, 0
	ds_read2st64_b32 v[6:7], v8 offset0:16 offset1:17
	ds_read2st64_b32 v[8:9], v8 offset0:18 offset1:19
	s_addc_u32 s1, s7, s1
	v_lshlrev_b64 v[4:5], 2, v[2:3]
	v_mov_b32_e32 v12, s1
	v_add_co_u32_e32 v4, vcc, s0, v4
	v_addc_co_u32_e32 v5, vcc, v12, v5, vcc
	global_store_dword v[4:5], v11, off
	s_waitcnt lgkmcnt(1)
	v_add_f32_e32 v4, 0, v6
	v_add_f32_e32 v4, v4, v7
	s_waitcnt lgkmcnt(0)
	v_add_f32_e32 v4, v4, v8
	s_lshl_b32 s3, s2, 2
	v_add_u32_e32 v8, 64, v10
	v_add_f32_e32 v11, v4, v9
	v_add_u32_e32 v2, s3, v2
	ds_read2st64_b32 v[6:7], v8 offset0:32 offset1:33
	ds_read2st64_b32 v[8:9], v8 offset0:34 offset1:35
	v_lshlrev_b64 v[4:5], 2, v[2:3]
	v_add_co_u32_e32 v4, vcc, s0, v4
	v_addc_co_u32_e32 v5, vcc, v12, v5, vcc
	global_store_dword v[4:5], v11, off
	s_waitcnt lgkmcnt(1)
	v_add_f32_e32 v4, 0, v6
	v_add_f32_e32 v4, v4, v7
	s_waitcnt lgkmcnt(0)
	v_add_f32_e32 v4, v4, v8
	v_add_u32_e32 v2, s3, v2
	v_add_f32_e32 v6, v4, v9
	v_lshlrev_b64 v[4:5], 2, v[2:3]
	v_mov_b32_e32 v2, s1
	v_add_co_u32_e32 v4, vcc, s0, v4
	v_addc_co_u32_e32 v5, vcc, v2, v5, vcc
	v_cmp_eq_u32_e32 vcc, 0, v88
	global_store_dword v[4:5], v6, off
	s_and_saveexec_b64 s[4:5], vcc
	s_cbranch_execz .LBB110_8
; %bb.7:
	v_add_u32_e32 v1, 0x60, v1
	ds_read2st64_b32 v[4:5], v1 offset0:48 offset1:49
	ds_read2st64_b32 v[6:7], v1 offset0:50 offset1:51
	v_mad_u64_u32 v[0:1], s[2:3], s2, 12, v[0:1]
	v_mov_b32_e32 v1, v3
	s_waitcnt lgkmcnt(1)
	v_add_f32_e32 v2, 0, v4
	v_add_f32_e32 v2, v2, v5
	v_lshlrev_b64 v[0:1], 2, v[0:1]
	s_waitcnt lgkmcnt(0)
	v_add_f32_e32 v2, v2, v6
	v_mov_b32_e32 v3, s1
	v_add_co_u32_e32 v0, vcc, s0, v0
	v_add_f32_e32 v2, v2, v7
	v_addc_co_u32_e32 v1, vcc, v3, v1, vcc
	global_store_dword v[0:1], v2, off
.LBB110_8:
	s_endpgm
	.section	.rodata,"a",@progbits
	.p2align	6, 0x0
	.amdhsa_kernel _ZL9mul_mat_fI7__half2Li64ELi13ELi4ELb0EEvPKT_PKfPKiPfiiiiiiiiiiiiiiii
		.amdhsa_group_segment_fixed_size 0
		.amdhsa_private_segment_fixed_size 0
		.amdhsa_kernarg_size 96
		.amdhsa_user_sgpr_count 6
		.amdhsa_user_sgpr_private_segment_buffer 1
		.amdhsa_user_sgpr_dispatch_ptr 0
		.amdhsa_user_sgpr_queue_ptr 0
		.amdhsa_user_sgpr_kernarg_segment_ptr 1
		.amdhsa_user_sgpr_dispatch_id 0
		.amdhsa_user_sgpr_flat_scratch_init 0
		.amdhsa_user_sgpr_kernarg_preload_length 0
		.amdhsa_user_sgpr_kernarg_preload_offset 0
		.amdhsa_user_sgpr_private_segment_size 0
		.amdhsa_uses_dynamic_stack 0
		.amdhsa_system_sgpr_private_segment_wavefront_offset 0
		.amdhsa_system_sgpr_workgroup_id_x 1
		.amdhsa_system_sgpr_workgroup_id_y 1
		.amdhsa_system_sgpr_workgroup_id_z 1
		.amdhsa_system_sgpr_workgroup_info 0
		.amdhsa_system_vgpr_workitem_id 1
		.amdhsa_next_free_vgpr 124
		.amdhsa_next_free_sgpr 91
		.amdhsa_accum_offset 100
		.amdhsa_reserve_vcc 1
		.amdhsa_reserve_flat_scratch 0
		.amdhsa_float_round_mode_32 0
		.amdhsa_float_round_mode_16_64 0
		.amdhsa_float_denorm_mode_32 3
		.amdhsa_float_denorm_mode_16_64 3
		.amdhsa_dx10_clamp 1
		.amdhsa_ieee_mode 1
		.amdhsa_fp16_overflow 0
		.amdhsa_tg_split 0
		.amdhsa_exception_fp_ieee_invalid_op 0
		.amdhsa_exception_fp_denorm_src 0
		.amdhsa_exception_fp_ieee_div_zero 0
		.amdhsa_exception_fp_ieee_overflow 0
		.amdhsa_exception_fp_ieee_underflow 0
		.amdhsa_exception_fp_ieee_inexact 0
		.amdhsa_exception_int_div_zero 0
	.end_amdhsa_kernel
	.section	.text._ZL9mul_mat_fI7__half2Li64ELi13ELi4ELb0EEvPKT_PKfPKiPfiiiiiiiiiiiiiiii,"axG",@progbits,_ZL9mul_mat_fI7__half2Li64ELi13ELi4ELb0EEvPKT_PKfPKiPfiiiiiiiiiiiiiiii,comdat
.Lfunc_end110:
	.size	_ZL9mul_mat_fI7__half2Li64ELi13ELi4ELb0EEvPKT_PKfPKiPfiiiiiiiiiiiiiiii, .Lfunc_end110-_ZL9mul_mat_fI7__half2Li64ELi13ELi4ELb0EEvPKT_PKfPKiPfiiiiiiiiiiiiiiii
                                        ; -- End function
	.section	.AMDGPU.csdata,"",@progbits
; Kernel info:
; codeLenInByte = 6184
; NumSgprs: 95
; NumVgprs: 100
; NumAgprs: 24
; TotalNumVgprs: 124
; ScratchSize: 0
; MemoryBound: 0
; FloatMode: 240
; IeeeMode: 1
; LDSByteSize: 0 bytes/workgroup (compile time only)
; SGPRBlocks: 11
; VGPRBlocks: 15
; NumSGPRsForWavesPerEU: 95
; NumVGPRsForWavesPerEU: 124
; AccumOffset: 100
; Occupancy: 4
; WaveLimiterHint : 0
; COMPUTE_PGM_RSRC2:SCRATCH_EN: 0
; COMPUTE_PGM_RSRC2:USER_SGPR: 6
; COMPUTE_PGM_RSRC2:TRAP_HANDLER: 0
; COMPUTE_PGM_RSRC2:TGID_X_EN: 1
; COMPUTE_PGM_RSRC2:TGID_Y_EN: 1
; COMPUTE_PGM_RSRC2:TGID_Z_EN: 1
; COMPUTE_PGM_RSRC2:TIDIG_COMP_CNT: 1
; COMPUTE_PGM_RSRC3_GFX90A:ACCUM_OFFSET: 24
; COMPUTE_PGM_RSRC3_GFX90A:TG_SPLIT: 0
	.section	.text._ZL13mul_mat_f_idsI7__half2Li64ELi13ELi5EEvPKT_PKfPKiS7_S7_Pfiiiiiiiiiiiiii15HIP_vector_typeIjLj3EESA_,"axG",@progbits,_ZL13mul_mat_f_idsI7__half2Li64ELi13ELi5EEvPKT_PKfPKiS7_S7_Pfiiiiiiiiiiiiii15HIP_vector_typeIjLj3EESA_,comdat
	.globl	_ZL13mul_mat_f_idsI7__half2Li64ELi13ELi5EEvPKT_PKfPKiS7_S7_Pfiiiiiiiiiiiiii15HIP_vector_typeIjLj3EESA_ ; -- Begin function _ZL13mul_mat_f_idsI7__half2Li64ELi13ELi5EEvPKT_PKfPKiS7_S7_Pfiiiiiiiiiiiiii15HIP_vector_typeIjLj3EESA_
	.p2align	8
	.type	_ZL13mul_mat_f_idsI7__half2Li64ELi13ELi5EEvPKT_PKfPKiS7_S7_Pfiiiiiiiiiiiiii15HIP_vector_typeIjLj3EESA_,@function
_ZL13mul_mat_f_idsI7__half2Li64ELi13ELi5EEvPKT_PKfPKiS7_S7_Pfiiiiiiiiiiiiii15HIP_vector_typeIjLj3EESA_: ; @_ZL13mul_mat_f_idsI7__half2Li64ELi13ELi5EEvPKT_PKfPKiS7_S7_Pfiiiiiiiiiiiiii15HIP_vector_typeIjLj3EESA_
; %bb.0:
	s_load_dwordx2 s[0:1], s[4:5], 0x20
	s_mov_b32 s34, s7
	s_ashr_i32 s35, s7, 31
	s_lshl_b64 s[2:3], s[34:35], 2
	s_waitcnt lgkmcnt(0)
	s_add_u32 s0, s0, s2
	s_addc_u32 s1, s1, s3
	s_load_dwordx2 s[26:27], s[0:1], 0x0
	s_waitcnt lgkmcnt(0)
	s_sub_i32 s33, s27, s26
	s_add_i32 s0, s33, 12
	s_mul_hi_i32 s0, s0, 0x4ec4ec4f
	s_lshr_b32 s1, s0, 31
	s_ashr_i32 s0, s0, 2
	s_add_i32 s0, s0, s1
	s_cmp_ge_i32 s8, s0
	s_cbranch_scc1 .LBB111_56
; %bb.1:
	v_bfe_u32 v108, v0, 10, 10
	v_lshlrev_b32_e32 v110, 6, v108
	v_and_b32_e32 v109, 0x3ff, v0
	s_load_dwordx4 s[12:15], s[4:5], 0x30
	s_load_dwordx2 s[20:21], s[4:5], 0x40
	s_load_dwordx4 s[0:3], s[4:5], 0x4c
	s_load_dwordx4 s[16:19], s[4:5], 0x68
	s_load_dwordx2 s[24:25], s[4:5], 0x78
	v_add_u32_e32 v112, v110, v109
	s_ashr_i32 s27, s26, 31
	s_waitcnt lgkmcnt(0)
	v_cmp_le_i32_e32 vcc, s12, v112
	v_and_b32_e32 v111, 15, v109
                                        ; implicit-def: $sgpr3
	s_and_saveexec_b64 s[10:11], vcc
	s_xor_b64 s[10:11], exec, s[10:11]
; %bb.2:
	v_and_b32_e32 v111, 15, v109
	s_mov_b32 s3, 0
                                        ; implicit-def: $vgpr112
; %bb.3:
	s_or_saveexec_b64 s[22:23], s[10:11]
	s_load_dwordx2 s[10:11], s[4:5], 0x18
                                        ; implicit-def: $vgpr119 : SGPR spill to VGPR lane
	s_lshl_b32 s28, s6, 6
	s_mul_i32 s6, s8, 13
	v_mov_b32_e32 v15, s3
	v_mov_b32_e32 v14, s3
	s_waitcnt lgkmcnt(0)
	v_writelane_b32 v119, s10, 0
	v_writelane_b32 v119, s11, 1
	s_load_dwordx2 s[10:11], s[4:5], 0x28
	v_mov_b32_e32 v13, s3
	v_mov_b32_e32 v12, s3
	v_mov_b32_e32 v3, s3
	v_mov_b32_e32 v2, s3
	s_waitcnt lgkmcnt(0)
	v_writelane_b32 v119, s10, 2
	v_writelane_b32 v119, s11, 3
	v_mov_b32_e32 v1, s3
	v_mov_b32_e32 v0, s3
	;; [unrolled: 1-line block ×10, first 2 shown]
	v_writelane_b32 v119, s22, 4
	v_writelane_b32 v119, s23, 5
	s_xor_b64 exec, exec, s[22:23]
	s_cbranch_execz .LBB111_46
; %bb.4:
	v_writelane_b32 v119, s24, 6
	v_writelane_b32 v119, s25, 7
	s_load_dwordx4 s[8:11], s[4:5], 0x0
	s_load_dwordx2 s[22:23], s[4:5], 0x10
	s_mul_i32 s4, s34, s0
	s_mul_i32 s24, s28, s15
	s_ashr_i32 s5, s4, 31
	s_ashr_i32 s25, s24, 31
	s_lshl_b64 s[24:25], s[24:25], 2
	s_lshl_b64 s[4:5], s[4:5], 2
	s_add_u32 s3, s4, s24
	s_addc_u32 s24, s5, s25
	v_writelane_b32 v119, s28, 8
	s_waitcnt lgkmcnt(0)
	s_add_u32 s0, s3, s8
	s_addc_u32 s25, s24, s9
	v_writelane_b32 v119, s26, 9
	s_lshl_b64 s[4:5], s[26:27], 2
	v_writelane_b32 v119, s27, 10
	s_add_u32 s26, s22, s4
	s_addc_u32 s27, s23, s5
	s_movk_i32 s4, 0x1080
	s_cmp_lt_i32 s6, s33
	v_mad_u32_u24 v0, v108, s4, 0
	s_cselect_b64 s[4:5], -1, 0
	s_ashr_i32 s7, s6, 31
	s_lshl_b64 s[22:23], s[6:7], 2
	s_add_u32 s34, s26, s22
	s_addc_u32 s35, s27, s23
	s_add_i32 s7, s6, 1
	s_cmp_lt_i32 s7, s33
	s_cselect_b64 s[36:37], -1, 0
	s_add_i32 s7, s6, 2
	s_cmp_lt_i32 s7, s33
	s_cselect_b64 s[38:39], -1, 0
	;; [unrolled: 3-line block ×3, first 2 shown]
	s_add_i32 s7, s6, 4
	s_cmp_lt_i32 s7, s33
	v_lshrrev_b32_e32 v3, 1, v109
	s_cselect_b64 s[42:43], -1, 0
	s_add_i32 s7, s6, 5
	v_lshlrev_b32_e32 v1, 2, v109
	v_mul_u32_u24_e32 v2, 0x108, v111
	v_and_b32_e32 v3, 0x1f8, v3
	s_cmp_lt_i32 s7, s33
	v_add_u32_e32 v113, v0, v1
	v_add3_u32 v114, v0, v2, v3
	s_cselect_b64 s[44:45], -1, 0
	s_add_i32 s7, s6, 6
	v_lshlrev_b32_e32 v0, 8, v108
	s_cmp_lt_i32 s7, s33
	v_add_co_u32_e32 v0, vcc, s3, v0
	s_mul_i32 s3, s15, 3
	s_cselect_b64 s[46:47], -1, 0
	s_add_i32 s7, s6, 7
	v_writelane_b32 v119, s3, 11
	s_mul_i32 s3, s15, 5
	s_cmp_lt_i32 s7, s33
	v_writelane_b32 v119, s3, 12
	s_mul_i32 s3, s15, 6
	s_cselect_b64 s[48:49], -1, 0
	s_add_i32 s7, s6, 8
	v_writelane_b32 v119, s3, 13
	s_mul_i32 s3, s15, 7
	s_cmp_lt_i32 s7, s33
	v_writelane_b32 v119, s3, 14
	s_mul_i32 s3, s15, 9
	s_cselect_b64 s[50:51], -1, 0
	s_add_i32 s7, s6, 9
	v_writelane_b32 v119, s3, 15
	s_mul_i32 s3, s15, 10
	s_cmp_lt_i32 s7, s33
	v_writelane_b32 v119, s3, 16
	s_mul_i32 s3, s15, 11
	s_cselect_b64 s[52:53], -1, 0
	s_add_i32 s7, s6, 10
	v_writelane_b32 v119, s3, 17
	s_mul_i32 s3, s15, 12
	s_cmp_lt_i32 s7, s33
	v_writelane_b32 v119, s3, 18
	s_mul_i32 s3, s15, 13
	s_cselect_b64 s[54:55], -1, 0
	s_add_i32 s7, s6, 11
	v_writelane_b32 v119, s3, 19
	s_mul_i32 s3, s15, 14
	s_cmp_lt_i32 s7, s33
	v_mov_b32_e32 v2, s24
	v_writelane_b32 v119, s3, 20
	s_mul_i32 s3, s15, 15
	s_cselect_b64 s[56:57], -1, 0
	s_add_i32 s7, s6, 12
	v_addc_co_u32_e32 v2, vcc, 0, v2, vcc
	v_writelane_b32 v119, s3, 21
	s_mul_i32 s3, s15, 17
	s_cmp_lt_i32 s7, s33
	v_add_co_u32_e32 v0, vcc, v0, v1
	v_writelane_b32 v119, s3, 22
	s_mul_i32 s3, s15, 18
	s_cselect_b64 s[58:59], -1, 0
	s_ashr_i32 s23, s15, 31
	s_mov_b32 s22, s15
	v_addc_co_u32_e32 v1, vcc, 0, v2, vcc
	v_writelane_b32 v119, s3, 23
	s_mul_i32 s3, s15, 19
	s_lshl_b64 s[60:61], s[22:23], 2
	v_mov_b32_e32 v2, s9
	v_add_co_u32_e32 v16, vcc, s8, v0
	v_writelane_b32 v119, s3, 24
	s_mul_i32 s3, s15, 20
	v_mov_b32_e32 v116, 0
	v_addc_co_u32_e32 v17, vcc, v2, v1, vcc
	s_lshl_b32 s7, s15, 1
	s_lshl_b32 s63, s15, 2
	;; [unrolled: 1-line block ×4, first 2 shown]
	v_writelane_b32 v119, s3, 25
	s_mul_i32 s80, s15, 21
	s_mul_i32 s81, s15, 22
	s_mul_i32 s82, s15, 23
	s_mul_i32 s83, s15, 24
	s_mul_i32 s84, s15, 25
	s_mul_i32 s85, s15, 26
	s_mul_i32 s86, s15, 27
	s_mul_i32 s87, s15, 28
	s_mul_i32 s88, s15, 29
	v_mov_b32_e32 v115, s25
	s_mul_i32 s89, s15, 30
	v_mov_b32_e32 v117, s61
	v_mov_b32_e32 v8, 0
	;; [unrolled: 1-line block ×17, first 2 shown]
	s_mul_i32 s61, s15, 31
	s_lshl_b32 s90, s15, 5
	s_mul_i32 s91, s15, 33
	s_mul_i32 s92, s15, 34
	;; [unrolled: 1-line block ×31, first 2 shown]
	s_mov_b64 s[8:9], 0
	s_branch .LBB111_6
.LBB111_5:                              ;   in Loop: Header=BB111_6 Depth=1
	s_waitcnt vmcnt(0)
	v_cvt_f16_f32_e32 v82, v82
	v_cvt_f16_f32_e32 v83, v83
	;; [unrolled: 1-line block ×4, first 2 shown]
	v_add_co_u32_e32 v16, vcc, 0x500, v16
	v_pack_b32_f16 v82, v82, v83
	v_cvt_f16_f32_e32 v83, v84
	v_cvt_f16_f32_e32 v84, v85
	;; [unrolled: 1-line block ×4, first 2 shown]
	v_pack_b32_f16 v86, v86, v87
	ds_write2_b32 v113, v82, v86 offset1:66
	v_pack_b32_f16 v82, v83, v84
	v_pack_b32_f16 v83, v85, v90
	v_cvt_f16_f32_e32 v84, v88
	v_cvt_f16_f32_e32 v85, v89
	ds_write2_b32 v113, v82, v83 offset0:132 offset1:198
	v_cvt_f16_f32_e32 v82, v94
	v_cvt_f16_f32_e32 v83, v95
	v_pack_b32_f16 v84, v84, v85
	v_cvt_f16_f32_e32 v85, v92
	v_cvt_f16_f32_e32 v86, v93
	v_pack_b32_f16 v82, v82, v83
	v_add_u32_e32 v83, 0x400, v113
	ds_write2_b32 v83, v84, v82 offset0:8 offset1:74
	v_pack_b32_f16 v82, v85, v86
	v_cvt_f16_f32_e32 v84, v98
	v_cvt_f16_f32_e32 v85, v99
	;; [unrolled: 1-line block ×6, first 2 shown]
	v_pack_b32_f16 v84, v84, v85
	ds_write2_b32 v83, v82, v84 offset0:140 offset1:206
	v_pack_b32_f16 v82, v86, v87
	v_pack_b32_f16 v83, v88, v89
	v_add_u32_e32 v84, 0x800, v113
	ds_write2_b32 v84, v82, v83 offset0:16 offset1:82
	v_cvt_f16_f32_e32 v82, v100
	v_cvt_f16_f32_e32 v83, v101
	;; [unrolled: 1-line block ×6, first 2 shown]
	v_pack_b32_f16 v82, v82, v83
	v_pack_b32_f16 v83, v85, v86
	ds_write2_b32 v84, v82, v83 offset0:148 offset1:214
	v_pack_b32_f16 v82, v87, v88
	v_add_u32_e32 v83, 0xc00, v113
	ds_write2_b32 v83, v82, v116 offset0:24 offset1:90
	ds_write2_b32 v83, v116, v116 offset0:156 offset1:222
	ds_read2_b64 v[82:85], v114 offset1:4
	s_waitcnt lgkmcnt(0)
	v_mfma_f32_16x16x16f16 v[8:11], v[34:35], v[82:83], v[8:11]
	v_add_u32_e32 v112, 0x140, v112
	v_addc_co_u32_e32 v17, vcc, 0, v17, vcc
	v_cmp_le_i32_e32 vcc, s12, v112
	s_or_b64 s[8:9], vcc, s[8:9]
	v_mfma_f32_16x16x16f16 v[4:7], v[50:51], v[82:83], v[4:7]
	v_mfma_f32_16x16x16f16 v[0:3], v[64:65], v[82:83], v[0:3]
	;; [unrolled: 1-line block ×6, first 2 shown]
	ds_read2_b64 v[62:65], v114 offset0:8 offset1:12
	v_mfma_f32_16x16x16f16 v[12:15], v[78:79], v[84:85], v[12:15]
	s_waitcnt lgkmcnt(0)
	v_mfma_f32_16x16x16f16 v[8:11], v[28:29], v[62:63], v[8:11]
	v_mfma_f32_16x16x16f16 v[4:7], v[44:45], v[62:63], v[4:7]
	;; [unrolled: 1-line block ×5, first 2 shown]
	ds_read2_b64 v[26:29], v114 offset0:16 offset1:20
	v_mfma_f32_16x16x16f16 v[4:7], v[42:43], v[64:65], v[4:7]
	v_mfma_f32_16x16x16f16 v[0:3], v[58:59], v[64:65], v[0:3]
	;; [unrolled: 1-line block ×3, first 2 shown]
	s_waitcnt lgkmcnt(0)
	v_mfma_f32_16x16x16f16 v[8:11], v[24:25], v[26:27], v[8:11]
	v_mfma_f32_16x16x16f16 v[4:7], v[40:41], v[26:27], v[4:7]
	;; [unrolled: 1-line block ×5, first 2 shown]
	ds_read2_b64 v[22:25], v114 offset0:24 offset1:28
	v_mfma_f32_16x16x16f16 v[4:7], v[38:39], v[28:29], v[4:7]
	v_mfma_f32_16x16x16f16 v[0:3], v[54:55], v[28:29], v[0:3]
	;; [unrolled: 1-line block ×3, first 2 shown]
	s_waitcnt lgkmcnt(0)
	v_mfma_f32_16x16x16f16 v[8:11], v[20:21], v[22:23], v[8:11]
	v_mfma_f32_16x16x16f16 v[4:7], v[36:37], v[22:23], v[4:7]
	;; [unrolled: 1-line block ×8, first 2 shown]
	s_andn2_b64 exec, exec, s[8:9]
	s_cbranch_execz .LBB111_45
.LBB111_6:                              ; =>This Inner Loop Header: Depth=1
	v_add_co_u32_e32 v18, vcc, s60, v16
	v_addc_co_u32_e32 v19, vcc, v17, v117, vcc
	global_load_dword v30, v[16:17], off
	global_load_dword v31, v[18:19], off
	v_add_u32_e32 v18, s7, v112
	v_ashrrev_i32_e32 v19, 31, v18
	v_readlane_b32 s79, v119, 11
	v_lshlrev_b64 v[18:19], 2, v[18:19]
	v_add_u32_e32 v20, s79, v112
	v_add_co_u32_e32 v18, vcc, s0, v18
	v_ashrrev_i32_e32 v21, 31, v20
	v_addc_co_u32_e32 v19, vcc, v115, v19, vcc
	v_lshlrev_b64 v[20:21], 2, v[20:21]
	v_add_u32_e32 v22, s63, v112
	v_add_co_u32_e32 v20, vcc, s0, v20
	v_ashrrev_i32_e32 v23, 31, v22
	v_readlane_b32 s79, v119, 12
	v_addc_co_u32_e32 v21, vcc, v115, v21, vcc
	v_lshlrev_b64 v[22:23], 2, v[22:23]
	v_add_u32_e32 v24, s79, v112
	v_add_co_u32_e32 v22, vcc, s0, v22
	v_ashrrev_i32_e32 v25, 31, v24
	v_readlane_b32 s79, v119, 13
	;; [unrolled: 6-line block ×3, first 2 shown]
	v_addc_co_u32_e32 v25, vcc, v115, v25, vcc
	v_lshlrev_b64 v[26:27], 2, v[26:27]
	v_add_u32_e32 v28, s79, v112
	v_add_co_u32_e32 v26, vcc, s0, v26
	v_ashrrev_i32_e32 v29, 31, v28
	v_addc_co_u32_e32 v27, vcc, v115, v27, vcc
	v_lshlrev_b64 v[28:29], 2, v[28:29]
	v_add_co_u32_e32 v28, vcc, s0, v28
	v_addc_co_u32_e32 v29, vcc, v115, v29, vcc
	global_load_dword v32, v[18:19], off
	global_load_dword v33, v[20:21], off
	;; [unrolled: 1-line block ×3, first 2 shown]
	s_nop 0
	global_load_dword v24, v[24:25], off
	s_nop 0
	global_load_dword v25, v[26:27], off
	;; [unrolled: 2-line block ×3, first 2 shown]
	v_add_u32_e32 v18, s67, v112
	v_readlane_b32 s79, v119, 15
	v_ashrrev_i32_e32 v19, 31, v18
	v_add_u32_e32 v20, s79, v112
	v_lshlrev_b64 v[18:19], 2, v[18:19]
	v_readlane_b32 s79, v119, 16
	v_ashrrev_i32_e32 v21, 31, v20
	v_add_co_u32_e32 v18, vcc, s0, v18
	v_add_u32_e32 v22, s79, v112
	v_lshlrev_b64 v[20:21], 2, v[20:21]
	v_addc_co_u32_e32 v19, vcc, v115, v19, vcc
	v_ashrrev_i32_e32 v23, 31, v22
	v_add_co_u32_e32 v20, vcc, s0, v20
	v_readlane_b32 s79, v119, 17
	v_lshlrev_b64 v[22:23], 2, v[22:23]
	v_addc_co_u32_e32 v21, vcc, v115, v21, vcc
	global_load_dword v18, v[18:19], off
	s_nop 0
	global_load_dword v19, v[20:21], off
	v_add_u32_e32 v20, s79, v112
	v_add_co_u32_e32 v22, vcc, s0, v22
	v_ashrrev_i32_e32 v21, 31, v20
	v_addc_co_u32_e32 v23, vcc, v115, v23, vcc
	v_lshlrev_b64 v[20:21], 2, v[20:21]
	v_readlane_b32 s79, v119, 18
	v_add_u32_e32 v58, s23, v112
	v_ashrrev_i32_e32 v59, 31, v58
	v_lshlrev_b64 v[58:59], 2, v[58:59]
	s_waitcnt vmcnt(9)
	ds_write_b32 v113, v30
	s_waitcnt vmcnt(8)
	ds_write_b32 v113, v31 offset:264
	s_waitcnt vmcnt(7)
	ds_write_b32 v113, v32 offset:528
	s_waitcnt vmcnt(6)
	ds_write_b32 v113, v33 offset:792
	s_waitcnt vmcnt(5)
	ds_write_b32 v113, v34 offset:1056
	s_waitcnt vmcnt(4)
	ds_write_b32 v113, v24 offset:1320
	s_waitcnt vmcnt(3)
	ds_write_b32 v113, v25 offset:1584
	s_waitcnt vmcnt(2)
	ds_write_b32 v113, v26 offset:1848
	v_add_co_u32_e32 v24, vcc, s0, v20
	v_add_u32_e32 v20, s79, v112
	v_addc_co_u32_e32 v25, vcc, v115, v21, vcc
	v_ashrrev_i32_e32 v21, 31, v20
	v_lshlrev_b64 v[20:21], 2, v[20:21]
	v_readlane_b32 s79, v119, 19
	v_add_co_u32_e32 v26, vcc, s0, v20
	v_add_u32_e32 v20, s79, v112
	v_addc_co_u32_e32 v27, vcc, v115, v21, vcc
	v_ashrrev_i32_e32 v21, 31, v20
	v_lshlrev_b64 v[20:21], 2, v[20:21]
	v_readlane_b32 s79, v119, 20
	v_add_co_u32_e32 v28, vcc, s0, v20
	v_add_u32_e32 v20, s79, v112
	v_addc_co_u32_e32 v29, vcc, v115, v21, vcc
	v_ashrrev_i32_e32 v21, 31, v20
	v_lshlrev_b64 v[20:21], 2, v[20:21]
	v_readlane_b32 s79, v119, 21
	v_add_co_u32_e32 v30, vcc, s0, v20
	v_add_u32_e32 v20, s79, v112
	v_addc_co_u32_e32 v31, vcc, v115, v21, vcc
	v_ashrrev_i32_e32 v21, 31, v20
	v_lshlrev_b64 v[20:21], 2, v[20:21]
	v_add_co_u32_e32 v32, vcc, s0, v20
	v_add_u32_e32 v20, s75, v112
	v_addc_co_u32_e32 v33, vcc, v115, v21, vcc
	v_ashrrev_i32_e32 v21, 31, v20
	v_lshlrev_b64 v[20:21], 2, v[20:21]
	v_readlane_b32 s79, v119, 22
	v_add_co_u32_e32 v34, vcc, s0, v20
	v_add_u32_e32 v20, s79, v112
	v_addc_co_u32_e32 v35, vcc, v115, v21, vcc
	v_ashrrev_i32_e32 v21, 31, v20
	v_lshlrev_b64 v[20:21], 2, v[20:21]
	v_add_co_u32_e32 v36, vcc, s0, v20
	v_readlane_b32 s79, v119, 23
	v_addc_co_u32_e32 v37, vcc, v115, v21, vcc
	global_load_dword v20, v[22:23], off
	global_load_dword v21, v[24:25], off
	s_nop 0
	global_load_dword v22, v[26:27], off
	global_load_dword v23, v[28:29], off
	;; [unrolled: 1-line block ×4, first 2 shown]
	s_nop 0
	global_load_dword v32, v[34:35], off
	global_load_dword v33, v[36:37], off
	v_add_u32_e32 v26, s79, v112
	v_ashrrev_i32_e32 v27, 31, v26
	v_readlane_b32 s79, v119, 24
	v_lshlrev_b64 v[26:27], 2, v[26:27]
	v_add_u32_e32 v28, s79, v112
	v_add_co_u32_e32 v26, vcc, s0, v26
	v_ashrrev_i32_e32 v29, 31, v28
	v_readlane_b32 s79, v119, 25
	v_addc_co_u32_e32 v27, vcc, v115, v27, vcc
	v_lshlrev_b64 v[28:29], 2, v[28:29]
	v_add_u32_e32 v30, s79, v112
	v_add_co_u32_e32 v28, vcc, s0, v28
	v_ashrrev_i32_e32 v31, 31, v30
	v_addc_co_u32_e32 v29, vcc, v115, v29, vcc
	v_lshlrev_b64 v[30:31], 2, v[30:31]
	v_add_u32_e32 v34, s80, v112
	v_add_co_u32_e32 v30, vcc, s0, v30
	v_ashrrev_i32_e32 v35, 31, v34
	v_addc_co_u32_e32 v31, vcc, v115, v31, vcc
	v_lshlrev_b64 v[34:35], 2, v[34:35]
	v_add_u32_e32 v36, s81, v112
	v_add_co_u32_e32 v34, vcc, s0, v34
	v_ashrrev_i32_e32 v37, 31, v36
	v_addc_co_u32_e32 v35, vcc, v115, v35, vcc
	v_lshlrev_b64 v[36:37], 2, v[36:37]
	v_add_co_u32_e32 v40, vcc, s0, v36
	v_add_u32_e32 v36, s82, v112
	v_addc_co_u32_e32 v41, vcc, v115, v37, vcc
	v_ashrrev_i32_e32 v37, 31, v36
	v_lshlrev_b64 v[36:37], 2, v[36:37]
	v_add_co_u32_e32 v42, vcc, s0, v36
	v_add_u32_e32 v36, s83, v112
	v_addc_co_u32_e32 v43, vcc, v115, v37, vcc
	v_ashrrev_i32_e32 v37, 31, v36
	;; [unrolled: 5-line block ×3, first 2 shown]
	v_lshlrev_b64 v[36:37], 2, v[36:37]
	v_add_co_u32_e32 v46, vcc, s0, v36
	v_addc_co_u32_e32 v47, vcc, v115, v37, vcc
	global_load_dword v36, v[26:27], off
	global_load_dword v37, v[28:29], off
	;; [unrolled: 1-line block ×4, first 2 shown]
	s_nop 0
	global_load_dword v40, v[40:41], off
	s_nop 0
	global_load_dword v41, v[42:43], off
	;; [unrolled: 2-line block ×3, first 2 shown]
	global_load_dword v43, v[46:47], off
	v_add_u32_e32 v26, s85, v112
	v_ashrrev_i32_e32 v27, 31, v26
	v_lshlrev_b64 v[26:27], 2, v[26:27]
	v_add_u32_e32 v28, s86, v112
	v_add_co_u32_e32 v26, vcc, s0, v26
	v_ashrrev_i32_e32 v29, 31, v28
	v_addc_co_u32_e32 v27, vcc, v115, v27, vcc
	v_lshlrev_b64 v[28:29], 2, v[28:29]
	v_add_u32_e32 v30, s87, v112
	v_add_co_u32_e32 v28, vcc, s0, v28
	v_ashrrev_i32_e32 v31, 31, v30
	v_addc_co_u32_e32 v29, vcc, v115, v29, vcc
	;; [unrolled: 5-line block ×4, first 2 shown]
	v_lshlrev_b64 v[44:45], 2, v[44:45]
	v_add_co_u32_e32 v48, vcc, s0, v44
	v_add_u32_e32 v44, s61, v112
	v_addc_co_u32_e32 v49, vcc, v115, v45, vcc
	v_ashrrev_i32_e32 v45, 31, v44
	v_lshlrev_b64 v[44:45], 2, v[44:45]
	v_add_co_u32_e32 v52, vcc, s0, v44
	v_add_u32_e32 v44, s90, v112
	v_addc_co_u32_e32 v53, vcc, v115, v45, vcc
	v_ashrrev_i32_e32 v45, 31, v44
	;; [unrolled: 5-line block ×3, first 2 shown]
	v_lshlrev_b64 v[44:45], 2, v[44:45]
	v_add_co_u32_e32 v56, vcc, s0, v44
	v_addc_co_u32_e32 v57, vcc, v115, v45, vcc
	global_load_dword v44, v[26:27], off
	global_load_dword v45, v[28:29], off
	;; [unrolled: 1-line block ×6, first 2 shown]
	s_nop 0
	global_load_dword v48, v[54:55], off
	global_load_dword v49, v[56:57], off
	v_add_u32_e32 v26, s92, v112
	v_ashrrev_i32_e32 v27, 31, v26
	v_lshlrev_b64 v[26:27], 2, v[26:27]
	v_add_u32_e32 v28, s93, v112
	v_add_co_u32_e32 v26, vcc, s0, v26
	v_ashrrev_i32_e32 v29, 31, v28
	v_addc_co_u32_e32 v27, vcc, v115, v27, vcc
	v_lshlrev_b64 v[28:29], 2, v[28:29]
	v_add_u32_e32 v30, s94, v112
	v_add_co_u32_e32 v28, vcc, s0, v28
	v_ashrrev_i32_e32 v31, 31, v30
	v_addc_co_u32_e32 v29, vcc, v115, v29, vcc
	;; [unrolled: 5-line block ×6, first 2 shown]
	v_lshlrev_b64 v[56:57], 2, v[56:57]
	v_add_co_u32_e32 v56, vcc, s0, v56
	v_addc_co_u32_e32 v57, vcc, v115, v57, vcc
	v_add_co_u32_e32 v58, vcc, s0, v58
	v_addc_co_u32_e32 v59, vcc, v115, v59, vcc
	global_load_dword v60, v[26:27], off
	global_load_dword v61, v[28:29], off
	;; [unrolled: 1-line block ×8, first 2 shown]
	v_add_u32_e32 v26, s28, v112
	v_ashrrev_i32_e32 v27, 31, v26
	v_lshlrev_b64 v[26:27], 2, v[26:27]
	v_add_u32_e32 v28, s29, v112
	v_add_co_u32_e32 v26, vcc, s0, v26
	v_ashrrev_i32_e32 v29, 31, v28
	v_addc_co_u32_e32 v27, vcc, v115, v27, vcc
	v_lshlrev_b64 v[28:29], 2, v[28:29]
	v_add_u32_e32 v30, s3, v112
	v_add_co_u32_e32 v28, vcc, s0, v28
	v_ashrrev_i32_e32 v31, 31, v30
	v_addc_co_u32_e32 v29, vcc, v115, v29, vcc
	;; [unrolled: 5-line block ×7, first 2 shown]
	v_lshlrev_b64 v[58:59], 2, v[58:59]
	v_add_co_u32_e32 v58, vcc, s0, v58
	v_addc_co_u32_e32 v59, vcc, v115, v59, vcc
	global_load_dword v68, v[26:27], off
	global_load_dword v69, v[28:29], off
	;; [unrolled: 1-line block ×8, first 2 shown]
	v_add_u32_e32 v26, s64, v112
	v_ashrrev_i32_e32 v27, 31, v26
	v_lshlrev_b64 v[26:27], 2, v[26:27]
	v_add_u32_e32 v28, s65, v112
	v_add_co_u32_e32 v26, vcc, s0, v26
	v_ashrrev_i32_e32 v29, 31, v28
	v_addc_co_u32_e32 v27, vcc, v115, v27, vcc
	v_lshlrev_b64 v[28:29], 2, v[28:29]
	v_add_u32_e32 v30, s66, v112
	v_add_co_u32_e32 v28, vcc, s0, v28
	v_ashrrev_i32_e32 v31, 31, v30
	v_addc_co_u32_e32 v29, vcc, v115, v29, vcc
	;; [unrolled: 5-line block ×7, first 2 shown]
	v_lshlrev_b64 v[58:59], 2, v[58:59]
	v_add_co_u32_e32 v58, vcc, s0, v58
	v_addc_co_u32_e32 v59, vcc, v115, v59, vcc
	global_load_dword v76, v[26:27], off
	global_load_dword v77, v[28:29], off
	;; [unrolled: 1-line block ×8, first 2 shown]
	v_add_u32_e32 v26, s73, v112
	v_ashrrev_i32_e32 v27, 31, v26
	v_lshlrev_b64 v[26:27], 2, v[26:27]
	v_add_u32_e32 v28, s74, v112
	v_add_co_u32_e32 v26, vcc, s0, v26
	v_ashrrev_i32_e32 v29, 31, v28
	v_addc_co_u32_e32 v27, vcc, v115, v27, vcc
	v_lshlrev_b64 v[28:29], 2, v[28:29]
	v_add_u32_e32 v30, s76, v112
	v_add_co_u32_e32 v28, vcc, s0, v28
	v_ashrrev_i32_e32 v31, 31, v30
	v_addc_co_u32_e32 v29, vcc, v115, v29, vcc
	;; [unrolled: 5-line block ×5, first 2 shown]
	v_lshlrev_b64 v[54:55], 2, v[54:55]
	v_add_co_u32_e32 v54, vcc, s0, v54
	v_addc_co_u32_e32 v55, vcc, v115, v55, vcc
	global_load_dword v84, v[26:27], off
	global_load_dword v85, v[28:29], off
	;; [unrolled: 1-line block ×6, first 2 shown]
	s_waitcnt vmcnt(55)
	ds_write_b32 v113, v18 offset:2112
	s_waitcnt vmcnt(54)
	ds_write_b32 v113, v19 offset:2376
	s_waitcnt vmcnt(53)
	ds_write_b32 v113, v20 offset:2640
	s_waitcnt vmcnt(52)
	ds_write_b32 v113, v21 offset:2904
	s_waitcnt vmcnt(51)
	ds_write_b32 v113, v22 offset:3168
	s_waitcnt vmcnt(50)
	ds_write_b32 v113, v23 offset:3432
	s_waitcnt vmcnt(49)
	ds_write_b32 v113, v24 offset:3696
	s_waitcnt vmcnt(48)
	ds_write_b32 v113, v25 offset:3960
	ds_read_b64 v[34:35], v114
	ds_read_b64 v[30:31], v114 offset:32
	ds_read_b64 v[28:29], v114 offset:64
	ds_read_b64 v[26:27], v114 offset:96
	ds_read_b64 v[24:25], v114 offset:128
	ds_read_b64 v[22:23], v114 offset:160
	ds_read_b64 v[20:21], v114 offset:192
	ds_read_b64 v[18:19], v114 offset:224
	s_waitcnt vmcnt(47)
	ds_write_b32 v113, v32
	s_waitcnt vmcnt(46)
	ds_write_b32 v113, v33 offset:264
	s_waitcnt vmcnt(45)
	ds_write_b32 v113, v36 offset:528
	s_waitcnt vmcnt(44)
	ds_write_b32 v113, v37 offset:792
	s_waitcnt vmcnt(43)
	ds_write_b32 v113, v38 offset:1056
	s_waitcnt vmcnt(42)
	ds_write_b32 v113, v39 offset:1320
	s_waitcnt vmcnt(41)
	ds_write_b32 v113, v40 offset:1584
	s_waitcnt vmcnt(40)
	ds_write_b32 v113, v41 offset:1848
	s_waitcnt vmcnt(39)
	ds_write_b32 v113, v42 offset:2112
	s_waitcnt vmcnt(38)
	ds_write_b32 v113, v43 offset:2376
	s_waitcnt vmcnt(37)
	ds_write_b32 v113, v44 offset:2640
	s_waitcnt vmcnt(36)
	ds_write_b32 v113, v45 offset:2904
	s_waitcnt vmcnt(35)
	ds_write_b32 v113, v46 offset:3168
	s_waitcnt vmcnt(34)
	ds_write_b32 v113, v47 offset:3432
	s_waitcnt vmcnt(33)
	ds_write_b32 v113, v50 offset:3696
	s_waitcnt vmcnt(32)
	ds_write_b32 v113, v51 offset:3960
	ds_read_b64 v[50:51], v114
	ds_read_b64 v[46:47], v114 offset:32
	ds_read_b64 v[44:45], v114 offset:64
	ds_read_b64 v[42:43], v114 offset:96
	ds_read_b64 v[40:41], v114 offset:128
	ds_read_b64 v[38:39], v114 offset:160
	ds_read_b64 v[36:37], v114 offset:192
	ds_read_b64 v[32:33], v114 offset:224
	s_waitcnt vmcnt(31)
	ds_write_b32 v113, v48
	s_waitcnt vmcnt(30)
	ds_write_b32 v113, v49 offset:264
	s_waitcnt vmcnt(29)
	ds_write_b32 v113, v60 offset:528
	s_waitcnt vmcnt(28)
	ds_write_b32 v113, v61 offset:792
	s_waitcnt vmcnt(27)
	ds_write_b32 v113, v62 offset:1056
	s_waitcnt vmcnt(26)
	ds_write_b32 v113, v63 offset:1320
	s_waitcnt vmcnt(25)
	ds_write_b32 v113, v64 offset:1584
	s_waitcnt vmcnt(24)
	ds_write_b32 v113, v65 offset:1848
	;; [unrolled: 40-line block ×3, first 2 shown]
	s_waitcnt vmcnt(7)
	ds_write_b32 v113, v82 offset:2112
	s_waitcnt vmcnt(6)
	ds_write_b32 v113, v83 offset:2376
	;; [unrolled: 2-line block ×8, first 2 shown]
	ds_read_b64 v[80:81], v114
	ds_read_b64 v[78:79], v114 offset:32
	ds_read_b64 v[76:77], v114 offset:64
	;; [unrolled: 1-line block ×7, first 2 shown]
	s_andn2_b64 vcc, exec, s[4:5]
	v_mov_b32_e32 v82, 0
	v_mov_b32_e32 v83, 0
	s_cbranch_vccnz .LBB111_9
; %bb.7:                                ;   in Loop: Header=BB111_6 Depth=1
	s_load_dword vcc_lo, s[34:35], 0x0
	v_mov_b32_e32 v83, 0
	v_mov_b32_e32 v82, 0
	s_waitcnt lgkmcnt(0)
	s_mul_hi_u32 vcc_hi, vcc_lo, s16
	s_add_i32 vcc_hi, vcc_lo, vcc_hi
	s_lshr_b32 s79, vcc_hi, s17
	s_cmp_ge_i32 s79, s13
	s_cbranch_scc1 .LBB111_9
; %bb.8:                                ;   in Loop: Header=BB111_6 Depth=1
	s_mul_i32 vcc_hi, s79, s18
	s_sub_i32 vcc_lo, vcc_lo, vcc_hi
	s_mul_i32 s79, s79, s20
	s_mul_i32 vcc_lo, vcc_lo, s1
	v_add_u32_e32 v82, s79, v112
	v_lshl_add_u32 v82, v82, 1, vcc_lo
	v_ashrrev_i32_e32 v83, 31, v82
	v_lshlrev_b64 v[82:83], 2, v[82:83]
	v_mov_b32_e32 v84, s11
	v_add_co_u32_e32 v82, vcc, s10, v82
	v_addc_co_u32_e32 v83, vcc, v84, v83, vcc
	global_load_dwordx2 v[82:83], v[82:83], off
.LBB111_9:                              ;   in Loop: Header=BB111_6 Depth=1
	s_andn2_b64 vcc, exec, s[36:37]
	v_mov_b32_e32 v84, 0
	v_mov_b32_e32 v86, 0
	v_mov_b32_e32 v87, 0
	s_cbranch_vccnz .LBB111_12
; %bb.10:                               ;   in Loop: Header=BB111_6 Depth=1
	s_load_dword vcc_lo, s[34:35], 0x4
	v_mov_b32_e32 v87, 0
	v_mov_b32_e32 v86, 0
	s_waitcnt lgkmcnt(0)
	s_mul_hi_u32 s79, vcc_lo, s16
	s_add_i32 s79, vcc_lo, s79
	s_lshr_b32 vcc_hi, s79, s17
	s_cmp_ge_i32 vcc_hi, s13
	s_cbranch_scc1 .LBB111_12
; %bb.11:                               ;   in Loop: Header=BB111_6 Depth=1
	s_mul_i32 s79, vcc_hi, s18
	s_sub_i32 s79, vcc_lo, s79
	s_mul_i32 vcc_hi, vcc_hi, s20
	s_mul_i32 s79, s79, s1
	v_add_u32_e32 v85, vcc_hi, v112
	v_lshl_add_u32 v86, v85, 1, s79
	v_ashrrev_i32_e32 v87, 31, v86
	v_lshlrev_b64 v[86:87], 2, v[86:87]
	v_mov_b32_e32 v85, s11
	v_add_co_u32_e32 v86, vcc, s10, v86
	v_addc_co_u32_e32 v87, vcc, v85, v87, vcc
	global_load_dwordx2 v[86:87], v[86:87], off
.LBB111_12:                             ;   in Loop: Header=BB111_6 Depth=1
	s_andn2_b64 vcc, exec, s[38:39]
	v_mov_b32_e32 v85, 0
	s_cbranch_vccnz .LBB111_15
; %bb.13:                               ;   in Loop: Header=BB111_6 Depth=1
	s_load_dword vcc_lo, s[34:35], 0x8
	v_mov_b32_e32 v85, 0
	v_mov_b32_e32 v84, 0
	s_waitcnt lgkmcnt(0)
	s_mul_hi_u32 s79, vcc_lo, s16
	s_add_i32 s79, vcc_lo, s79
	s_lshr_b32 vcc_hi, s79, s17
	s_cmp_ge_i32 vcc_hi, s13
	s_cbranch_scc1 .LBB111_15
; %bb.14:                               ;   in Loop: Header=BB111_6 Depth=1
	s_mul_i32 s79, vcc_hi, s18
	s_sub_i32 s79, vcc_lo, s79
	s_mul_i32 vcc_hi, vcc_hi, s20
	s_mul_i32 s79, s79, s1
	v_add_u32_e32 v84, vcc_hi, v112
	v_lshl_add_u32 v84, v84, 1, s79
	v_ashrrev_i32_e32 v85, 31, v84
	v_lshlrev_b64 v[84:85], 2, v[84:85]
	v_mov_b32_e32 v88, s11
	v_add_co_u32_e32 v84, vcc, s10, v84
	v_addc_co_u32_e32 v85, vcc, v88, v85, vcc
	global_load_dwordx2 v[84:85], v[84:85], off
.LBB111_15:                             ;   in Loop: Header=BB111_6 Depth=1
	s_andn2_b64 vcc, exec, s[40:41]
	v_mov_b32_e32 v88, 0
	v_mov_b32_e32 v90, 0
	v_mov_b32_e32 v91, 0
	s_cbranch_vccnz .LBB111_18
; %bb.16:                               ;   in Loop: Header=BB111_6 Depth=1
	s_load_dword vcc_lo, s[34:35], 0xc
	v_mov_b32_e32 v91, 0
	v_mov_b32_e32 v90, 0
	s_waitcnt lgkmcnt(0)
	s_mul_hi_u32 s79, vcc_lo, s16
	s_add_i32 s79, vcc_lo, s79
	s_lshr_b32 vcc_hi, s79, s17
	s_cmp_ge_i32 vcc_hi, s13
	s_cbranch_scc1 .LBB111_18
; %bb.17:                               ;   in Loop: Header=BB111_6 Depth=1
	s_mul_i32 s79, vcc_hi, s18
	s_sub_i32 s79, vcc_lo, s79
	s_mul_i32 vcc_hi, vcc_hi, s20
	s_mul_i32 s79, s79, s1
	v_add_u32_e32 v89, vcc_hi, v112
	v_lshl_add_u32 v90, v89, 1, s79
	v_ashrrev_i32_e32 v91, 31, v90
	v_lshlrev_b64 v[90:91], 2, v[90:91]
	v_mov_b32_e32 v89, s11
	v_add_co_u32_e32 v90, vcc, s10, v90
	v_addc_co_u32_e32 v91, vcc, v89, v91, vcc
	global_load_dwordx2 v[90:91], v[90:91], off
.LBB111_18:                             ;   in Loop: Header=BB111_6 Depth=1
	s_andn2_b64 vcc, exec, s[42:43]
	v_mov_b32_e32 v89, 0
	s_cbranch_vccnz .LBB111_21
; %bb.19:                               ;   in Loop: Header=BB111_6 Depth=1
	s_load_dword vcc_lo, s[34:35], 0x10
	v_mov_b32_e32 v89, 0
	v_mov_b32_e32 v88, 0
	s_waitcnt lgkmcnt(0)
	s_mul_hi_u32 s79, vcc_lo, s16
	s_add_i32 s79, vcc_lo, s79
	s_lshr_b32 vcc_hi, s79, s17
	s_cmp_ge_i32 vcc_hi, s13
	s_cbranch_scc1 .LBB111_21
; %bb.20:                               ;   in Loop: Header=BB111_6 Depth=1
	s_mul_i32 s79, vcc_hi, s18
	s_sub_i32 s79, vcc_lo, s79
	s_mul_i32 vcc_hi, vcc_hi, s20
	s_mul_i32 s79, s79, s1
	v_add_u32_e32 v88, vcc_hi, v112
	v_lshl_add_u32 v88, v88, 1, s79
	v_ashrrev_i32_e32 v89, 31, v88
	v_lshlrev_b64 v[88:89], 2, v[88:89]
	v_mov_b32_e32 v92, s11
	v_add_co_u32_e32 v88, vcc, s10, v88
	v_addc_co_u32_e32 v89, vcc, v92, v89, vcc
	global_load_dwordx2 v[88:89], v[88:89], off
.LBB111_21:                             ;   in Loop: Header=BB111_6 Depth=1
	;; [unrolled: 56-line block ×5, first 2 shown]
	s_andn2_b64 vcc, exec, s[56:57]
	v_mov_b32_e32 v104, 0
	v_mov_b32_e32 v106, 0
	;; [unrolled: 1-line block ×3, first 2 shown]
	s_cbranch_vccnz .LBB111_42
; %bb.40:                               ;   in Loop: Header=BB111_6 Depth=1
	s_load_dword vcc_lo, s[34:35], 0x2c
	v_mov_b32_e32 v107, 0
	v_mov_b32_e32 v106, 0
	s_waitcnt lgkmcnt(0)
	s_mul_hi_u32 s79, vcc_lo, s16
	s_add_i32 s79, vcc_lo, s79
	s_lshr_b32 vcc_hi, s79, s17
	s_cmp_ge_i32 vcc_hi, s13
	s_cbranch_scc1 .LBB111_42
; %bb.41:                               ;   in Loop: Header=BB111_6 Depth=1
	s_mul_i32 s79, vcc_hi, s18
	s_sub_i32 s79, vcc_lo, s79
	s_mul_i32 vcc_hi, vcc_hi, s20
	s_mul_i32 s79, s79, s1
	v_add_u32_e32 v105, vcc_hi, v112
	v_lshl_add_u32 v106, v105, 1, s79
	v_ashrrev_i32_e32 v107, 31, v106
	v_lshlrev_b64 v[106:107], 2, v[106:107]
	v_mov_b32_e32 v105, s11
	v_add_co_u32_e32 v106, vcc, s10, v106
	v_addc_co_u32_e32 v107, vcc, v105, v107, vcc
	global_load_dwordx2 v[106:107], v[106:107], off
.LBB111_42:                             ;   in Loop: Header=BB111_6 Depth=1
	s_andn2_b64 vcc, exec, s[58:59]
	v_mov_b32_e32 v105, 0
	s_cbranch_vccnz .LBB111_5
; %bb.43:                               ;   in Loop: Header=BB111_6 Depth=1
	s_load_dword vcc_lo, s[34:35], 0x30
	v_mov_b32_e32 v105, 0
	v_mov_b32_e32 v104, 0
	s_waitcnt lgkmcnt(0)
	s_mul_hi_u32 s79, vcc_lo, s16
	s_add_i32 s79, vcc_lo, s79
	s_lshr_b32 vcc_hi, s79, s17
	s_cmp_ge_i32 vcc_hi, s13
	s_cbranch_scc1 .LBB111_5
; %bb.44:                               ;   in Loop: Header=BB111_6 Depth=1
	s_mul_i32 s79, vcc_hi, s18
	s_sub_i32 s79, vcc_lo, s79
	s_mul_i32 vcc_hi, vcc_hi, s20
	s_mul_i32 s79, s79, s1
	v_add_u32_e32 v104, vcc_hi, v112
	v_lshl_add_u32 v104, v104, 1, s79
	v_ashrrev_i32_e32 v105, 31, v104
	v_lshlrev_b64 v[104:105], 2, v[104:105]
	v_mov_b32_e32 v118, s11
	v_add_co_u32_e32 v104, vcc, s10, v104
	v_addc_co_u32_e32 v105, vcc, v118, v105, vcc
	global_load_dwordx2 v[104:105], v[104:105], off
	s_branch .LBB111_5
.LBB111_45:
	s_or_b64 exec, exec, s[8:9]
	v_readlane_b32 s24, v119, 6
	v_readlane_b32 s26, v119, 9
	v_readlane_b32 s25, v119, 7
	v_readlane_b32 s27, v119, 10
	v_readlane_b32 s28, v119, 8
.LBB111_46:
	v_readlane_b32 s0, v119, 4
	v_readlane_b32 s1, v119, 5
	s_or_b64 exec, exec, s[0:1]
	v_mul_u32_u24_e32 v16, 0x508, v111
	v_lshlrev_b32_e32 v17, 2, v110
	v_add3_u32 v16, 0, v16, v17
	v_and_b32_e32 v17, 0x3f0, v109
	v_add_u32_e32 v17, v16, v17
	s_lshl_b64 s[0:1], s[26:27], 2
	v_readlane_b32 s4, v119, 0
	s_barrier
	ds_write2_b32 v17, v8, v9 offset1:1
	ds_write_b32 v17, v10 offset:8
	v_or_b32_e32 v8, 12, v109
	v_readlane_b32 s5, v119, 1
	s_add_u32 s3, s4, s0
	v_and_b32_e32 v8, 0x3fc, v8
	s_addc_u32 s7, s5, s1
	v_add_u32_e32 v8, v16, v8
	ds_write_b32 v8, v11
	ds_write2_b32 v17, v4, v5 offset0:16 offset1:17
	ds_write_b32 v17, v6 offset:72
	ds_write_b32 v8, v7 offset:64
	ds_write2_b32 v17, v0, v1 offset0:32 offset1:33
	ds_write_b32 v17, v2 offset:136
	ds_write_b32 v8, v3 offset:128
	ds_write2_b32 v17, v12, v13 offset0:48 offset1:49
	ds_write_b32 v17, v14 offset:200
	ds_write_b32 v8, v15 offset:192
	s_cmp_gt_i32 s14, 0
	v_add_u32_e32 v0, s6, v108
	s_cselect_b64 s[4:5], -1, 0
	v_cmp_gt_i32_e64 s[0:1], s33, v0
	v_cmp_gt_u32_e32 vcc, 13, v108
	s_and_b64 s[0:1], s[4:5], s[0:1]
	v_lshl_add_u32 v5, v109, 2, 0
	v_add_u32_e32 v4, s28, v109
	v_mul_u32_u24_e32 v6, 0x508, v108
	s_and_b64 s[8:9], vcc, s[0:1]
	s_waitcnt lgkmcnt(0)
	s_barrier
	s_and_saveexec_b64 s[0:1], s[8:9]
	s_cbranch_execz .LBB111_49
; %bb.47:
	v_ashrrev_i32_e32 v1, 31, v0
	v_lshlrev_b64 v[2:3], 2, v[0:1]
	v_mov_b32_e32 v1, s7
	v_add_co_u32_e32 v2, vcc, s3, v2
	v_addc_co_u32_e32 v3, vcc, v1, v3, vcc
	global_load_dword v2, v[2:3], off
	s_waitcnt vmcnt(0)
	v_mul_hi_u32 v1, v2, s19
	v_add_u32_e32 v1, v2, v1
	v_lshrrev_b32_e32 v1, s24, v1
	v_cmp_gt_i32_e32 vcc, s13, v1
	s_and_b64 exec, exec, vcc
	s_cbranch_execz .LBB111_49
; %bb.48:
	v_add_u32_e32 v3, v5, v6
	ds_read2st64_b32 v[8:9], v3 offset1:1
	ds_read2st64_b32 v[10:11], v3 offset0:2 offset1:3
	ds_read_b32 v3, v3 offset:1024
	v_mul_lo_u32 v7, v1, s25
	v_sub_u32_e32 v2, v2, v7
	v_mul_lo_u32 v2, v2, s2
	s_waitcnt lgkmcnt(2)
	v_add_f32_e32 v7, 0, v8
	v_add_f32_e32 v7, v7, v9
	s_waitcnt lgkmcnt(1)
	v_add_f32_e32 v7, v7, v10
	v_add_f32_e32 v7, v7, v11
	v_mul_lo_u32 v1, v1, s21
	s_waitcnt lgkmcnt(0)
	v_add_f32_e32 v7, v7, v3
	v_add3_u32 v2, v4, v1, v2
	v_mov_b32_e32 v3, 0
	v_readlane_b32 s8, v119, 2
	v_lshlrev_b64 v[2:3], 2, v[2:3]
	v_readlane_b32 s9, v119, 3
	v_mov_b32_e32 v1, s9
	v_add_co_u32_e32 v2, vcc, s8, v2
	v_addc_co_u32_e32 v3, vcc, v1, v3, vcc
	global_store_dword v[2:3], v7, off
.LBB111_49:
	s_or_b64 exec, exec, s[0:1]
	v_add_u32_e32 v1, 5, v0
	v_cmp_gt_i32_e64 s[0:1], s33, v1
	v_cmp_gt_u32_e32 vcc, 8, v108
	s_and_b64 s[0:1], s[4:5], s[0:1]
	s_and_b64 s[8:9], vcc, s[0:1]
	s_and_saveexec_b64 s[0:1], s[8:9]
	s_cbranch_execz .LBB111_52
; %bb.50:
	s_ashr_i32 s8, s6, 31
	v_mov_b32_e32 v1, s8
	v_add_co_u32_e32 v2, vcc, s6, v108
	v_addc_co_u32_e32 v3, vcc, 0, v1, vcc
	v_lshlrev_b64 v[2:3], 2, v[2:3]
	v_mov_b32_e32 v1, s7
	v_add_co_u32_e32 v2, vcc, s3, v2
	v_addc_co_u32_e32 v3, vcc, v1, v3, vcc
	global_load_dword v2, v[2:3], off offset:20
	v_mov_b32_e32 v3, 0
	s_waitcnt vmcnt(0)
	v_mul_hi_u32 v1, v2, s19
	v_add_u32_e32 v1, v2, v1
	v_lshrrev_b32_e32 v1, s24, v1
	v_cmp_gt_i32_e32 vcc, s13, v1
	s_and_b64 exec, exec, vcc
	s_cbranch_execz .LBB111_52
; %bb.51:
	v_add_u32_e32 v7, v6, v5
	v_add_u32_e32 v10, 40, v7
	ds_read2st64_b32 v[8:9], v10 offset0:25 offset1:26
	v_mul_lo_u32 v12, v1, s25
	ds_read2st64_b32 v[10:11], v10 offset0:27 offset1:28
	ds_read_b32 v7, v7 offset:7464
	v_sub_u32_e32 v2, v2, v12
	v_mul_lo_u32 v2, v2, s2
	s_waitcnt lgkmcnt(2)
	v_add_f32_e32 v8, 0, v8
	v_mul_lo_u32 v1, v1, s21
	v_add_f32_e32 v8, v8, v9
	v_add3_u32 v2, v4, v1, v2
	v_readlane_b32 s8, v119, 2
	s_waitcnt lgkmcnt(1)
	v_add_f32_e32 v8, v8, v10
	v_lshlrev_b64 v[2:3], 2, v[2:3]
	v_readlane_b32 s9, v119, 3
	v_add_f32_e32 v8, v8, v11
	v_mov_b32_e32 v1, s9
	v_add_co_u32_e32 v2, vcc, s8, v2
	s_waitcnt lgkmcnt(0)
	v_add_f32_e32 v7, v8, v7
	v_addc_co_u32_e32 v3, vcc, v1, v3, vcc
	global_store_dword v[2:3], v7, off
.LBB111_52:
	s_or_b64 exec, exec, s[0:1]
	v_cmp_gt_u32_e32 vcc, 3, v108
	s_and_saveexec_b64 s[0:1], vcc
	s_cbranch_execz .LBB111_56
; %bb.53:
	v_add_u32_e32 v0, 10, v0
	v_cmp_gt_i32_e32 vcc, s33, v0
	s_and_b64 s[0:1], s[4:5], vcc
	s_and_b64 exec, exec, s[0:1]
	s_cbranch_execz .LBB111_56
; %bb.54:
	s_ashr_i32 s0, s6, 31
	v_mov_b32_e32 v1, s0
	v_add_co_u32_e32 v0, vcc, s6, v108
	v_addc_co_u32_e32 v1, vcc, 0, v1, vcc
	v_lshlrev_b64 v[0:1], 2, v[0:1]
	v_mov_b32_e32 v2, s7
	v_add_co_u32_e32 v0, vcc, s3, v0
	v_addc_co_u32_e32 v1, vcc, v2, v1, vcc
	global_load_dword v2, v[0:1], off offset:40
	v_mov_b32_e32 v1, 0
	s_waitcnt vmcnt(0)
	v_mul_hi_u32 v0, v2, s19
	v_add_u32_e32 v0, v2, v0
	v_lshrrev_b32_e32 v0, s24, v0
	v_cmp_gt_i32_e32 vcc, s13, v0
	s_and_b64 exec, exec, vcc
	s_cbranch_execz .LBB111_56
; %bb.55:
	v_add_u32_e32 v3, v5, v6
	v_add_u32_e32 v5, 0x50, v3
	ds_read2st64_b32 v[6:7], v5 offset0:50 offset1:51
	v_mul_lo_u32 v10, v0, s25
	ds_read2st64_b32 v[8:9], v5 offset0:52 offset1:53
	ds_read_b32 v3, v3 offset:13904
	v_sub_u32_e32 v2, v2, v10
	v_mul_lo_u32 v2, v2, s2
	s_waitcnt lgkmcnt(2)
	v_add_f32_e32 v5, 0, v6
	v_mul_lo_u32 v0, v0, s21
	v_add_f32_e32 v5, v5, v7
	v_add3_u32 v0, v4, v0, v2
	v_readlane_b32 s0, v119, 2
	s_waitcnt lgkmcnt(1)
	v_add_f32_e32 v5, v5, v8
	v_lshlrev_b64 v[0:1], 2, v[0:1]
	v_readlane_b32 s1, v119, 3
	v_add_f32_e32 v5, v5, v9
	v_mov_b32_e32 v2, s1
	v_add_co_u32_e32 v0, vcc, s0, v0
	s_waitcnt lgkmcnt(0)
	v_add_f32_e32 v3, v5, v3
	v_addc_co_u32_e32 v1, vcc, v2, v1, vcc
	global_store_dword v[0:1], v3, off
.LBB111_56:
	s_endpgm
	.section	.rodata,"a",@progbits
	.p2align	6, 0x0
	.amdhsa_kernel _ZL13mul_mat_f_idsI7__half2Li64ELi13ELi5EEvPKT_PKfPKiS7_S7_Pfiiiiiiiiiiiiii15HIP_vector_typeIjLj3EESA_
		.amdhsa_group_segment_fixed_size 0
		.amdhsa_private_segment_fixed_size 0
		.amdhsa_kernarg_size 128
		.amdhsa_user_sgpr_count 6
		.amdhsa_user_sgpr_private_segment_buffer 1
		.amdhsa_user_sgpr_dispatch_ptr 0
		.amdhsa_user_sgpr_queue_ptr 0
		.amdhsa_user_sgpr_kernarg_segment_ptr 1
		.amdhsa_user_sgpr_dispatch_id 0
		.amdhsa_user_sgpr_flat_scratch_init 0
		.amdhsa_user_sgpr_kernarg_preload_length 0
		.amdhsa_user_sgpr_kernarg_preload_offset 0
		.amdhsa_user_sgpr_private_segment_size 0
		.amdhsa_uses_dynamic_stack 0
		.amdhsa_system_sgpr_private_segment_wavefront_offset 0
		.amdhsa_system_sgpr_workgroup_id_x 1
		.amdhsa_system_sgpr_workgroup_id_y 1
		.amdhsa_system_sgpr_workgroup_id_z 1
		.amdhsa_system_sgpr_workgroup_info 0
		.amdhsa_system_vgpr_workitem_id 1
		.amdhsa_next_free_vgpr 120
		.amdhsa_next_free_sgpr 96
		.amdhsa_accum_offset 120
		.amdhsa_reserve_vcc 1
		.amdhsa_reserve_flat_scratch 0
		.amdhsa_float_round_mode_32 0
		.amdhsa_float_round_mode_16_64 0
		.amdhsa_float_denorm_mode_32 3
		.amdhsa_float_denorm_mode_16_64 3
		.amdhsa_dx10_clamp 1
		.amdhsa_ieee_mode 1
		.amdhsa_fp16_overflow 0
		.amdhsa_tg_split 0
		.amdhsa_exception_fp_ieee_invalid_op 0
		.amdhsa_exception_fp_denorm_src 0
		.amdhsa_exception_fp_ieee_div_zero 0
		.amdhsa_exception_fp_ieee_overflow 0
		.amdhsa_exception_fp_ieee_underflow 0
		.amdhsa_exception_fp_ieee_inexact 0
		.amdhsa_exception_int_div_zero 0
	.end_amdhsa_kernel
	.section	.text._ZL13mul_mat_f_idsI7__half2Li64ELi13ELi5EEvPKT_PKfPKiS7_S7_Pfiiiiiiiiiiiiii15HIP_vector_typeIjLj3EESA_,"axG",@progbits,_ZL13mul_mat_f_idsI7__half2Li64ELi13ELi5EEvPKT_PKfPKiS7_S7_Pfiiiiiiiiiiiiii15HIP_vector_typeIjLj3EESA_,comdat
.Lfunc_end111:
	.size	_ZL13mul_mat_f_idsI7__half2Li64ELi13ELi5EEvPKT_PKfPKiS7_S7_Pfiiiiiiiiiiiiii15HIP_vector_typeIjLj3EESA_, .Lfunc_end111-_ZL13mul_mat_f_idsI7__half2Li64ELi13ELi5EEvPKT_PKfPKiS7_S7_Pfiiiiiiiiiiiiii15HIP_vector_typeIjLj3EESA_
                                        ; -- End function
	.section	.AMDGPU.csdata,"",@progbits
; Kernel info:
; codeLenInByte = 7548
; NumSgprs: 100
; NumVgprs: 120
; NumAgprs: 0
; TotalNumVgprs: 120
; ScratchSize: 0
; MemoryBound: 0
; FloatMode: 240
; IeeeMode: 1
; LDSByteSize: 0 bytes/workgroup (compile time only)
; SGPRBlocks: 12
; VGPRBlocks: 14
; NumSGPRsForWavesPerEU: 100
; NumVGPRsForWavesPerEU: 120
; AccumOffset: 120
; Occupancy: 4
; WaveLimiterHint : 1
; COMPUTE_PGM_RSRC2:SCRATCH_EN: 0
; COMPUTE_PGM_RSRC2:USER_SGPR: 6
; COMPUTE_PGM_RSRC2:TRAP_HANDLER: 0
; COMPUTE_PGM_RSRC2:TGID_X_EN: 1
; COMPUTE_PGM_RSRC2:TGID_Y_EN: 1
; COMPUTE_PGM_RSRC2:TGID_Z_EN: 1
; COMPUTE_PGM_RSRC2:TIDIG_COMP_CNT: 1
; COMPUTE_PGM_RSRC3_GFX90A:ACCUM_OFFSET: 29
; COMPUTE_PGM_RSRC3_GFX90A:TG_SPLIT: 0
	.section	.text._ZL9mul_mat_fI7__half2Li64ELi13ELi5ELb1EEvPKT_PKfPKiPfiiiiiiiiiiiiiiii,"axG",@progbits,_ZL9mul_mat_fI7__half2Li64ELi13ELi5ELb1EEvPKT_PKfPKiPfiiiiiiiiiiiiiiii,comdat
	.globl	_ZL9mul_mat_fI7__half2Li64ELi13ELi5ELb1EEvPKT_PKfPKiPfiiiiiiiiiiiiiiii ; -- Begin function _ZL9mul_mat_fI7__half2Li64ELi13ELi5ELb1EEvPKT_PKfPKiPfiiiiiiiiiiiiiiii
	.p2align	8
	.type	_ZL9mul_mat_fI7__half2Li64ELi13ELi5ELb1EEvPKT_PKfPKiPfiiiiiiiiiiiiiiii,@function
_ZL9mul_mat_fI7__half2Li64ELi13ELi5ELb1EEvPKT_PKfPKiPfiiiiiiiiiiiiiiii: ; @_ZL9mul_mat_fI7__half2Li64ELi13ELi5ELb1EEvPKT_PKfPKiPfiiiiiiiiiiiiiiii
; %bb.0:
	s_load_dwordx8 s[16:23], s[4:5], 0x20
	v_and_b32_e32 v16, 0x3ff, v0
	v_bfe_u32 v17, v0, 10, 10
	v_cmp_eq_u32_e32 vcc, 0, v16
	s_waitcnt lgkmcnt(0)
	s_add_i32 s0, s17, 12
	s_mul_hi_i32 s0, s0, 0x4ec4ec4f
	s_lshr_b32 s1, s0, 31
	s_ashr_i32 s0, s0, 2
	s_add_i32 s0, s0, s1
	v_cvt_f32_u32_e32 v1, s0
	s_load_dwordx4 s[24:27], s[4:5], 0x44
	s_load_dword s1, s[4:5], 0x64
	s_add_u32 s34, s4, 0x60
	s_addc_u32 s35, s5, 0
	v_rcp_iflag_f32_e32 v1, v1
	s_sub_i32 s2, 0, s0
	v_mul_f32_e32 v1, 0x4f7ffffe, v1
	v_cvt_u32_f32_e32 v1, v1
	v_readfirstlane_b32 s3, v1
	s_mul_i32 s2, s2, s3
	s_mul_hi_u32 s2, s3, s2
	s_add_i32 s3, s3, s2
	s_waitcnt lgkmcnt(0)
	s_mul_hi_u32 s2, s1, s3
	s_mul_i32 s3, s2, s0
	s_sub_i32 s1, s1, s3
	s_add_i32 s9, s2, 1
	s_sub_i32 s3, s1, s0
	s_cmp_ge_u32 s1, s0
	s_cselect_b32 s2, s9, s2
	s_cselect_b32 s1, s3, s1
	s_add_i32 s3, s2, 1
	s_cmp_ge_u32 s1, s0
	s_cselect_b32 s10, s3, s2
	v_cvt_f32_u32_e32 v1, s10
	s_abs_i32 s40, s27
	v_cvt_f32_u32_e32 v2, s40
	s_load_dwordx2 s[0:1], s[4:5], 0x10
	v_rcp_iflag_f32_e32 v1, v1
	s_sub_i32 s2, 0, s10
	v_rcp_iflag_f32_e32 v2, v2
	v_mul_f32_e32 v1, 0x4f7ffffe, v1
	v_cvt_u32_f32_e32 v1, v1
	v_mul_f32_e32 v2, 0x4f7ffffe, v2
	v_cvt_u32_f32_e32 v2, v2
	v_readfirstlane_b32 s3, v1
	s_mul_i32 s2, s2, s3
	s_mul_hi_u32 s2, s3, s2
	s_add_i32 s3, s3, s2
	v_readfirstlane_b32 s9, v2
	s_mul_hi_u32 s11, s7, s3
	s_and_saveexec_b64 s[2:3], vcc
	s_cbranch_execz .LBB112_2
; %bb.1:
	v_mov_b32_e32 v1, 0x100
	v_lshl_add_u32 v1, v17, 2, v1
	v_mov_b32_e32 v2, -1
	ds_write_b32 v1, v2
.LBB112_2:
	s_or_b64 exec, exec, s[2:3]
	s_mul_i32 s2, s11, s10
	s_sub_i32 s2, s7, s2
	s_add_i32 s3, s11, 1
	s_sub_i32 s12, s2, s10
	s_cmp_ge_u32 s2, s10
	s_cselect_b32 s3, s3, s11
	s_cselect_b32 s2, s12, s2
	s_add_i32 s11, s3, 1
	s_cmp_ge_u32 s2, s10
	s_cselect_b32 s2, s11, s3
	s_mul_i32 s3, s2, s10
	s_mul_i32 s52, s2, 13
	s_sub_i32 s7, s7, s3
	s_mul_hi_i32 s3, s52, s23
	s_mul_i32 s2, s52, s23
	s_lshl_b64 s[2:3], s[2:3], 2
	s_waitcnt lgkmcnt(0)
	s_add_u32 s33, s0, s2
	v_add_u32_e32 v1, s52, v17
	s_addc_u32 s1, s1, s3
	v_cmp_gt_i32_e64 s[10:11], s18, v16
	v_cmp_gt_i32_e64 s[42:43], s17, v1
	v_mov_b32_e32 v1, 0
	s_and_saveexec_b64 s[14:15], s[42:43]
	s_cbranch_execz .LBB112_10
; %bb.3:
	v_mov_b32_e32 v1, 0
	s_and_saveexec_b64 s[28:29], s[10:11]
	s_cbranch_execz .LBB112_9
; %bb.4:
	v_mul_lo_u32 v2, v17, s23
	v_ashrrev_i32_e32 v3, 31, v2
	v_lshlrev_b64 v[2:3], 2, v[2:3]
	v_mov_b32_e32 v1, s1
	v_add_co_u32_e64 v4, s[2:3], s33, v2
	v_addc_co_u32_e64 v5, s[2:3], v1, v3, s[2:3]
	v_mov_b32_e32 v1, 0x100
	v_lshl_add_u32 v6, v17, 2, v1
	v_mul_lo_u32 v2, v16, s22
	s_lshl_b32 s0, s22, 6
	s_mov_b64 s[30:31], 0
	v_mov_b32_e32 v1, 0
	v_mov_b32_e32 v7, v16
	s_branch .LBB112_6
.LBB112_5:                              ;   in Loop: Header=BB112_6 Depth=1
	s_or_b64 exec, exec, s[36:37]
	v_add_u32_e32 v7, 64, v7
	v_cmp_le_i32_e64 s[12:13], s18, v7
	s_xor_b64 s[2:3], s[2:3], -1
	s_or_b64 s[2:3], s[2:3], s[12:13]
	s_and_b64 s[2:3], exec, s[2:3]
	s_or_b64 s[30:31], s[2:3], s[30:31]
	v_add_u32_e32 v2, s0, v2
	s_andn2_b64 exec, exec, s[30:31]
	s_cbranch_execz .LBB112_8
.LBB112_6:                              ; =>This Inner Loop Header: Depth=1
	v_ashrrev_i32_e32 v3, 31, v2
	v_lshlrev_b64 v[8:9], 2, v[2:3]
	v_add_co_u32_e64 v8, s[2:3], v4, v8
	v_addc_co_u32_e64 v9, s[2:3], v5, v9, s[2:3]
	global_load_dword v3, v[8:9], off
	s_waitcnt vmcnt(0)
	v_cmp_ne_u32_e64 s[2:3], s7, v3
	v_cmp_eq_u32_e64 s[12:13], s7, v3
	s_and_saveexec_b64 s[36:37], s[12:13]
	s_cbranch_execz .LBB112_5
; %bb.7:                                ;   in Loop: Header=BB112_6 Depth=1
	v_mov_b32_e32 v1, 1
	ds_write_b32 v6, v7
	s_branch .LBB112_5
.LBB112_8:
	s_or_b64 exec, exec, s[30:31]
.LBB112_9:
	s_or_b64 exec, exec, s[28:29]
.LBB112_10:
	s_or_b64 exec, exec, s[14:15]
	s_sub_i32 s0, 0, s40
	s_and_saveexec_b64 s[2:3], vcc
	s_cbranch_execz .LBB112_12
; %bb.11:
	v_mov_b32_e32 v2, 0x100
	v_lshl_add_u32 v2, v17, 2, v2
	v_mov_b32_e32 v3, -1
	ds_write_b32 v2, v3 offset:20
.LBB112_12:
	s_or_b64 exec, exec, s[2:3]
	v_add_u32_e32 v88, 5, v17
	s_mul_i32 s0, s0, s9
	v_add_u32_e32 v2, s52, v88
	v_cmp_gt_i32_e64 s[2:3], s17, v2
	s_mov_b64 s[28:29], exec
                                        ; implicit-def: $vgpr104 : SGPR spill to VGPR lane
	v_writelane_b32 v104, s2, 0
	v_writelane_b32 v104, s3, 1
	s_and_b64 s[2:3], s[28:29], s[2:3]
	s_mov_b64 exec, s[2:3]
	s_cbranch_execz .LBB112_20
; %bb.13:
	s_and_saveexec_b64 s[30:31], s[10:11]
	s_cbranch_execz .LBB112_19
; %bb.14:
	v_mul_lo_u32 v2, v88, s23
	v_ashrrev_i32_e32 v3, 31, v2
	v_lshlrev_b64 v[2:3], 2, v[2:3]
	v_mov_b32_e32 v5, s1
	v_add_co_u32_e64 v4, s[12:13], s33, v2
	v_mov_b32_e32 v2, 0x100
	v_addc_co_u32_e64 v5, s[12:13], v5, v3, s[12:13]
	v_lshl_add_u32 v6, v17, 2, v2
	v_mul_lo_u32 v2, v16, s22
	s_lshl_b32 s2, s22, 6
	s_mov_b64 s[36:37], 0
	v_mov_b32_e32 v7, v16
	s_branch .LBB112_16
.LBB112_15:                             ;   in Loop: Header=BB112_16 Depth=1
	s_or_b64 exec, exec, s[38:39]
	v_add_u32_e32 v7, 64, v7
	v_cmp_le_i32_e64 s[14:15], s18, v7
	s_xor_b64 s[12:13], s[12:13], -1
	s_or_b64 s[12:13], s[12:13], s[14:15]
	s_and_b64 s[12:13], exec, s[12:13]
	s_or_b64 s[36:37], s[12:13], s[36:37]
	v_add_u32_e32 v2, s2, v2
	s_andn2_b64 exec, exec, s[36:37]
	s_cbranch_execz .LBB112_18
.LBB112_16:                             ; =>This Inner Loop Header: Depth=1
	v_ashrrev_i32_e32 v3, 31, v2
	v_lshlrev_b64 v[8:9], 2, v[2:3]
	v_add_co_u32_e64 v8, s[12:13], v4, v8
	v_addc_co_u32_e64 v9, s[12:13], v5, v9, s[12:13]
	global_load_dword v3, v[8:9], off
	s_waitcnt vmcnt(0)
	v_cmp_ne_u32_e64 s[12:13], s7, v3
	v_cmp_eq_u32_e64 s[14:15], s7, v3
	s_and_saveexec_b64 s[38:39], s[14:15]
	s_cbranch_execz .LBB112_15
; %bb.17:                               ;   in Loop: Header=BB112_16 Depth=1
	v_mov_b32_e32 v1, 1
	ds_write_b32 v6, v7 offset:20
	s_branch .LBB112_15
.LBB112_18:
	s_or_b64 exec, exec, s[36:37]
.LBB112_19:
	s_or_b64 exec, exec, s[30:31]
.LBB112_20:
	s_or_b64 exec, exec, s[28:29]
	s_mul_hi_u32 s2, s9, s0
	s_and_saveexec_b64 s[12:13], vcc
	s_cbranch_execz .LBB112_22
; %bb.21:
	v_mov_b32_e32 v2, 0x100
	v_lshl_add_u32 v2, v17, 2, v2
	v_mov_b32_e32 v3, -1
	ds_write_b32 v2, v3 offset:40
.LBB112_22:
	s_or_b64 exec, exec, s[12:13]
	s_load_dwordx4 s[28:31], s[4:5], 0x54
	v_add_u32_e32 v89, 10, v17
	s_abs_i32 s0, s8
	s_add_i32 s9, s9, s2
	v_add_u32_e32 v2, s52, v89
	v_cmp_gt_i32_e64 s[2:3], s17, v2
	s_mov_b64 s[14:15], exec
	v_writelane_b32 v104, s2, 2
	v_writelane_b32 v104, s3, 3
	s_and_b64 s[2:3], s[14:15], s[2:3]
	s_mov_b64 exec, s[2:3]
	s_cbranch_execz .LBB112_30
; %bb.23:
	s_and_saveexec_b64 s[36:37], s[10:11]
	s_cbranch_execz .LBB112_29
; %bb.24:
	v_mul_lo_u32 v2, v89, s23
	v_ashrrev_i32_e32 v3, 31, v2
	v_lshlrev_b64 v[2:3], 2, v[2:3]
	v_mov_b32_e32 v5, s1
	v_add_co_u32_e32 v4, vcc, s33, v2
	v_mov_b32_e32 v2, 0x100
	v_addc_co_u32_e32 v5, vcc, v5, v3, vcc
	v_lshl_add_u32 v6, v17, 2, v2
	v_mul_lo_u32 v2, v16, s22
	s_lshl_b32 s1, s22, 6
	s_mov_b64 s[22:23], 0
	v_mov_b32_e32 v7, v16
	s_branch .LBB112_26
.LBB112_25:                             ;   in Loop: Header=BB112_26 Depth=1
	s_or_b64 exec, exec, s[38:39]
	v_add_u32_e32 v7, 64, v7
	v_cmp_le_i32_e64 s[10:11], s18, v7
	s_xor_b64 s[2:3], vcc, -1
	s_or_b64 s[2:3], s[2:3], s[10:11]
	s_and_b64 s[2:3], exec, s[2:3]
	s_or_b64 s[22:23], s[2:3], s[22:23]
	v_add_u32_e32 v2, s1, v2
	s_andn2_b64 exec, exec, s[22:23]
	s_cbranch_execz .LBB112_28
.LBB112_26:                             ; =>This Inner Loop Header: Depth=1
	v_ashrrev_i32_e32 v3, 31, v2
	v_lshlrev_b64 v[8:9], 2, v[2:3]
	v_add_co_u32_e32 v8, vcc, v4, v8
	v_addc_co_u32_e32 v9, vcc, v5, v9, vcc
	global_load_dword v3, v[8:9], off
	s_waitcnt vmcnt(0)
	v_cmp_ne_u32_e32 vcc, s7, v3
	v_cmp_eq_u32_e64 s[10:11], s7, v3
	s_and_saveexec_b64 s[38:39], s[10:11]
	s_cbranch_execz .LBB112_25
; %bb.27:                               ;   in Loop: Header=BB112_26 Depth=1
	v_mov_b32_e32 v1, 1
	ds_write_b32 v6, v7 offset:40
	s_branch .LBB112_25
.LBB112_28:
	s_or_b64 exec, exec, s[22:23]
.LBB112_29:
	s_or_b64 exec, exec, s[36:37]
.LBB112_30:
	s_or_b64 exec, exec, s[14:15]
	s_load_dwordx2 s[2:3], s[34:35], 0xc
	s_load_dwordx4 s[36:39], s[4:5], 0x0
	s_load_dwordx2 s[10:11], s[4:5], 0x18
	v_cmp_ne_u32_e32 vcc, 0, v1
	v_cndmask_b32_e64 v1, 0, 1, vcc
                                        ; kill: killed $sgpr4 killed $sgpr5
	s_waitcnt lgkmcnt(0)
	s_and_b32 s5, s3, 0xffff
	s_lshr_b32 s4, s2, 16
	v_or_b32_dpp v1, v1, v1 row_shl:1 row_mask:0xf bank_mask:0xf bound_ctrl:1
	s_and_b32 s3, s2, 0xffff
	s_mul_i32 s2, s4, s3
	v_or_b32_dpp v1, v1, v1 row_shl:2 row_mask:0xf bank_mask:0xf bound_ctrl:1
	s_bfe_i32 s2, s2, 0x180000
	s_mul_i32 s2, s2, s5
	v_or_b32_dpp v1, v1, v1 row_shl:4 row_mask:0xf bank_mask:0xf bound_ctrl:1
	s_add_i32 s5, s2, 63
	s_bitcmp1_b32 exec_hi, 0
	v_or_b32_dpp v1, v1, v1 row_shl:8 row_mask:0xf bank_mask:0xf bound_ctrl:1
	s_mul_hi_u32 s1, s0, s9
	v_writelane_b32 v104, s10, 4
	v_mov_b32_dpp v2, v1 wave_shl:1 row_mask:0xf bank_mask:0xf bound_ctrl:1
	v_writelane_b32 v104, s11, 5
                                        ; kill: killed $sgpr34 killed $sgpr35
	s_nop 0
	v_or_b32_dpp v1, v2, v1 row_mirror row_mask:0xf bank_mask:0xf bound_ctrl:1
	v_readlane_b32 s2, v1, 32
	s_cselect_b32 s2, s2, 0
	v_readlane_b32 s9, v1, 0
	s_or_b32 s2, s2, s9
	s_andn2_b32 s5, s5, 63
	s_cmp_lg_u32 s5, 64
	v_mov_b32_e32 v1, s2
	s_cbranch_scc0 .LBB112_37
; %bb.31:
	v_bfe_u32 v0, v0, 20, 10
	v_mbcnt_lo_u32_b32 v1, -1, 0
	v_mad_u32_u24 v0, v0, s4, v17
	v_mbcnt_hi_u32_b32 v2, -1, v1
	v_mad_u64_u32 v[0:1], s[4:5], v0, s3, v[16:17]
	v_lshrrev_b32_e32 v1, 6, v0
	v_or_b32_e32 v1, v2, v1
	v_cmp_eq_u32_e32 vcc, 0, v1
	s_and_saveexec_b64 s[4:5], vcc
	s_cbranch_execz .LBB112_33
; %bb.32:
	v_mov_b32_e32 v1, 0
	v_mov_b32_e32 v3, s2
	ds_write_b32 v1, v3
.LBB112_33:
	s_or_b64 exec, exec, s[4:5]
	v_cmp_eq_u32_e32 vcc, 0, v2
	v_cmp_lt_u32_e64 s[4:5], 63, v0
	s_and_b64 s[10:11], s[4:5], vcc
	s_waitcnt lgkmcnt(0)
	s_barrier
	s_and_saveexec_b64 s[4:5], s[10:11]
	s_cbranch_execz .LBB112_36
; %bb.34:
	v_mbcnt_lo_u32_b32 v0, exec_lo, 0
	v_mbcnt_hi_u32_b32 v0, exec_hi, v0
	v_cmp_eq_u32_e32 vcc, 0, v0
	s_and_b64 exec, exec, vcc
	s_cbranch_execz .LBB112_36
; %bb.35:
	v_mov_b32_e32 v0, 0
	v_mov_b32_e32 v1, s2
	ds_or_b32 v0, v1
.LBB112_36:
	s_or_b64 exec, exec, s[4:5]
	v_mov_b32_e32 v0, 0
	s_waitcnt lgkmcnt(0)
	s_barrier
	ds_read_b32 v1, v0
	s_waitcnt lgkmcnt(0)
	s_barrier
.LBB112_37:
	v_cmp_ne_u32_e32 vcc, 0, v1
	s_ashr_i32 s2, s8, 31
	s_ashr_i32 s3, s27, 31
	s_cbranch_vccz .LBB112_94
; %bb.38:
	v_lshlrev_b32_e32 v90, 6, v17
	v_add_u32_e32 v92, v90, v16
	v_cmp_le_i32_e32 vcc, s16, v92
	v_and_b32_e32 v91, 15, v16
                                        ; implicit-def: $sgpr9
	s_and_saveexec_b64 s[4:5], vcc
	s_xor_b64 s[4:5], exec, s[4:5]
; %bb.39:
	v_and_b32_e32 v91, 15, v16
	s_mov_b32 s9, 0
                                        ; implicit-def: $vgpr92
; %bb.40:
	s_or_saveexec_b64 s[4:5], s[4:5]
	s_lshl_b32 s6, s6, 6
	v_mov_b32_e32 v11, s9
	v_mov_b32_e32 v10, s9
	;; [unrolled: 1-line block ×16, first 2 shown]
	v_writelane_b32 v104, s4, 6
	v_writelane_b32 v104, s5, 7
	s_xor_b64 exec, exec, s[4:5]
	s_cbranch_execz .LBB112_83
; %bb.41:
	s_xor_b32 s2, s2, s3
	s_mul_i32 s3, s1, s40
	s_sub_i32 s0, s0, s3
	s_add_i32 s3, s1, 1
	s_sub_i32 s4, s0, s40
	s_cmp_ge_u32 s0, s40
	s_cselect_b32 s1, s3, s1
	s_cselect_b32 s0, s4, s0
	s_add_i32 s3, s1, 1
	s_cmp_ge_u32 s0, s40
	s_cselect_b32 s0, s3, s1
	s_xor_b32 s0, s0, s2
	s_sub_i32 s0, s0, s2
	s_mul_hi_i32 s1, s0, s28
	s_mul_i32 s0, s0, s28
	s_mul_i32 s2, s7, s24
	v_writelane_b32 v104, s42, 8
	s_ashr_i32 s3, s2, 31
	s_lshl_b64 s[0:1], s[0:1], 2
	v_writelane_b32 v104, s43, 9
	s_add_u32 s5, s36, s0
	v_writelane_b32 v104, s6, 10
	s_mul_i32 s4, s6, s19
	s_addc_u32 s6, s37, s1
	s_lshl_b64 s[2:3], s[2:3], 2
	s_add_u32 s7, s5, s2
	s_addc_u32 s6, s6, s3
	s_ashr_i32 s5, s4, 31
	s_lshl_b64 s[4:5], s[4:5], 2
	s_add_u32 s24, s7, s4
	s_addc_u32 s10, s6, s5
	s_movk_i32 s6, 0x1080
	v_mov_b32_e32 v93, 0x100
	v_writelane_b32 v104, s8, 11
	v_mad_u32_u24 v0, v17, s6, v93
	s_mul_hi_i32 s7, s29, s8
	v_writelane_b32 v104, s28, 12
	s_mul_i32 s6, s29, s8
	s_mul_hi_i32 s9, s20, s52
	s_mul_i32 s8, s20, s52
	s_lshl_b64 s[8:9], s[8:9], 3
	s_lshl_b64 s[6:7], s[6:7], 2
	v_writelane_b32 v104, s29, 13
	s_add_u32 s6, s38, s6
	v_writelane_b32 v104, s30, 14
	s_addc_u32 s7, s39, s7
	v_writelane_b32 v104, s31, 15
	s_add_u32 s31, s6, s8
	s_addc_u32 s33, s7, s9
	s_cmp_lt_i32 s52, s17
	s_cselect_b64 s[6:7], -1, 0
	s_add_i32 s8, s52, 1
	s_cmp_lt_i32 s8, s17
	s_cselect_b64 s[14:15], -1, 0
	s_add_i32 s8, s52, 2
	s_cmp_lt_i32 s8, s17
	s_cselect_b64 s[22:23], -1, 0
	s_lshl_b32 s8, s20, 2
	v_writelane_b32 v104, s8, 16
	s_add_i32 s8, s52, 3
	s_cmp_lt_i32 s8, s17
	s_cselect_b64 s[28:29], -1, 0
	s_add_i32 s8, s52, 4
	s_cmp_lt_i32 s8, s17
	s_cselect_b64 s[34:35], -1, 0
	s_lshl_b32 s8, s20, 3
	v_writelane_b32 v104, s8, 17
	s_add_i32 s8, s52, 5
	s_cmp_lt_i32 s8, s17
	s_cselect_b64 s[38:39], -1, 0
	s_add_i32 s8, s52, 6
	s_cmp_lt_i32 s8, s17
	s_mul_i32 s8, s20, 6
	s_cselect_b64 s[40:41], -1, 0
	v_writelane_b32 v104, s8, 18
	s_add_i32 s8, s52, 7
	s_cmp_lt_i32 s8, s17
	s_cselect_b64 s[42:43], -1, 0
	s_add_i32 s8, s52, 8
	s_cmp_lt_i32 s8, s17
	s_cselect_b64 s[44:45], -1, 0
	s_lshl_b32 s8, s20, 4
	v_writelane_b32 v104, s8, 19
	s_add_i32 s8, s52, 9
	s_cmp_lt_i32 s8, s17
	s_cselect_b64 s[46:47], -1, 0
	s_add_i32 s8, s52, 10
	s_cmp_lt_i32 s8, s17
	s_mul_i32 s8, s20, 10
	s_cselect_b64 s[48:49], -1, 0
	v_writelane_b32 v104, s8, 20
	s_add_i32 s8, s52, 11
	s_cmp_lt_i32 s8, s17
	s_cselect_b64 s[50:51], -1, 0
	s_add_i32 s8, s52, 12
	v_writelane_b32 v104, s52, 21
	s_cmp_lt_i32 s8, s17
	s_mul_i32 s8, s20, 12
	s_cselect_b64 s[52:53], -1, 0
	v_writelane_b32 v104, s8, 22
	s_ashr_i32 s9, s19, 31
	s_mov_b32 s8, s19
	s_lshl_b64 s[54:55], s[8:9], 2
	s_add_u32 s0, s0, s4
	v_lshrrev_b32_e32 v2, 1, v16
	s_addc_u32 s1, s1, s5
	v_mul_u32_u24_e32 v1, 0x108, v91
	v_and_b32_e32 v2, 0x1f8, v2
	s_add_u32 s0, s0, s2
	v_lshl_add_u32 v94, v16, 2, v0
	v_add3_u32 v95, v0, v1, v2
	v_lshlrev_b32_e32 v0, 1, v16
	s_addc_u32 s1, s1, s3
	v_lshl_add_u32 v96, v17, 7, v0
	v_lshlrev_b32_e32 v0, 2, v92
	s_add_u32 s0, s36, s0
	v_add_co_u32_e32 v18, vcc, s0, v0
	s_mul_i32 s0, s20, 24
	v_writelane_b32 v104, s0, 23
	s_mul_i32 s0, s20, 22
	v_writelane_b32 v104, s0, 24
	;; [unrolled: 2-line block ×4, first 2 shown]
	s_mul_i32 s0, s20, 14
	s_addc_u32 s1, s37, s1
	v_writelane_b32 v104, s0, 27
	s_lshl_b32 s0, s20, 1
	v_writelane_b32 v104, s0, 28
	s_mul_i32 s0, s19, 3
	v_writelane_b32 v104, s0, 29
	s_mul_i32 s0, s19, 5
	v_mov_b32_e32 v1, s1
	v_writelane_b32 v104, s0, 30
	s_mul_i32 s0, s19, 6
	v_mov_b32_e32 v98, 0
	v_addc_co_u32_e32 v19, vcc, 0, v1, vcc
	s_lshl_b32 s64, s19, 1
	s_lshl_b32 s66, s19, 2
	v_writelane_b32 v104, s0, 31
	s_mul_i32 s69, s19, 7
	s_lshl_b32 s70, s19, 3
	s_mul_i32 s71, s19, 9
	s_mul_i32 s72, s19, 10
	;; [unrolled: 1-line block ×7, first 2 shown]
	s_lshl_b32 s78, s19, 4
	v_mov_b32_e32 v97, s10
	s_mul_i32 s79, s19, 17
	v_mov_b32_e32 v99, s55
	v_mov_b32_e32 v12, 0
	;; [unrolled: 1-line block ×17, first 2 shown]
	s_mul_i32 s55, s19, 18
	s_mul_i32 s80, s19, 19
	;; [unrolled: 1-line block ×14, first 2 shown]
	s_lshl_b32 s93, s19, 5
	s_mul_i32 s94, s19, 33
	s_mul_i32 s95, s19, 34
	;; [unrolled: 1-line block ×31, first 2 shown]
	s_mov_b64 s[18:19], 0
	s_branch .LBB112_43
.LBB112_42:                             ;   in Loop: Header=BB112_43 Depth=1
	s_waitcnt vmcnt(0)
	v_cvt_f16_f32_e32 v84, v84
	v_cvt_f16_f32_e32 v85, v85
	v_add_u32_e32 v86, 0xc00, v94
	ds_write2_b32 v86, v98, v98 offset0:172 offset1:238
	v_add_co_u32_e32 v18, vcc, 0x500, v18
	v_pack_b32_f16 v84, v84, v85
	ds_write2_b32 v86, v84, v98 offset0:40 offset1:106
	ds_read2_b64 v[84:87], v95 offset0:8 offset1:12
	v_add_u32_e32 v92, 0x140, v92
	v_addc_co_u32_e32 v19, vcc, 0, v19, vcc
	s_waitcnt lgkmcnt(0)
	v_mfma_f32_16x16x16f16 v[8:11], v[36:37], v[84:85], v[8:11]
	v_cmp_le_i32_e32 vcc, s16, v92
	v_add_u32_e32 v96, 0x280, v96
	s_or_b64 s[18:19], vcc, s[18:19]
	v_mfma_f32_16x16x16f16 v[4:7], v[52:53], v[84:85], v[4:7]
	v_mfma_f32_16x16x16f16 v[0:3], v[66:67], v[84:85], v[0:3]
	;; [unrolled: 1-line block ×5, first 2 shown]
	ds_read2_b64 v[50:53], v95 offset0:16 offset1:20
	v_mfma_f32_16x16x16f16 v[0:3], v[64:65], v[86:87], v[0:3]
	v_mfma_f32_16x16x16f16 v[12:15], v[80:81], v[86:87], v[12:15]
	s_waitcnt lgkmcnt(0)
	v_mfma_f32_16x16x16f16 v[8:11], v[30:31], v[50:51], v[8:11]
	v_mfma_f32_16x16x16f16 v[4:7], v[46:47], v[50:51], v[4:7]
	;; [unrolled: 1-line block ×5, first 2 shown]
	ds_read2_b64 v[28:31], v95 offset0:24 offset1:28
	v_mfma_f32_16x16x16f16 v[4:7], v[44:45], v[52:53], v[4:7]
	v_mfma_f32_16x16x16f16 v[0:3], v[60:61], v[52:53], v[0:3]
	;; [unrolled: 1-line block ×3, first 2 shown]
	s_waitcnt lgkmcnt(0)
	v_mfma_f32_16x16x16f16 v[8:11], v[26:27], v[28:29], v[8:11]
	v_mfma_f32_16x16x16f16 v[4:7], v[42:43], v[28:29], v[4:7]
	;; [unrolled: 1-line block ×5, first 2 shown]
	ds_read2_b64 v[24:27], v95 offset0:32 offset1:36
	v_mfma_f32_16x16x16f16 v[4:7], v[40:41], v[30:31], v[4:7]
	v_mfma_f32_16x16x16f16 v[0:3], v[56:57], v[30:31], v[0:3]
	;; [unrolled: 1-line block ×3, first 2 shown]
	s_waitcnt lgkmcnt(0)
	v_mfma_f32_16x16x16f16 v[8:11], v[22:23], v[24:25], v[8:11]
	v_mfma_f32_16x16x16f16 v[4:7], v[38:39], v[24:25], v[4:7]
	v_mfma_f32_16x16x16f16 v[0:3], v[54:55], v[24:25], v[0:3]
	v_mfma_f32_16x16x16f16 v[12:15], v[70:71], v[24:25], v[12:15]
	v_mfma_f32_16x16x16f16 v[8:11], v[20:21], v[26:27], v[8:11]
	v_mfma_f32_16x16x16f16 v[4:7], v[34:35], v[26:27], v[4:7]
	v_mfma_f32_16x16x16f16 v[0:3], v[48:49], v[26:27], v[0:3]
	v_mfma_f32_16x16x16f16 v[12:15], v[68:69], v[26:27], v[12:15]
	s_andn2_b64 exec, exec, s[18:19]
	s_cbranch_execz .LBB112_82
.LBB112_43:                             ; =>This Inner Loop Header: Depth=1
	v_add_co_u32_e32 v20, vcc, s54, v18
	v_addc_co_u32_e32 v21, vcc, v19, v99, vcc
	global_load_dword v32, v[18:19], off
	global_load_dword v33, v[20:21], off
	v_add_u32_e32 v20, s64, v92
	v_ashrrev_i32_e32 v21, 31, v20
	v_lshlrev_b64 v[20:21], 2, v[20:21]
	v_add_co_u32_e32 v20, vcc, s24, v20
	v_addc_co_u32_e32 v21, vcc, v97, v21, vcc
	v_readlane_b32 vcc_lo, v104, 29
	v_add_u32_e32 v22, vcc_lo, v92
	v_ashrrev_i32_e32 v23, 31, v22
	v_lshlrev_b64 v[22:23], 2, v[22:23]
	v_add_u32_e32 v24, s66, v92
	v_add_co_u32_e32 v22, vcc, s24, v22
	v_ashrrev_i32_e32 v25, 31, v24
	v_addc_co_u32_e32 v23, vcc, v97, v23, vcc
	v_lshlrev_b64 v[24:25], 2, v[24:25]
	v_add_co_u32_e32 v24, vcc, s24, v24
	v_addc_co_u32_e32 v25, vcc, v97, v25, vcc
	v_readlane_b32 vcc_lo, v104, 30
	v_add_u32_e32 v26, vcc_lo, v92
	v_ashrrev_i32_e32 v27, 31, v26
	v_lshlrev_b64 v[26:27], 2, v[26:27]
	v_add_co_u32_e32 v26, vcc, s24, v26
	v_addc_co_u32_e32 v27, vcc, v97, v27, vcc
	v_readlane_b32 vcc_lo, v104, 31
	v_add_u32_e32 v28, vcc_lo, v92
	v_ashrrev_i32_e32 v29, 31, v28
	v_lshlrev_b64 v[28:29], 2, v[28:29]
	v_add_u32_e32 v30, s69, v92
	v_add_co_u32_e32 v28, vcc, s24, v28
	v_ashrrev_i32_e32 v31, 31, v30
	v_addc_co_u32_e32 v29, vcc, v97, v29, vcc
	v_lshlrev_b64 v[30:31], 2, v[30:31]
	v_add_co_u32_e32 v30, vcc, s24, v30
	v_addc_co_u32_e32 v31, vcc, v97, v31, vcc
	global_load_dword v34, v[20:21], off
	global_load_dword v35, v[22:23], off
	;; [unrolled: 1-line block ×3, first 2 shown]
	s_nop 0
	global_load_dword v26, v[26:27], off
	s_nop 0
	global_load_dword v27, v[28:29], off
	;; [unrolled: 2-line block ×3, first 2 shown]
	v_add_u32_e32 v20, s70, v92
	v_ashrrev_i32_e32 v21, 31, v20
	v_add_u32_e32 v22, s71, v92
	v_lshlrev_b64 v[20:21], 2, v[20:21]
	v_ashrrev_i32_e32 v23, 31, v22
	v_add_co_u32_e32 v20, vcc, s24, v20
	v_add_u32_e32 v24, s72, v92
	v_lshlrev_b64 v[22:23], 2, v[22:23]
	v_addc_co_u32_e32 v21, vcc, v97, v21, vcc
	v_ashrrev_i32_e32 v25, 31, v24
	v_add_co_u32_e32 v22, vcc, s24, v22
	v_lshlrev_b64 v[24:25], 2, v[24:25]
	v_addc_co_u32_e32 v23, vcc, v97, v23, vcc
	global_load_dword v20, v[20:21], off
	s_nop 0
	global_load_dword v21, v[22:23], off
	v_add_u32_e32 v22, s73, v92
	v_add_co_u32_e32 v24, vcc, s24, v24
	v_ashrrev_i32_e32 v23, 31, v22
	v_addc_co_u32_e32 v25, vcc, v97, v25, vcc
	v_lshlrev_b64 v[22:23], 2, v[22:23]
	v_add_u32_e32 v60, s17, v92
	v_ashrrev_i32_e32 v61, 31, v60
	v_lshlrev_b64 v[60:61], 2, v[60:61]
	s_waitcnt vmcnt(9)
	ds_write_b32 v94, v32 offset:64
	s_waitcnt vmcnt(8)
	ds_write_b32 v94, v33 offset:328
	;; [unrolled: 2-line block ×8, first 2 shown]
	v_add_co_u32_e32 v26, vcc, s24, v22
	v_add_u32_e32 v22, s74, v92
	v_addc_co_u32_e32 v27, vcc, v97, v23, vcc
	v_ashrrev_i32_e32 v23, 31, v22
	v_lshlrev_b64 v[22:23], 2, v[22:23]
	v_add_co_u32_e32 v28, vcc, s24, v22
	v_add_u32_e32 v22, s75, v92
	v_addc_co_u32_e32 v29, vcc, v97, v23, vcc
	v_ashrrev_i32_e32 v23, 31, v22
	v_lshlrev_b64 v[22:23], 2, v[22:23]
	;; [unrolled: 5-line block ×6, first 2 shown]
	v_add_co_u32_e32 v38, vcc, s24, v22
	v_addc_co_u32_e32 v39, vcc, v97, v23, vcc
	global_load_dword v22, v[24:25], off
	global_load_dword v23, v[26:27], off
	s_nop 0
	global_load_dword v24, v[28:29], off
	global_load_dword v25, v[30:31], off
	;; [unrolled: 1-line block ×4, first 2 shown]
	s_nop 0
	global_load_dword v34, v[36:37], off
	global_load_dword v35, v[38:39], off
	v_add_u32_e32 v28, s55, v92
	v_ashrrev_i32_e32 v29, 31, v28
	v_lshlrev_b64 v[28:29], 2, v[28:29]
	v_add_u32_e32 v30, s80, v92
	v_add_co_u32_e32 v28, vcc, s24, v28
	v_ashrrev_i32_e32 v31, 31, v30
	v_addc_co_u32_e32 v29, vcc, v97, v29, vcc
	v_lshlrev_b64 v[30:31], 2, v[30:31]
	v_add_u32_e32 v32, s81, v92
	v_add_co_u32_e32 v30, vcc, s24, v30
	v_ashrrev_i32_e32 v33, 31, v32
	v_addc_co_u32_e32 v31, vcc, v97, v31, vcc
	;; [unrolled: 5-line block ×4, first 2 shown]
	v_lshlrev_b64 v[38:39], 2, v[38:39]
	v_add_co_u32_e32 v42, vcc, s24, v38
	v_add_u32_e32 v38, s84, v92
	v_addc_co_u32_e32 v43, vcc, v97, v39, vcc
	v_ashrrev_i32_e32 v39, 31, v38
	v_lshlrev_b64 v[38:39], 2, v[38:39]
	v_add_co_u32_e32 v44, vcc, s24, v38
	v_add_u32_e32 v38, s85, v92
	v_addc_co_u32_e32 v45, vcc, v97, v39, vcc
	v_ashrrev_i32_e32 v39, 31, v38
	v_lshlrev_b64 v[38:39], 2, v[38:39]
	v_add_co_u32_e32 v46, vcc, s24, v38
	v_add_u32_e32 v38, s86, v92
	v_addc_co_u32_e32 v47, vcc, v97, v39, vcc
	v_ashrrev_i32_e32 v39, 31, v38
	v_lshlrev_b64 v[38:39], 2, v[38:39]
	v_add_co_u32_e32 v48, vcc, s24, v38
	v_addc_co_u32_e32 v49, vcc, v97, v39, vcc
	global_load_dword v38, v[28:29], off
	global_load_dword v39, v[30:31], off
	;; [unrolled: 1-line block ×4, first 2 shown]
	s_nop 0
	global_load_dword v42, v[42:43], off
	s_nop 0
	global_load_dword v43, v[44:45], off
	;; [unrolled: 2-line block ×3, first 2 shown]
	global_load_dword v45, v[48:49], off
	v_add_u32_e32 v28, s87, v92
	v_ashrrev_i32_e32 v29, 31, v28
	v_lshlrev_b64 v[28:29], 2, v[28:29]
	v_add_u32_e32 v30, s88, v92
	v_add_co_u32_e32 v28, vcc, s24, v28
	v_ashrrev_i32_e32 v31, 31, v30
	v_addc_co_u32_e32 v29, vcc, v97, v29, vcc
	v_lshlrev_b64 v[30:31], 2, v[30:31]
	v_add_u32_e32 v32, s89, v92
	v_add_co_u32_e32 v30, vcc, s24, v30
	v_ashrrev_i32_e32 v33, 31, v32
	v_addc_co_u32_e32 v31, vcc, v97, v31, vcc
	;; [unrolled: 5-line block ×4, first 2 shown]
	v_lshlrev_b64 v[46:47], 2, v[46:47]
	v_add_co_u32_e32 v48, vcc, s24, v46
	v_add_u32_e32 v46, s92, v92
	v_addc_co_u32_e32 v49, vcc, v97, v47, vcc
	v_ashrrev_i32_e32 v47, 31, v46
	v_lshlrev_b64 v[46:47], 2, v[46:47]
	v_add_co_u32_e32 v54, vcc, s24, v46
	v_add_u32_e32 v46, s93, v92
	v_addc_co_u32_e32 v55, vcc, v97, v47, vcc
	v_ashrrev_i32_e32 v47, 31, v46
	;; [unrolled: 5-line block ×3, first 2 shown]
	v_lshlrev_b64 v[46:47], 2, v[46:47]
	v_add_co_u32_e32 v58, vcc, s24, v46
	v_addc_co_u32_e32 v59, vcc, v97, v47, vcc
	global_load_dword v46, v[28:29], off
	global_load_dword v47, v[30:31], off
	;; [unrolled: 1-line block ×6, first 2 shown]
	s_nop 0
	global_load_dword v48, v[56:57], off
	global_load_dword v49, v[58:59], off
	v_add_u32_e32 v28, s95, v92
	v_ashrrev_i32_e32 v29, 31, v28
	v_lshlrev_b64 v[28:29], 2, v[28:29]
	v_add_u32_e32 v30, s10, v92
	v_add_co_u32_e32 v28, vcc, s24, v28
	v_ashrrev_i32_e32 v31, 31, v30
	v_addc_co_u32_e32 v29, vcc, v97, v29, vcc
	v_lshlrev_b64 v[30:31], 2, v[30:31]
	v_add_u32_e32 v32, s11, v92
	v_add_co_u32_e32 v30, vcc, s24, v30
	v_ashrrev_i32_e32 v33, 31, v32
	v_addc_co_u32_e32 v31, vcc, v97, v31, vcc
	;; [unrolled: 5-line block ×6, first 2 shown]
	v_lshlrev_b64 v[58:59], 2, v[58:59]
	v_add_co_u32_e32 v58, vcc, s24, v58
	v_addc_co_u32_e32 v59, vcc, v97, v59, vcc
	v_add_co_u32_e32 v60, vcc, s24, v60
	v_addc_co_u32_e32 v61, vcc, v97, v61, vcc
	global_load_dword v62, v[28:29], off
	global_load_dword v63, v[30:31], off
	;; [unrolled: 1-line block ×8, first 2 shown]
	v_add_u32_e32 v28, s36, v92
	v_ashrrev_i32_e32 v29, 31, v28
	v_lshlrev_b64 v[28:29], 2, v[28:29]
	v_add_u32_e32 v30, s37, v92
	v_add_co_u32_e32 v28, vcc, s24, v28
	v_ashrrev_i32_e32 v31, 31, v30
	v_addc_co_u32_e32 v29, vcc, v97, v29, vcc
	v_lshlrev_b64 v[30:31], 2, v[30:31]
	v_add_u32_e32 v32, s61, v92
	v_add_co_u32_e32 v30, vcc, s24, v30
	v_ashrrev_i32_e32 v33, 31, v32
	v_addc_co_u32_e32 v31, vcc, v97, v31, vcc
	;; [unrolled: 5-line block ×7, first 2 shown]
	v_lshlrev_b64 v[60:61], 2, v[60:61]
	v_add_co_u32_e32 v60, vcc, s24, v60
	v_addc_co_u32_e32 v61, vcc, v97, v61, vcc
	global_load_dword v70, v[28:29], off
	global_load_dword v71, v[30:31], off
	;; [unrolled: 1-line block ×8, first 2 shown]
	v_add_u32_e32 v28, s13, v92
	v_ashrrev_i32_e32 v29, 31, v28
	v_lshlrev_b64 v[28:29], 2, v[28:29]
	v_add_u32_e32 v30, s0, v92
	v_add_co_u32_e32 v28, vcc, s24, v28
	v_ashrrev_i32_e32 v31, 31, v30
	v_addc_co_u32_e32 v29, vcc, v97, v29, vcc
	v_lshlrev_b64 v[30:31], 2, v[30:31]
	v_add_u32_e32 v32, s1, v92
	v_add_co_u32_e32 v30, vcc, s24, v30
	v_ashrrev_i32_e32 v33, 31, v32
	v_addc_co_u32_e32 v31, vcc, v97, v31, vcc
	;; [unrolled: 5-line block ×7, first 2 shown]
	v_lshlrev_b64 v[60:61], 2, v[60:61]
	v_add_co_u32_e32 v60, vcc, s24, v60
	v_addc_co_u32_e32 v61, vcc, v97, v61, vcc
	global_load_dword v78, v[28:29], off
	global_load_dword v79, v[30:31], off
	;; [unrolled: 1-line block ×8, first 2 shown]
	v_add_u32_e32 v28, s20, v92
	v_ashrrev_i32_e32 v29, 31, v28
	v_lshlrev_b64 v[28:29], 2, v[28:29]
	v_add_u32_e32 v30, s9, v92
	v_add_co_u32_e32 v28, vcc, s24, v28
	v_ashrrev_i32_e32 v31, 31, v30
	v_addc_co_u32_e32 v29, vcc, v97, v29, vcc
	v_lshlrev_b64 v[30:31], 2, v[30:31]
	v_add_u32_e32 v32, s8, v92
	v_add_co_u32_e32 v30, vcc, s24, v30
	v_ashrrev_i32_e32 v33, 31, v32
	v_addc_co_u32_e32 v31, vcc, v97, v31, vcc
	;; [unrolled: 5-line block ×5, first 2 shown]
	v_lshlrev_b64 v[56:57], 2, v[56:57]
	v_add_co_u32_e32 v56, vcc, s24, v56
	v_addc_co_u32_e32 v57, vcc, v97, v57, vcc
	global_load_dword v86, v[28:29], off
	global_load_dword v87, v[30:31], off
	;; [unrolled: 1-line block ×6, first 2 shown]
	s_waitcnt vmcnt(55)
	ds_write_b32 v94, v20 offset:2176
	s_waitcnt vmcnt(54)
	ds_write_b32 v94, v21 offset:2440
	s_waitcnt vmcnt(53)
	ds_write_b32 v94, v22 offset:2704
	s_waitcnt vmcnt(52)
	ds_write_b32 v94, v23 offset:2968
	s_waitcnt vmcnt(51)
	ds_write_b32 v94, v24 offset:3232
	s_waitcnt vmcnt(50)
	ds_write_b32 v94, v25 offset:3496
	s_waitcnt vmcnt(49)
	ds_write_b32 v94, v26 offset:3760
	s_waitcnt vmcnt(48)
	ds_write_b32 v94, v27 offset:4024
	ds_read_b64 v[36:37], v95 offset:64
	ds_read_b64 v[32:33], v95 offset:96
	ds_read_b64 v[30:31], v95 offset:128
	ds_read_b64 v[28:29], v95 offset:160
	ds_read_b64 v[26:27], v95 offset:192
	ds_read_b64 v[24:25], v95 offset:224
	ds_read_b64 v[22:23], v95 offset:256
	ds_read_b64 v[20:21], v95 offset:288
	s_waitcnt vmcnt(47)
	ds_write_b32 v94, v34 offset:64
	s_waitcnt vmcnt(46)
	ds_write_b32 v94, v35 offset:328
	s_waitcnt vmcnt(45)
	ds_write_b32 v94, v38 offset:592
	s_waitcnt vmcnt(44)
	ds_write_b32 v94, v39 offset:856
	s_waitcnt vmcnt(43)
	ds_write_b32 v94, v40 offset:1120
	s_waitcnt vmcnt(42)
	ds_write_b32 v94, v41 offset:1384
	s_waitcnt vmcnt(41)
	ds_write_b32 v94, v42 offset:1648
	s_waitcnt vmcnt(40)
	ds_write_b32 v94, v43 offset:1912
	s_waitcnt vmcnt(39)
	ds_write_b32 v94, v44 offset:2176
	s_waitcnt vmcnt(38)
	ds_write_b32 v94, v45 offset:2440
	s_waitcnt vmcnt(37)
	ds_write_b32 v94, v46 offset:2704
	s_waitcnt vmcnt(36)
	ds_write_b32 v94, v47 offset:2968
	s_waitcnt vmcnt(35)
	ds_write_b32 v94, v50 offset:3232
	s_waitcnt vmcnt(34)
	ds_write_b32 v94, v51 offset:3496
	s_waitcnt vmcnt(33)
	ds_write_b32 v94, v52 offset:3760
	s_waitcnt vmcnt(32)
	ds_write_b32 v94, v53 offset:4024
	ds_read_b64 v[52:53], v95 offset:64
	ds_read_b64 v[50:51], v95 offset:96
	ds_read_b64 v[46:47], v95 offset:128
	ds_read_b64 v[44:45], v95 offset:160
	ds_read_b64 v[42:43], v95 offset:192
	ds_read_b64 v[40:41], v95 offset:224
	ds_read_b64 v[38:39], v95 offset:256
	ds_read_b64 v[34:35], v95 offset:288
	s_waitcnt vmcnt(31)
	ds_write_b32 v94, v48 offset:64
	s_waitcnt vmcnt(30)
	ds_write_b32 v94, v49 offset:328
	s_waitcnt vmcnt(29)
	ds_write_b32 v94, v62 offset:592
	s_waitcnt vmcnt(28)
	ds_write_b32 v94, v63 offset:856
	s_waitcnt vmcnt(27)
	ds_write_b32 v94, v64 offset:1120
	s_waitcnt vmcnt(26)
	ds_write_b32 v94, v65 offset:1384
	s_waitcnt vmcnt(25)
	ds_write_b32 v94, v66 offset:1648
	s_waitcnt vmcnt(24)
	ds_write_b32 v94, v67 offset:1912
	;; [unrolled: 40-line block ×3, first 2 shown]
	s_waitcnt vmcnt(7)
	ds_write_b32 v94, v84 offset:2176
	s_waitcnt vmcnt(6)
	ds_write_b32 v94, v85 offset:2440
	;; [unrolled: 2-line block ×8, first 2 shown]
	ds_read_b64 v[82:83], v95 offset:64
	ds_read_b64 v[80:81], v95 offset:96
	;; [unrolled: 1-line block ×8, first 2 shown]
	s_andn2_b64 vcc, exec, s[6:7]
	v_mov_b32_e32 v84, 0
	v_mov_b32_e32 v85, 0
	s_cbranch_vccnz .LBB112_46
; %bb.44:                               ;   in Loop: Header=BB112_43 Depth=1
	ds_read_b32 v86, v93
	v_mov_b32_e32 v85, 0
	v_mov_b32_e32 v84, 0
	s_waitcnt lgkmcnt(0)
	v_cmp_gt_i32_e32 vcc, 0, v86
	s_cbranch_vccnz .LBB112_46
; %bb.45:                               ;   in Loop: Header=BB112_43 Depth=1
	v_mul_lo_u32 v84, v86, s25
	v_add_u32_e32 v84, v96, v84
	v_ashrrev_i32_e32 v85, 31, v84
	v_lshlrev_b64 v[84:85], 2, v[84:85]
	v_mov_b32_e32 v86, s33
	v_add_co_u32_e32 v84, vcc, s31, v84
	v_addc_co_u32_e32 v85, vcc, v86, v85, vcc
	global_load_dwordx2 v[84:85], v[84:85], off
.LBB112_46:                             ;   in Loop: Header=BB112_43 Depth=1
	s_waitcnt vmcnt(0)
	v_cvt_f16_f32_e32 v84, v84
	v_cvt_f16_f32_e32 v85, v85
	s_andn2_b64 vcc, exec, s[14:15]
	v_mov_b32_e32 v86, 0
	v_mov_b32_e32 v87, 0
	v_pack_b32_f16 v84, v84, v85
	ds_write_b32 v94, v84 offset:64
	v_mov_b32_e32 v84, 0
	s_cbranch_vccnz .LBB112_49
; %bb.47:                               ;   in Loop: Header=BB112_43 Depth=1
	ds_read_b32 v85, v93 offset:4
	v_mov_b32_e32 v87, 0
	v_mov_b32_e32 v86, 0
	s_waitcnt lgkmcnt(0)
	v_cmp_gt_i32_e32 vcc, 0, v85
	s_cbranch_vccnz .LBB112_49
; %bb.48:                               ;   in Loop: Header=BB112_43 Depth=1
	v_mul_lo_u32 v85, v85, s25
	v_readlane_b32 vcc_lo, v104, 28
	v_add_u32_e32 v85, vcc_lo, v85
	v_add_u32_e32 v86, v85, v96
	v_ashrrev_i32_e32 v87, 31, v86
	v_lshlrev_b64 v[86:87], 2, v[86:87]
	v_mov_b32_e32 v85, s33
	v_add_co_u32_e32 v86, vcc, s31, v86
	v_addc_co_u32_e32 v87, vcc, v85, v87, vcc
	global_load_dwordx2 v[86:87], v[86:87], off
.LBB112_49:                             ;   in Loop: Header=BB112_43 Depth=1
	s_waitcnt vmcnt(0)
	v_cvt_f16_f32_e32 v85, v86
	v_cvt_f16_f32_e32 v86, v87
	s_andn2_b64 vcc, exec, s[22:23]
	v_pack_b32_f16 v85, v85, v86
	ds_write_b32 v94, v85 offset:328
	v_mov_b32_e32 v85, 0
	s_cbranch_vccnz .LBB112_52
; %bb.50:                               ;   in Loop: Header=BB112_43 Depth=1
	ds_read_b32 v86, v93 offset:8
	v_mov_b32_e32 v85, 0
	v_mov_b32_e32 v84, 0
	s_waitcnt lgkmcnt(0)
	v_cmp_gt_i32_e32 vcc, 0, v86
	s_cbranch_vccnz .LBB112_52
; %bb.51:                               ;   in Loop: Header=BB112_43 Depth=1
	v_mul_lo_u32 v84, v86, s25
	v_readlane_b32 vcc_lo, v104, 16
	v_add_u32_e32 v84, vcc_lo, v84
	v_add_u32_e32 v84, v84, v96
	v_ashrrev_i32_e32 v85, 31, v84
	v_lshlrev_b64 v[84:85], 2, v[84:85]
	v_mov_b32_e32 v86, s33
	v_add_co_u32_e32 v84, vcc, s31, v84
	v_addc_co_u32_e32 v85, vcc, v86, v85, vcc
	global_load_dwordx2 v[84:85], v[84:85], off
.LBB112_52:                             ;   in Loop: Header=BB112_43 Depth=1
	s_waitcnt vmcnt(0)
	v_cvt_f16_f32_e32 v84, v84
	v_cvt_f16_f32_e32 v85, v85
	s_andn2_b64 vcc, exec, s[28:29]
	v_mov_b32_e32 v86, 0
	v_mov_b32_e32 v87, 0
	v_pack_b32_f16 v84, v84, v85
	ds_write_b32 v94, v84 offset:592
	v_mov_b32_e32 v84, 0
	s_cbranch_vccnz .LBB112_55
; %bb.53:                               ;   in Loop: Header=BB112_43 Depth=1
	ds_read_b32 v85, v93 offset:12
	v_mov_b32_e32 v87, 0
	v_mov_b32_e32 v86, 0
	s_waitcnt lgkmcnt(0)
	v_cmp_gt_i32_e32 vcc, 0, v85
	s_cbranch_vccnz .LBB112_55
; %bb.54:                               ;   in Loop: Header=BB112_43 Depth=1
	v_mul_lo_u32 v85, v85, s25
	v_readlane_b32 vcc_lo, v104, 18
	v_add_u32_e32 v85, vcc_lo, v85
	v_add_u32_e32 v86, v85, v96
	v_ashrrev_i32_e32 v87, 31, v86
	v_lshlrev_b64 v[86:87], 2, v[86:87]
	v_mov_b32_e32 v85, s33
	v_add_co_u32_e32 v86, vcc, s31, v86
	v_addc_co_u32_e32 v87, vcc, v85, v87, vcc
	global_load_dwordx2 v[86:87], v[86:87], off
.LBB112_55:                             ;   in Loop: Header=BB112_43 Depth=1
	s_waitcnt vmcnt(0)
	v_cvt_f16_f32_e32 v85, v86
	v_cvt_f16_f32_e32 v86, v87
	s_andn2_b64 vcc, exec, s[34:35]
	v_pack_b32_f16 v85, v85, v86
	ds_write_b32 v94, v85 offset:856
	v_mov_b32_e32 v85, 0
	s_cbranch_vccnz .LBB112_58
; %bb.56:                               ;   in Loop: Header=BB112_43 Depth=1
	ds_read_b32 v86, v93 offset:16
	v_mov_b32_e32 v85, 0
	v_mov_b32_e32 v84, 0
	s_waitcnt lgkmcnt(0)
	v_cmp_gt_i32_e32 vcc, 0, v86
	s_cbranch_vccnz .LBB112_58
; %bb.57:                               ;   in Loop: Header=BB112_43 Depth=1
	v_mul_lo_u32 v84, v86, s25
	v_readlane_b32 vcc_lo, v104, 17
	v_add_u32_e32 v84, vcc_lo, v84
	v_add_u32_e32 v84, v84, v96
	v_ashrrev_i32_e32 v85, 31, v84
	v_lshlrev_b64 v[84:85], 2, v[84:85]
	v_mov_b32_e32 v86, s33
	v_add_co_u32_e32 v84, vcc, s31, v84
	v_addc_co_u32_e32 v85, vcc, v86, v85, vcc
	global_load_dwordx2 v[84:85], v[84:85], off
.LBB112_58:                             ;   in Loop: Header=BB112_43 Depth=1
	;; [unrolled: 56-line block ×5, first 2 shown]
	s_waitcnt vmcnt(0)
	v_cvt_f16_f32_e32 v84, v84
	v_cvt_f16_f32_e32 v85, v85
	s_andn2_b64 vcc, exec, s[50:51]
	v_mov_b32_e32 v86, 0
	v_mov_b32_e32 v87, 0
	v_pack_b32_f16 v84, v84, v85
	ds_write_b32 v94, v84 offset:2704
	v_mov_b32_e32 v84, 0
	s_cbranch_vccnz .LBB112_79
; %bb.77:                               ;   in Loop: Header=BB112_43 Depth=1
	ds_read_b32 v85, v93 offset:44
	v_mov_b32_e32 v87, 0
	v_mov_b32_e32 v86, 0
	s_waitcnt lgkmcnt(0)
	v_cmp_gt_i32_e32 vcc, 0, v85
	s_cbranch_vccnz .LBB112_79
; %bb.78:                               ;   in Loop: Header=BB112_43 Depth=1
	v_mul_lo_u32 v85, v85, s25
	v_readlane_b32 vcc_lo, v104, 24
	v_add_u32_e32 v85, vcc_lo, v85
	v_add_u32_e32 v86, v85, v96
	v_ashrrev_i32_e32 v87, 31, v86
	v_lshlrev_b64 v[86:87], 2, v[86:87]
	v_mov_b32_e32 v85, s33
	v_add_co_u32_e32 v86, vcc, s31, v86
	v_addc_co_u32_e32 v87, vcc, v85, v87, vcc
	global_load_dwordx2 v[86:87], v[86:87], off
.LBB112_79:                             ;   in Loop: Header=BB112_43 Depth=1
	s_waitcnt vmcnt(0)
	v_cvt_f16_f32_e32 v85, v86
	v_cvt_f16_f32_e32 v86, v87
	s_andn2_b64 vcc, exec, s[52:53]
	v_pack_b32_f16 v85, v85, v86
	ds_write_b32 v94, v85 offset:2968
	v_mov_b32_e32 v85, 0
	s_cbranch_vccnz .LBB112_42
; %bb.80:                               ;   in Loop: Header=BB112_43 Depth=1
	ds_read_b32 v86, v93 offset:48
	v_mov_b32_e32 v85, 0
	v_mov_b32_e32 v84, 0
	s_waitcnt lgkmcnt(0)
	v_cmp_gt_i32_e32 vcc, 0, v86
	s_cbranch_vccnz .LBB112_42
; %bb.81:                               ;   in Loop: Header=BB112_43 Depth=1
	v_mul_lo_u32 v84, v86, s25
	v_readlane_b32 vcc_lo, v104, 23
	v_add_u32_e32 v84, vcc_lo, v84
	v_add_u32_e32 v84, v84, v96
	v_ashrrev_i32_e32 v85, 31, v84
	v_lshlrev_b64 v[84:85], 2, v[84:85]
	v_mov_b32_e32 v86, s33
	v_add_co_u32_e32 v84, vcc, s31, v84
	v_addc_co_u32_e32 v85, vcc, v86, v85, vcc
	global_load_dwordx2 v[84:85], v[84:85], off
	s_branch .LBB112_42
.LBB112_82:
	s_or_b64 exec, exec, s[18:19]
	v_readlane_b32 s42, v104, 8
	v_readlane_b32 s28, v104, 12
	;; [unrolled: 1-line block ×9, first 2 shown]
.LBB112_83:
	v_readlane_b32 s0, v104, 6
	v_readlane_b32 s1, v104, 7
	s_or_b64 exec, exec, s[0:1]
	v_mul_u32_u24_e32 v18, 0x508, v91
	s_movk_i32 s1, 0x100
	v_lshlrev_b32_e32 v19, 2, v90
	v_add3_u32 v18, s1, v18, v19
	v_and_b32_e32 v20, 0x3f0, v16
	v_add_u32_e32 v21, v18, v20
	s_barrier
	v_add_u32_e32 v19, 64, v18
	ds_write2_b32 v21, v8, v9 offset0:16 offset1:17
	v_or_b32_e32 v9, 12, v16
	v_add_u32_e32 v8, v19, v20
	v_and_b32_e32 v9, 0x3fc, v9
	ds_write_b32 v8, v10 offset:8
	v_add_u32_e32 v10, v18, v9
	ds_write_b32 v10, v11 offset:64
	ds_write2_b32 v8, v4, v5 offset0:16 offset1:17
	ds_write_b32 v8, v6 offset:72
	v_add_u32_e32 v4, v19, v9
	ds_write_b32 v4, v7 offset:64
	ds_write2_b32 v8, v0, v1 offset0:32 offset1:33
	ds_write_b32 v8, v2 offset:136
	ds_write_b32 v4, v3 offset:128
	ds_write2_b32 v8, v12, v13 offset0:48 offset1:49
	ds_write_b32 v8, v14 offset:200
	ds_write_b32 v4, v15 offset:192
	v_mov_b32_e32 v4, 0x100
	s_movk_i32 s0, 0x508
	v_lshl_add_u32 v5, v16, 2, v4
	v_mad_u32_u24 v6, v17, s0, v5
	s_waitcnt lgkmcnt(0)
	s_barrier
	ds_read2_b32 v[2:3], v6 offset0:16 offset1:80
	ds_read2_b32 v[0:1], v6 offset0:144 offset1:208
	ds_read_b32 v7, v6 offset:1088
	v_cmp_gt_u32_e32 vcc, 13, v17
	v_mov_b32_e32 v8, -1
	s_and_saveexec_b64 s[4:5], vcc
	s_cbranch_execz .LBB112_85
; %bb.84:
	v_lshl_add_u32 v4, v17, 2, v4
	ds_read_b32 v8, v4
.LBB112_85:
	s_or_b64 exec, exec, s[4:5]
	s_mul_hi_i32 s1, s30, s8
	s_mul_i32 s0, s30, s8
	s_lshl_b64 s[0:1], s[0:1], 2
	v_readlane_b32 s4, v104, 4
	s_mul_hi_i32 s3, s52, s21
	s_mul_i32 s2, s52, s21
	v_readlane_b32 s5, v104, 5
	s_add_u32 s4, s4, s0
	s_addc_u32 s5, s5, s1
	s_lshl_b64 s[0:1], s[2:3], 2
	s_add_u32 s2, s4, s0
	s_waitcnt lgkmcnt(0)
	v_cmp_lt_i32_e32 vcc, -1, v8
	v_mul_u32_u24_e32 v6, 0x508, v17
	v_add_u32_e32 v4, s6, v16
	s_addc_u32 s3, s5, s1
	s_and_b64 s[4:5], vcc, s[42:43]
	s_and_saveexec_b64 s[0:1], s[4:5]
	s_cbranch_execz .LBB112_87
; %bb.86:
	v_add_f32_e32 v2, 0, v2
	v_add_f32_e32 v2, v2, v3
	;; [unrolled: 1-line block ×5, first 2 shown]
	v_mul_lo_u32 v0, v8, s26
	v_mul_lo_u32 v1, v17, s21
	v_add3_u32 v0, v4, v1, v0
	v_mov_b32_e32 v1, 0
	v_lshlrev_b64 v[0:1], 2, v[0:1]
	v_mov_b32_e32 v3, s3
	v_add_co_u32_e32 v0, vcc, s2, v0
	v_addc_co_u32_e32 v1, vcc, v3, v1, vcc
	global_store_dword v[0:1], v2, off
.LBB112_87:
	s_or_b64 exec, exec, s[0:1]
	v_add_u32_e32 v5, v6, v5
	v_add_u32_e32 v0, 0x68, v5
	ds_read2st64_b32 v[2:3], v0 offset0:25 offset1:26
	ds_read2st64_b32 v[0:1], v0 offset0:27 offset1:28
	ds_read_b32 v6, v5 offset:7528
	v_cmp_gt_u32_e32 vcc, 8, v17
	v_mov_b32_e32 v7, -1
	s_and_saveexec_b64 s[0:1], vcc
	s_cbranch_execz .LBB112_89
; %bb.88:
	v_mov_b32_e32 v7, 0x100
	v_lshl_add_u32 v7, v17, 2, v7
	ds_read_b32 v7, v7 offset:20
.LBB112_89:
	s_or_b64 exec, exec, s[0:1]
	v_readlane_b32 s0, v104, 0
	s_waitcnt lgkmcnt(0)
	v_cmp_lt_i32_e32 vcc, -1, v7
	v_readlane_b32 s1, v104, 1
	s_and_b64 s[4:5], vcc, s[0:1]
	s_and_saveexec_b64 s[0:1], s[4:5]
	s_cbranch_execz .LBB112_91
; %bb.90:
	v_add_f32_e32 v2, 0, v2
	v_add_f32_e32 v2, v2, v3
	;; [unrolled: 1-line block ×5, first 2 shown]
	v_mul_lo_u32 v0, v7, s26
	v_mul_lo_u32 v1, v88, s21
	v_add3_u32 v0, v4, v1, v0
	v_mov_b32_e32 v1, 0
	v_lshlrev_b64 v[0:1], 2, v[0:1]
	v_mov_b32_e32 v3, s3
	v_add_co_u32_e32 v0, vcc, s2, v0
	v_addc_co_u32_e32 v1, vcc, v3, v1, vcc
	global_store_dword v[0:1], v2, off
.LBB112_91:
	s_or_b64 exec, exec, s[0:1]
	v_cmp_gt_u32_e32 vcc, 3, v17
	s_and_saveexec_b64 s[0:1], vcc
	s_cbranch_execz .LBB112_94
; %bb.92:
	v_mov_b32_e32 v0, 0x100
	v_lshl_add_u32 v0, v17, 2, v0
	ds_read_b32 v0, v0 offset:40
	v_readlane_b32 s0, v104, 2
	v_readlane_b32 s1, v104, 3
	s_waitcnt lgkmcnt(0)
	v_cmp_lt_i32_e32 vcc, -1, v0
	s_and_b64 s[0:1], vcc, s[0:1]
	s_and_b64 exec, exec, s[0:1]
	s_cbranch_execz .LBB112_94
; %bb.93:
	v_add_u32_e32 v1, 0x90, v5
	ds_read2st64_b32 v[2:3], v1 offset0:50 offset1:51
	ds_read_b32 v5, v5 offset:13968
	ds_read2st64_b32 v[6:7], v1 offset0:52 offset1:53
	v_mul_lo_u32 v0, v0, s26
	v_mul_lo_u32 v1, v89, s21
	s_waitcnt lgkmcnt(2)
	v_add_f32_e32 v2, 0, v2
	v_add_f32_e32 v2, v2, v3
	v_add3_u32 v0, v4, v1, v0
	v_mov_b32_e32 v1, 0
	s_waitcnt lgkmcnt(0)
	v_add_f32_e32 v2, v2, v6
	v_lshlrev_b64 v[0:1], 2, v[0:1]
	v_add_f32_e32 v2, v2, v7
	v_mov_b32_e32 v3, s3
	v_add_co_u32_e32 v0, vcc, s2, v0
	v_add_f32_e32 v2, v2, v5
	v_addc_co_u32_e32 v1, vcc, v3, v1, vcc
	global_store_dword v[0:1], v2, off
.LBB112_94:
	s_endpgm
	.section	.rodata,"a",@progbits
	.p2align	6, 0x0
	.amdhsa_kernel _ZL9mul_mat_fI7__half2Li64ELi13ELi5ELb1EEvPKT_PKfPKiPfiiiiiiiiiiiiiiii
		.amdhsa_group_segment_fixed_size 256
		.amdhsa_private_segment_fixed_size 0
		.amdhsa_kernarg_size 352
		.amdhsa_user_sgpr_count 6
		.amdhsa_user_sgpr_private_segment_buffer 1
		.amdhsa_user_sgpr_dispatch_ptr 0
		.amdhsa_user_sgpr_queue_ptr 0
		.amdhsa_user_sgpr_kernarg_segment_ptr 1
		.amdhsa_user_sgpr_dispatch_id 0
		.amdhsa_user_sgpr_flat_scratch_init 0
		.amdhsa_user_sgpr_kernarg_preload_length 0
		.amdhsa_user_sgpr_kernarg_preload_offset 0
		.amdhsa_user_sgpr_private_segment_size 0
		.amdhsa_uses_dynamic_stack 0
		.amdhsa_system_sgpr_private_segment_wavefront_offset 0
		.amdhsa_system_sgpr_workgroup_id_x 1
		.amdhsa_system_sgpr_workgroup_id_y 1
		.amdhsa_system_sgpr_workgroup_id_z 1
		.amdhsa_system_sgpr_workgroup_info 0
		.amdhsa_system_vgpr_workitem_id 2
		.amdhsa_next_free_vgpr 105
		.amdhsa_next_free_sgpr 96
		.amdhsa_accum_offset 108
		.amdhsa_reserve_vcc 1
		.amdhsa_reserve_flat_scratch 0
		.amdhsa_float_round_mode_32 0
		.amdhsa_float_round_mode_16_64 0
		.amdhsa_float_denorm_mode_32 3
		.amdhsa_float_denorm_mode_16_64 3
		.amdhsa_dx10_clamp 1
		.amdhsa_ieee_mode 1
		.amdhsa_fp16_overflow 0
		.amdhsa_tg_split 0
		.amdhsa_exception_fp_ieee_invalid_op 0
		.amdhsa_exception_fp_denorm_src 0
		.amdhsa_exception_fp_ieee_div_zero 0
		.amdhsa_exception_fp_ieee_overflow 0
		.amdhsa_exception_fp_ieee_underflow 0
		.amdhsa_exception_fp_ieee_inexact 0
		.amdhsa_exception_int_div_zero 0
	.end_amdhsa_kernel
	.section	.text._ZL9mul_mat_fI7__half2Li64ELi13ELi5ELb1EEvPKT_PKfPKiPfiiiiiiiiiiiiiiii,"axG",@progbits,_ZL9mul_mat_fI7__half2Li64ELi13ELi5ELb1EEvPKT_PKfPKiPfiiiiiiiiiiiiiiii,comdat
.Lfunc_end112:
	.size	_ZL9mul_mat_fI7__half2Li64ELi13ELi5ELb1EEvPKT_PKfPKiPfiiiiiiiiiiiiiiii, .Lfunc_end112-_ZL9mul_mat_fI7__half2Li64ELi13ELi5ELb1EEvPKT_PKfPKiPfiiiiiiiiiiiiiiii
                                        ; -- End function
	.section	.AMDGPU.csdata,"",@progbits
; Kernel info:
; codeLenInByte = 8816
; NumSgprs: 100
; NumVgprs: 105
; NumAgprs: 0
; TotalNumVgprs: 105
; ScratchSize: 0
; MemoryBound: 0
; FloatMode: 240
; IeeeMode: 1
; LDSByteSize: 256 bytes/workgroup (compile time only)
; SGPRBlocks: 12
; VGPRBlocks: 13
; NumSGPRsForWavesPerEU: 100
; NumVGPRsForWavesPerEU: 105
; AccumOffset: 108
; Occupancy: 4
; WaveLimiterHint : 0
; COMPUTE_PGM_RSRC2:SCRATCH_EN: 0
; COMPUTE_PGM_RSRC2:USER_SGPR: 6
; COMPUTE_PGM_RSRC2:TRAP_HANDLER: 0
; COMPUTE_PGM_RSRC2:TGID_X_EN: 1
; COMPUTE_PGM_RSRC2:TGID_Y_EN: 1
; COMPUTE_PGM_RSRC2:TGID_Z_EN: 1
; COMPUTE_PGM_RSRC2:TIDIG_COMP_CNT: 2
; COMPUTE_PGM_RSRC3_GFX90A:ACCUM_OFFSET: 26
; COMPUTE_PGM_RSRC3_GFX90A:TG_SPLIT: 0
	.section	.text._ZL9mul_mat_fI7__half2Li64ELi13ELi5ELb0EEvPKT_PKfPKiPfiiiiiiiiiiiiiiii,"axG",@progbits,_ZL9mul_mat_fI7__half2Li64ELi13ELi5ELb0EEvPKT_PKfPKiPfiiiiiiiiiiiiiiii,comdat
	.globl	_ZL9mul_mat_fI7__half2Li64ELi13ELi5ELb0EEvPKT_PKfPKiPfiiiiiiiiiiiiiiii ; -- Begin function _ZL9mul_mat_fI7__half2Li64ELi13ELi5ELb0EEvPKT_PKfPKiPfiiiiiiiiiiiiiiii
	.p2align	8
	.type	_ZL9mul_mat_fI7__half2Li64ELi13ELi5ELb0EEvPKT_PKfPKiPfiiiiiiiiiiiiiiii,@function
_ZL9mul_mat_fI7__half2Li64ELi13ELi5ELb0EEvPKT_PKfPKiPfiiiiiiiiiiiiiiii: ; @_ZL9mul_mat_fI7__half2Li64ELi13ELi5ELb0EEvPKT_PKfPKiPfiiiiiiiiiiiiiiii
; %bb.0:
	s_load_dwordx8 s[12:19], s[4:5], 0x40
	s_load_dword s9, s[4:5], 0x20
	s_load_dwordx4 s[0:3], s[4:5], 0x2c
	v_bfe_u32 v86, v0, 10, 10
	v_lshlrev_b32_e32 v88, 6, v86
	v_and_b32_e32 v87, 0x3ff, v0
	s_waitcnt lgkmcnt(0)
	s_abs_i32 s27, s12
	s_abs_i32 s26, s16
	v_cvt_f32_u32_e32 v1, s27
	v_cvt_f32_u32_e32 v2, s26
	v_add_u32_e32 v90, v88, v87
	s_mov_b32 s22, 0
	v_rcp_iflag_f32_e32 v1, v1
	v_rcp_iflag_f32_e32 v2, v2
	s_ashr_i32 s28, s8, 31
	v_cmp_le_i32_e32 vcc, s9, v90
	v_mul_f32_e32 v1, 0x4f7ffffe, v1
	v_mul_f32_e32 v2, 0x4f7ffffe, v2
	v_cvt_u32_f32_e32 v1, v1
	v_cvt_u32_f32_e32 v2, v2
	v_and_b32_e32 v89, 15, v87
	v_readfirstlane_b32 s21, v1
	v_readfirstlane_b32 s20, v2
	s_and_saveexec_b64 s[10:11], vcc
	s_xor_b64 s[10:11], exec, s[10:11]
; %bb.1:
	v_and_b32_e32 v89, 15, v87
                                        ; implicit-def: $vgpr90
; %bb.2:
	s_or_saveexec_b64 s[24:25], s[10:11]
	s_load_dwordx2 s[10:11], s[4:5], 0x18
	s_lshl_b32 s3, s6, 6
	v_mov_b32_e32 v15, s22
	v_mov_b32_e32 v14, s22
	;; [unrolled: 1-line block ×16, first 2 shown]
	s_xor_b64 exec, exec, s[24:25]
	s_cbranch_execz .LBB113_6
; %bb.3:
	s_sub_i32 s6, 0, s27
	s_sub_i32 s22, 0, s26
	s_mul_i32 s6, s6, s21
	s_mul_i32 s22, s22, s20
	s_mul_hi_u32 s6, s21, s6
	s_mul_hi_u32 s22, s20, s22
	s_abs_i32 s29, s7
	s_add_i32 s6, s21, s6
	s_add_i32 s31, s20, s22
	s_load_dwordx4 s[20:23], s[4:5], 0x0
	s_mul_hi_u32 s4, s29, s6
	s_ashr_i32 s6, s7, 31
	s_ashr_i32 s12, s12, 31
	s_xor_b32 s6, s6, s12
	s_mul_i32 s12, s4, s27
	s_abs_i32 s30, s8
	s_sub_i32 s12, s29, s12
	s_mul_hi_u32 s5, s30, s31
	s_ashr_i32 s16, s16, 31
	s_add_i32 s29, s4, 1
	s_sub_i32 s31, s12, s27
	s_cmp_ge_u32 s12, s27
	s_cselect_b32 s4, s29, s4
	s_cselect_b32 s12, s31, s12
	s_add_i32 s29, s4, 1
	s_cmp_ge_u32 s12, s27
	s_cselect_b32 s4, s29, s4
	s_mul_i32 s12, s5, s26
	s_xor_b32 s4, s4, s6
	s_sub_i32 s12, s30, s12
	s_sub_i32 s6, s4, s6
	s_xor_b32 s4, s28, s16
	s_add_i32 s16, s5, 1
	s_sub_i32 s27, s12, s26
	s_cmp_ge_u32 s12, s26
	s_cselect_b32 s5, s16, s5
	s_cselect_b32 s12, s27, s12
	s_add_i32 s16, s5, 1
	s_cmp_ge_u32 s12, s26
	s_cselect_b32 s5, s16, s5
	s_xor_b32 s5, s5, s4
	s_sub_i32 s4, s5, s4
	s_mul_hi_i32 s5, s4, s17
	s_mul_i32 s4, s4, s17
	s_mul_i32 s12, s6, s13
	s_ashr_i32 s13, s12, 31
	s_lshl_b64 s[26:27], s[4:5], 2
	s_mul_i32 s16, s3, s0
	s_waitcnt lgkmcnt(0)
	s_add_u32 s6, s20, s26
	s_addc_u32 s29, s21, s27
	s_ashr_i32 s17, s16, 31
	s_lshl_b64 s[16:17], s[16:17], 2
	s_lshl_b64 s[12:13], s[12:13], 2
	s_mul_hi_i32 s5, s18, s8
	s_mul_i32 s4, s18, s8
	s_add_u32 s18, s12, s16
	s_addc_u32 s30, s13, s17
	s_mul_i32 s28, s7, s14
	s_add_u32 s6, s18, s6
	s_addc_u32 s73, s30, s29
	s_ashr_i32 s29, s28, 31
	s_lshl_b64 s[16:17], s[4:5], 2
	s_lshl_b64 s[4:5], s[28:29], 2
	s_add_u32 s22, s22, s4
	s_addc_u32 s23, s23, s5
	s_add_u32 s14, s22, s16
	s_movk_i32 s4, 0x1080
	s_addc_u32 s74, s23, s17
	v_mad_u32_u24 v0, v86, s4, 0
	s_ashr_i32 s5, s0, 31
	s_mov_b32 s4, s0
	v_lshrrev_b32_e32 v3, 1, v87
	s_ashr_i32 s13, s1, 31
	s_lshl_b64 s[4:5], s[4:5], 2
	v_lshlrev_b32_e32 v1, 2, v87
	v_mul_u32_u24_e32 v2, 0x108, v89
	v_and_b32_e32 v3, 0x1f8, v3
	s_add_u32 s18, s18, s26
	v_add_u32_e32 v91, v0, v1
	v_add3_u32 v92, v0, v2, v3
	v_lshlrev_b32_e32 v0, 8, v86
	s_addc_u32 s26, s30, s27
	v_mov_b32_e32 v2, s26
	v_add_co_u32_e32 v0, vcc, s18, v0
	v_addc_co_u32_e32 v2, vcc, 0, v2, vcc
	v_add_co_u32_e32 v0, vcc, v0, v1
	v_addc_co_u32_e32 v1, vcc, 0, v2, vcc
	v_mov_b32_e32 v2, s21
	v_add_co_u32_e32 v16, vcc, s20, v0
	v_addc_co_u32_e32 v17, vcc, v2, v1, vcc
	v_lshlrev_b32_e32 v0, 9, v86
	v_mov_b32_e32 v1, s17
	v_add_co_u32_e32 v0, vcc, s16, v0
	v_addc_co_u32_e32 v1, vcc, 0, v1, vcc
	v_lshlrev_b32_e32 v2, 3, v87
	v_add_co_u32_e32 v0, vcc, v0, v2
	s_mov_b32 s12, s1
	v_addc_co_u32_e32 v1, vcc, 0, v1, vcc
	s_lshl_b64 s[12:13], s[12:13], 3
	v_mov_b32_e32 v2, s23
	v_add_co_u32_e32 v18, vcc, s22, v0
	v_mov_b32_e32 v95, 0
	v_addc_co_u32_e32 v19, vcc, v2, v1, vcc
	s_mul_i32 s16, s0, 63
	s_lshl_b32 s17, s1, 1
	s_mul_i32 s18, s1, 3
	s_lshl_b32 s20, s1, 2
	s_mul_i32 s21, s1, 5
	s_mul_i32 s22, s1, 6
	;; [unrolled: 1-line block ×3, first 2 shown]
	s_lshl_b32 s26, s1, 3
	s_mul_i32 s27, s1, 9
	s_mul_i32 s28, s1, 10
	;; [unrolled: 1-line block ×4, first 2 shown]
	s_lshl_b32 s31, s0, 1
	s_mul_i32 s33, s0, 3
	s_lshl_b32 s34, s0, 2
	s_mul_i32 s35, s0, 5
	s_mul_i32 s36, s0, 6
	s_mul_i32 s37, s0, 7
	s_lshl_b32 s38, s0, 3
	s_mul_i32 s39, s0, 9
	s_mul_i32 s40, s0, 10
	;; [unrolled: 1-line block ×7, first 2 shown]
	s_lshl_b32 s46, s0, 4
	s_mul_i32 s47, s0, 17
	s_mul_i32 s48, s0, 18
	;; [unrolled: 1-line block ×15, first 2 shown]
	s_lshl_b32 s62, s0, 5
	s_mul_i32 s63, s0, 33
	s_mul_i32 s64, s0, 34
	;; [unrolled: 1-line block ×10, first 2 shown]
	v_mov_b32_e32 v93, s73
	s_mul_i32 s73, s0, 43
	v_mov_b32_e32 v94, s74
	s_mul_i32 s74, s0, 44
	v_mov_b32_e32 v96, s5
	v_mov_b32_e32 v97, s13
	;; [unrolled: 1-line block ×18, first 2 shown]
	s_mul_i32 s5, s0, 45
	s_mul_i32 s13, s0, 46
	;; [unrolled: 1-line block ×18, first 2 shown]
	s_mov_b64 s[0:1], 0
.LBB113_4:                              ; =>This Inner Loop Header: Depth=1
	global_load_dword v20, v[16:17], off
	v_add_u32_e32 v36, s46, v90
	v_ashrrev_i32_e32 v37, 31, v36
	v_lshlrev_b64 v[36:37], 2, v[36:37]
	v_add_u32_e32 v52, s62, v90
	v_ashrrev_i32_e32 v53, 31, v52
	v_lshlrev_b64 v[52:53], 2, v[52:53]
	;; [unrolled: 3-line block ×3, first 2 shown]
	s_waitcnt vmcnt(0)
	ds_write_b32 v91, v20
	v_add_co_u32_e32 v20, vcc, s4, v16
	v_addc_co_u32_e32 v21, vcc, v17, v96, vcc
	global_load_dword v20, v[20:21], off
	s_waitcnt vmcnt(0)
	ds_write_b32 v91, v20 offset:264
	v_add_u32_e32 v20, s31, v90
	v_ashrrev_i32_e32 v21, 31, v20
	v_lshlrev_b64 v[20:21], 2, v[20:21]
	v_add_co_u32_e32 v20, vcc, s6, v20
	v_addc_co_u32_e32 v21, vcc, v93, v21, vcc
	global_load_dword v20, v[20:21], off
	s_waitcnt vmcnt(0)
	ds_write_b32 v91, v20 offset:528
	v_add_u32_e32 v20, s33, v90
	v_ashrrev_i32_e32 v21, 31, v20
	v_lshlrev_b64 v[20:21], 2, v[20:21]
	;; [unrolled: 8-line block ×14, first 2 shown]
	v_add_co_u32_e32 v20, vcc, s6, v20
	v_addc_co_u32_e32 v21, vcc, v93, v21, vcc
	global_load_dword v20, v[20:21], off
	v_add_co_u32_e32 v36, vcc, s6, v36
	v_addc_co_u32_e32 v37, vcc, v93, v37, vcc
	s_waitcnt vmcnt(0)
	ds_write_b32 v91, v20 offset:3960
	ds_read_b64 v[34:35], v92
	ds_read_b64 v[32:33], v92 offset:32
	ds_read_b64 v[30:31], v92 offset:64
	;; [unrolled: 1-line block ×7, first 2 shown]
	global_load_dword v36, v[36:37], off
	s_waitcnt vmcnt(0)
	ds_write_b32 v91, v36
	v_add_u32_e32 v36, s47, v90
	v_ashrrev_i32_e32 v37, 31, v36
	v_lshlrev_b64 v[36:37], 2, v[36:37]
	v_add_co_u32_e32 v36, vcc, s6, v36
	v_addc_co_u32_e32 v37, vcc, v93, v37, vcc
	global_load_dword v36, v[36:37], off
	s_waitcnt vmcnt(0)
	ds_write_b32 v91, v36 offset:264
	v_add_u32_e32 v36, s48, v90
	v_ashrrev_i32_e32 v37, 31, v36
	v_lshlrev_b64 v[36:37], 2, v[36:37]
	v_add_co_u32_e32 v36, vcc, s6, v36
	v_addc_co_u32_e32 v37, vcc, v93, v37, vcc
	global_load_dword v36, v[36:37], off
	s_waitcnt vmcnt(0)
	ds_write_b32 v91, v36 offset:528
	;; [unrolled: 8-line block ×14, first 2 shown]
	v_add_u32_e32 v36, s61, v90
	v_ashrrev_i32_e32 v37, 31, v36
	v_lshlrev_b64 v[36:37], 2, v[36:37]
	v_add_co_u32_e32 v36, vcc, s6, v36
	v_addc_co_u32_e32 v37, vcc, v93, v37, vcc
	global_load_dword v36, v[36:37], off
	v_add_co_u32_e32 v52, vcc, s6, v52
	v_addc_co_u32_e32 v53, vcc, v93, v53, vcc
	s_waitcnt vmcnt(0)
	ds_write_b32 v91, v36 offset:3960
	ds_read_b64 v[50:51], v92
	ds_read_b64 v[48:49], v92 offset:32
	ds_read_b64 v[46:47], v92 offset:64
	;; [unrolled: 1-line block ×7, first 2 shown]
	global_load_dword v52, v[52:53], off
	s_waitcnt vmcnt(0)
	ds_write_b32 v91, v52
	v_add_u32_e32 v52, s63, v90
	v_ashrrev_i32_e32 v53, 31, v52
	v_lshlrev_b64 v[52:53], 2, v[52:53]
	v_add_co_u32_e32 v52, vcc, s6, v52
	v_addc_co_u32_e32 v53, vcc, v93, v53, vcc
	global_load_dword v52, v[52:53], off
	s_waitcnt vmcnt(0)
	ds_write_b32 v91, v52 offset:264
	v_add_u32_e32 v52, s64, v90
	v_ashrrev_i32_e32 v53, 31, v52
	v_lshlrev_b64 v[52:53], 2, v[52:53]
	v_add_co_u32_e32 v52, vcc, s6, v52
	v_addc_co_u32_e32 v53, vcc, v93, v53, vcc
	global_load_dword v52, v[52:53], off
	s_waitcnt vmcnt(0)
	ds_write_b32 v91, v52 offset:528
	;; [unrolled: 8-line block ×14, first 2 shown]
	v_add_u32_e32 v52, s75, v90
	v_ashrrev_i32_e32 v53, 31, v52
	v_lshlrev_b64 v[52:53], 2, v[52:53]
	v_add_co_u32_e32 v52, vcc, s6, v52
	v_addc_co_u32_e32 v53, vcc, v93, v53, vcc
	global_load_dword v52, v[52:53], off
	v_add_co_u32_e32 v68, vcc, s6, v68
	v_addc_co_u32_e32 v69, vcc, v93, v69, vcc
	s_waitcnt vmcnt(0)
	ds_write_b32 v91, v52 offset:3960
	ds_read_b64 v[66:67], v92
	ds_read_b64 v[64:65], v92 offset:32
	ds_read_b64 v[62:63], v92 offset:64
	;; [unrolled: 1-line block ×7, first 2 shown]
	global_load_dword v68, v[68:69], off
	s_waitcnt vmcnt(0)
	ds_write_b32 v91, v68
	v_add_u32_e32 v68, s77, v90
	v_ashrrev_i32_e32 v69, 31, v68
	v_lshlrev_b64 v[68:69], 2, v[68:69]
	v_add_co_u32_e32 v68, vcc, s6, v68
	v_addc_co_u32_e32 v69, vcc, v93, v69, vcc
	global_load_dword v68, v[68:69], off
	s_waitcnt vmcnt(0)
	ds_write_b32 v91, v68 offset:264
	v_add_u32_e32 v68, s78, v90
	v_ashrrev_i32_e32 v69, 31, v68
	v_lshlrev_b64 v[68:69], 2, v[68:69]
	v_add_co_u32_e32 v68, vcc, s6, v68
	v_addc_co_u32_e32 v69, vcc, v93, v69, vcc
	global_load_dword v68, v[68:69], off
	s_waitcnt vmcnt(0)
	ds_write_b32 v91, v68 offset:528
	;; [unrolled: 8-line block ×15, first 2 shown]
	ds_read_b64 v[82:83], v92
	ds_read_b64 v[80:81], v92 offset:32
	ds_read_b64 v[78:79], v92 offset:64
	;; [unrolled: 1-line block ×7, first 2 shown]
	global_load_dwordx2 v[84:85], v[18:19], off
	s_waitcnt vmcnt(0)
	v_cvt_f16_f32_e32 v84, v84
	v_cvt_f16_f32_e32 v85, v85
	v_pack_b32_f16 v84, v84, v85
	ds_write_b32 v91, v84
	v_add_co_u32_e32 v84, vcc, s12, v18
	v_addc_co_u32_e32 v85, vcc, v19, v97, vcc
	global_load_dwordx2 v[84:85], v[84:85], off
	s_waitcnt vmcnt(0)
	v_cvt_f16_f32_e32 v84, v84
	v_cvt_f16_f32_e32 v85, v85
	v_pack_b32_f16 v84, v84, v85
	ds_write_b32 v91, v84 offset:264
	v_add_u32_e32 v84, s17, v90
	v_ashrrev_i32_e32 v85, 31, v84
	v_lshlrev_b64 v[84:85], 3, v[84:85]
	v_add_co_u32_e32 v84, vcc, s14, v84
	v_addc_co_u32_e32 v85, vcc, v94, v85, vcc
	global_load_dwordx2 v[84:85], v[84:85], off
	s_waitcnt vmcnt(0)
	v_cvt_f16_f32_e32 v84, v84
	v_cvt_f16_f32_e32 v85, v85
	v_pack_b32_f16 v84, v84, v85
	ds_write_b32 v91, v84 offset:528
	v_add_u32_e32 v84, s18, v90
	v_ashrrev_i32_e32 v85, 31, v84
	v_lshlrev_b64 v[84:85], 3, v[84:85]
	;; [unrolled: 11-line block ×11, first 2 shown]
	v_add_co_u32_e32 v84, vcc, s14, v84
	v_addc_co_u32_e32 v85, vcc, v94, v85, vcc
	global_load_dwordx2 v[84:85], v[84:85], off
	v_add_co_u32_e32 v16, vcc, 0x500, v16
	v_addc_co_u32_e32 v17, vcc, 0, v17, vcc
	v_add_co_u32_e32 v18, vcc, 0xa00, v18
	v_add_u32_e32 v90, 0x140, v90
	v_addc_co_u32_e32 v19, vcc, 0, v19, vcc
	v_cmp_le_i32_e32 vcc, s9, v90
	s_or_b64 s[0:1], vcc, s[0:1]
	s_waitcnt vmcnt(0)
	v_cvt_f16_f32_e32 v84, v84
	v_cvt_f16_f32_e32 v85, v85
	v_pack_b32_f16 v84, v84, v85
	ds_write_b32 v91, v84 offset:3168
	ds_write_b32 v91, v95 offset:3432
	;; [unrolled: 1-line block ×4, first 2 shown]
	ds_read_b64 v[84:85], v92
	ds_read_b64 v[98:99], v92 offset:32
	s_waitcnt lgkmcnt(1)
	v_mfma_f32_16x16x16f16 v[12:15], v[34:35], v[84:85], v[12:15]
	v_mfma_f32_16x16x16f16 v[8:11], v[50:51], v[84:85], v[8:11]
	;; [unrolled: 1-line block ×4, first 2 shown]
	s_waitcnt lgkmcnt(0)
	v_mfma_f32_16x16x16f16 v[12:15], v[32:33], v[98:99], v[12:15]
	ds_read_b64 v[32:33], v92 offset:64
	v_mfma_f32_16x16x16f16 v[8:11], v[48:49], v[98:99], v[8:11]
	v_mfma_f32_16x16x16f16 v[4:7], v[64:65], v[98:99], v[4:7]
	v_mfma_f32_16x16x16f16 v[0:3], v[80:81], v[98:99], v[0:3]
	s_waitcnt lgkmcnt(0)
	v_mfma_f32_16x16x16f16 v[12:15], v[30:31], v[32:33], v[12:15]
	ds_read_b64 v[30:31], v92 offset:96
	v_mfma_f32_16x16x16f16 v[8:11], v[46:47], v[32:33], v[8:11]
	v_mfma_f32_16x16x16f16 v[4:7], v[62:63], v[32:33], v[4:7]
	v_mfma_f32_16x16x16f16 v[0:3], v[78:79], v[32:33], v[0:3]
	;; [unrolled: 6-line block ×6, first 2 shown]
	s_waitcnt lgkmcnt(0)
	v_mfma_f32_16x16x16f16 v[12:15], v[20:21], v[22:23], v[12:15]
	v_mfma_f32_16x16x16f16 v[8:11], v[36:37], v[22:23], v[8:11]
	v_mfma_f32_16x16x16f16 v[4:7], v[52:53], v[22:23], v[4:7]
	v_mfma_f32_16x16x16f16 v[0:3], v[68:69], v[22:23], v[0:3]
	s_andn2_b64 exec, exec, s[0:1]
	s_cbranch_execnz .LBB113_4
; %bb.5:
	s_or_b64 exec, exec, s[0:1]
.LBB113_6:
	s_or_b64 exec, exec, s[24:25]
	v_mul_u32_u24_e32 v16, 0x508, v89
	v_lshlrev_b32_e32 v17, 2, v88
	v_add3_u32 v16, 0, v16, v17
	v_and_b32_e32 v17, 0x3f0, v87
	s_mul_hi_i32 s1, s19, s8
	s_mul_i32 s0, s19, s8
	v_add_u32_e32 v17, v16, v17
	s_lshl_b64 s[0:1], s[0:1], 2
	s_waitcnt lgkmcnt(0)
	s_barrier
	ds_write2_b32 v17, v12, v13 offset1:1
	ds_write_b32 v17, v14 offset:8
	v_or_b32_e32 v12, 12, v87
	s_mul_i32 s4, s7, s15
	s_add_u32 s6, s10, s0
	v_and_b32_e32 v12, 0x3fc, v12
	s_addc_u32 s7, s11, s1
	s_ashr_i32 s5, s4, 31
	v_add_u32_e32 v12, v16, v12
	s_lshl_b64 s[0:1], s[4:5], 2
	s_movk_i32 s4, 0x508
	ds_write_b32 v12, v15
	ds_write2_b32 v17, v8, v9 offset0:16 offset1:17
	ds_write_b32 v17, v10 offset:72
	ds_write_b32 v12, v11 offset:64
	ds_write2_b32 v17, v4, v5 offset0:32 offset1:33
	ds_write_b32 v17, v6 offset:136
	ds_write_b32 v12, v7 offset:128
	;; [unrolled: 3-line block ×3, first 2 shown]
	v_lshl_add_u32 v2, v87, 2, 0
	v_mad_u32_u24 v3, v86, s4, v2
	s_waitcnt lgkmcnt(0)
	s_barrier
	ds_read2st64_b32 v[0:1], v3 offset1:1
	ds_read2st64_b32 v[4:5], v3 offset0:2 offset1:3
	ds_read_b32 v6, v3 offset:1024
	ds_read_b32 v10, v3 offset:7464
	v_add_u32_e32 v3, 40, v3
	s_add_u32 s0, s6, s0
	s_addc_u32 s1, s7, s1
	s_waitcnt lgkmcnt(3)
	v_add_f32_e32 v0, 0, v0
	v_add_f32_e32 v0, v0, v1
	s_waitcnt lgkmcnt(2)
	v_add_f32_e32 v0, v0, v4
	v_add_f32_e32 v0, v0, v5
	s_waitcnt lgkmcnt(1)
	v_add_f32_e32 v11, v0, v6
	v_mul_lo_u32 v0, v86, s2
	ds_read2st64_b32 v[6:7], v3 offset0:25 offset1:26
	ds_read2st64_b32 v[8:9], v3 offset0:27 offset1:28
	v_add3_u32 v0, s3, v87, v0
	v_mov_b32_e32 v1, 0
	v_lshlrev_b64 v[4:5], 2, v[0:1]
	v_mov_b32_e32 v12, s1
	v_add_co_u32_e32 v4, vcc, s0, v4
	s_mul_i32 s2, s2, 5
	v_addc_co_u32_e32 v5, vcc, v12, v5, vcc
	s_waitcnt lgkmcnt(1)
	v_add_f32_e32 v3, 0, v6
	v_add_u32_e32 v0, s2, v0
	global_store_dword v[4:5], v11, off
	v_add_f32_e32 v3, v3, v7
	v_lshlrev_b64 v[4:5], 2, v[0:1]
	s_waitcnt lgkmcnt(0)
	v_add_f32_e32 v3, v3, v8
	v_mov_b32_e32 v6, s1
	v_add_co_u32_e32 v4, vcc, s0, v4
	v_add_f32_e32 v3, v3, v9
	v_addc_co_u32_e32 v5, vcc, v6, v5, vcc
	v_add_f32_e32 v3, v3, v10
	v_cmp_gt_u32_e32 vcc, 3, v86
	global_store_dword v[4:5], v3, off
	s_and_saveexec_b64 s[4:5], vcc
	s_cbranch_execz .LBB113_8
; %bb.7:
	v_mul_u32_u24_e32 v3, 0x508, v86
	v_add_u32_e32 v6, v2, v3
	v_add_u32_e32 v4, 0x50, v6
	ds_read2st64_b32 v[2:3], v4 offset0:50 offset1:51
	ds_read2st64_b32 v[4:5], v4 offset0:52 offset1:53
	ds_read_b32 v6, v6 offset:13904
	v_add_u32_e32 v0, s2, v0
	v_lshlrev_b64 v[0:1], 2, v[0:1]
	s_waitcnt lgkmcnt(2)
	v_add_f32_e32 v2, 0, v2
	v_add_f32_e32 v2, v2, v3
	s_waitcnt lgkmcnt(1)
	v_add_f32_e32 v2, v2, v4
	v_add_f32_e32 v2, v2, v5
	v_mov_b32_e32 v3, s1
	v_add_co_u32_e32 v0, vcc, s0, v0
	s_waitcnt lgkmcnt(0)
	v_add_f32_e32 v2, v2, v6
	v_addc_co_u32_e32 v1, vcc, v3, v1, vcc
	global_store_dword v[0:1], v2, off
.LBB113_8:
	s_endpgm
	.section	.rodata,"a",@progbits
	.p2align	6, 0x0
	.amdhsa_kernel _ZL9mul_mat_fI7__half2Li64ELi13ELi5ELb0EEvPKT_PKfPKiPfiiiiiiiiiiiiiiii
		.amdhsa_group_segment_fixed_size 0
		.amdhsa_private_segment_fixed_size 0
		.amdhsa_kernarg_size 96
		.amdhsa_user_sgpr_count 6
		.amdhsa_user_sgpr_private_segment_buffer 1
		.amdhsa_user_sgpr_dispatch_ptr 0
		.amdhsa_user_sgpr_queue_ptr 0
		.amdhsa_user_sgpr_kernarg_segment_ptr 1
		.amdhsa_user_sgpr_dispatch_id 0
		.amdhsa_user_sgpr_flat_scratch_init 0
		.amdhsa_user_sgpr_kernarg_preload_length 0
		.amdhsa_user_sgpr_kernarg_preload_offset 0
		.amdhsa_user_sgpr_private_segment_size 0
		.amdhsa_uses_dynamic_stack 0
		.amdhsa_system_sgpr_private_segment_wavefront_offset 0
		.amdhsa_system_sgpr_workgroup_id_x 1
		.amdhsa_system_sgpr_workgroup_id_y 1
		.amdhsa_system_sgpr_workgroup_id_z 1
		.amdhsa_system_sgpr_workgroup_info 0
		.amdhsa_system_vgpr_workitem_id 1
		.amdhsa_next_free_vgpr 100
		.amdhsa_next_free_sgpr 91
		.amdhsa_accum_offset 100
		.amdhsa_reserve_vcc 1
		.amdhsa_reserve_flat_scratch 0
		.amdhsa_float_round_mode_32 0
		.amdhsa_float_round_mode_16_64 0
		.amdhsa_float_denorm_mode_32 3
		.amdhsa_float_denorm_mode_16_64 3
		.amdhsa_dx10_clamp 1
		.amdhsa_ieee_mode 1
		.amdhsa_fp16_overflow 0
		.amdhsa_tg_split 0
		.amdhsa_exception_fp_ieee_invalid_op 0
		.amdhsa_exception_fp_denorm_src 0
		.amdhsa_exception_fp_ieee_div_zero 0
		.amdhsa_exception_fp_ieee_overflow 0
		.amdhsa_exception_fp_ieee_underflow 0
		.amdhsa_exception_fp_ieee_inexact 0
		.amdhsa_exception_int_div_zero 0
	.end_amdhsa_kernel
	.section	.text._ZL9mul_mat_fI7__half2Li64ELi13ELi5ELb0EEvPKT_PKfPKiPfiiiiiiiiiiiiiiii,"axG",@progbits,_ZL9mul_mat_fI7__half2Li64ELi13ELi5ELb0EEvPKT_PKfPKiPfiiiiiiiiiiiiiiii,comdat
.Lfunc_end113:
	.size	_ZL9mul_mat_fI7__half2Li64ELi13ELi5ELb0EEvPKT_PKfPKiPfiiiiiiiiiiiiiiii, .Lfunc_end113-_ZL9mul_mat_fI7__half2Li64ELi13ELi5ELb0EEvPKT_PKfPKiPfiiiiiiiiiiiiiiii
                                        ; -- End function
	.section	.AMDGPU.csdata,"",@progbits
; Kernel info:
; codeLenInByte = 5780
; NumSgprs: 95
; NumVgprs: 100
; NumAgprs: 0
; TotalNumVgprs: 100
; ScratchSize: 0
; MemoryBound: 0
; FloatMode: 240
; IeeeMode: 1
; LDSByteSize: 0 bytes/workgroup (compile time only)
; SGPRBlocks: 11
; VGPRBlocks: 12
; NumSGPRsForWavesPerEU: 95
; NumVGPRsForWavesPerEU: 100
; AccumOffset: 100
; Occupancy: 4
; WaveLimiterHint : 0
; COMPUTE_PGM_RSRC2:SCRATCH_EN: 0
; COMPUTE_PGM_RSRC2:USER_SGPR: 6
; COMPUTE_PGM_RSRC2:TRAP_HANDLER: 0
; COMPUTE_PGM_RSRC2:TGID_X_EN: 1
; COMPUTE_PGM_RSRC2:TGID_Y_EN: 1
; COMPUTE_PGM_RSRC2:TGID_Z_EN: 1
; COMPUTE_PGM_RSRC2:TIDIG_COMP_CNT: 1
; COMPUTE_PGM_RSRC3_GFX90A:ACCUM_OFFSET: 24
; COMPUTE_PGM_RSRC3_GFX90A:TG_SPLIT: 0
	.section	.text._ZL13mul_mat_f_idsI7__half2Li64ELi13ELi6EEvPKT_PKfPKiS7_S7_Pfiiiiiiiiiiiiii15HIP_vector_typeIjLj3EESA_,"axG",@progbits,_ZL13mul_mat_f_idsI7__half2Li64ELi13ELi6EEvPKT_PKfPKiS7_S7_Pfiiiiiiiiiiiiii15HIP_vector_typeIjLj3EESA_,comdat
	.globl	_ZL13mul_mat_f_idsI7__half2Li64ELi13ELi6EEvPKT_PKfPKiS7_S7_Pfiiiiiiiiiiiiii15HIP_vector_typeIjLj3EESA_ ; -- Begin function _ZL13mul_mat_f_idsI7__half2Li64ELi13ELi6EEvPKT_PKfPKiS7_S7_Pfiiiiiiiiiiiiii15HIP_vector_typeIjLj3EESA_
	.p2align	8
	.type	_ZL13mul_mat_f_idsI7__half2Li64ELi13ELi6EEvPKT_PKfPKiS7_S7_Pfiiiiiiiiiiiiii15HIP_vector_typeIjLj3EESA_,@function
_ZL13mul_mat_f_idsI7__half2Li64ELi13ELi6EEvPKT_PKfPKiS7_S7_Pfiiiiiiiiiiiiii15HIP_vector_typeIjLj3EESA_: ; @_ZL13mul_mat_f_idsI7__half2Li64ELi13ELi6EEvPKT_PKfPKiS7_S7_Pfiiiiiiiiiiiiii15HIP_vector_typeIjLj3EESA_
; %bb.0:
	s_load_dwordx2 s[0:1], s[4:5], 0x20
	s_mov_b32 s34, s7
	s_ashr_i32 s35, s7, 31
	s_lshl_b64 s[2:3], s[34:35], 2
	s_waitcnt lgkmcnt(0)
	s_add_u32 s0, s0, s2
	s_addc_u32 s1, s1, s3
	s_load_dwordx2 s[26:27], s[0:1], 0x0
	s_waitcnt lgkmcnt(0)
	s_sub_i32 s33, s27, s26
	s_add_i32 s0, s33, 12
	s_mul_hi_i32 s0, s0, 0x4ec4ec4f
	s_lshr_b32 s1, s0, 31
	s_ashr_i32 s0, s0, 2
	s_add_i32 s0, s0, s1
	s_cmp_ge_i32 s8, s0
	s_cbranch_scc1 .LBB114_56
; %bb.1:
	v_bfe_u32 v108, v0, 10, 10
	v_lshlrev_b32_e32 v110, 6, v108
	v_and_b32_e32 v109, 0x3ff, v0
	s_load_dwordx4 s[12:15], s[4:5], 0x30
	s_load_dwordx2 s[20:21], s[4:5], 0x40
	s_load_dwordx4 s[0:3], s[4:5], 0x4c
	s_load_dwordx4 s[16:19], s[4:5], 0x68
	s_load_dwordx2 s[24:25], s[4:5], 0x78
	v_add_u32_e32 v112, v110, v109
	s_ashr_i32 s27, s26, 31
	s_waitcnt lgkmcnt(0)
	v_cmp_le_i32_e32 vcc, s12, v112
	v_and_b32_e32 v111, 15, v109
                                        ; implicit-def: $sgpr3
	s_and_saveexec_b64 s[10:11], vcc
	s_xor_b64 s[10:11], exec, s[10:11]
; %bb.2:
	v_and_b32_e32 v111, 15, v109
	s_mov_b32 s3, 0
                                        ; implicit-def: $vgpr112
; %bb.3:
	s_or_saveexec_b64 s[22:23], s[10:11]
	s_load_dwordx2 s[10:11], s[4:5], 0x18
                                        ; implicit-def: $vgpr119 : SGPR spill to VGPR lane
	s_lshl_b32 s7, s6, 6
	s_mul_i32 s6, s8, 13
	v_mov_b32_e32 v15, s3
	v_mov_b32_e32 v14, s3
	s_waitcnt lgkmcnt(0)
	v_writelane_b32 v119, s10, 0
	v_writelane_b32 v119, s11, 1
	s_load_dwordx2 s[10:11], s[4:5], 0x28
	v_mov_b32_e32 v13, s3
	v_mov_b32_e32 v12, s3
	v_mov_b32_e32 v3, s3
	v_mov_b32_e32 v2, s3
	s_waitcnt lgkmcnt(0)
	v_writelane_b32 v119, s10, 2
	v_writelane_b32 v119, s11, 3
	v_mov_b32_e32 v1, s3
	v_mov_b32_e32 v0, s3
	;; [unrolled: 1-line block ×10, first 2 shown]
	v_writelane_b32 v119, s22, 4
	v_writelane_b32 v119, s23, 5
	s_xor_b64 exec, exec, s[22:23]
	s_cbranch_execz .LBB114_46
; %bb.4:
	v_writelane_b32 v119, s24, 6
	v_writelane_b32 v119, s25, 7
	s_load_dwordx4 s[8:11], s[4:5], 0x0
	s_load_dwordx2 s[22:23], s[4:5], 0x10
	s_mul_i32 s4, s34, s0
	s_mul_i32 s24, s7, s15
	s_ashr_i32 s5, s4, 31
	s_ashr_i32 s25, s24, 31
	s_lshl_b64 s[24:25], s[24:25], 2
	s_lshl_b64 s[4:5], s[4:5], 2
	s_add_u32 s3, s4, s24
	s_addc_u32 s24, s5, s25
	v_writelane_b32 v119, s7, 8
	s_waitcnt lgkmcnt(0)
	s_add_u32 s0, s3, s8
	s_addc_u32 s25, s24, s9
	v_writelane_b32 v119, s26, 9
	s_lshl_b64 s[4:5], s[26:27], 2
	v_writelane_b32 v119, s27, 10
	s_add_u32 s26, s22, s4
	s_addc_u32 s27, s23, s5
	s_movk_i32 s4, 0x1080
	s_cmp_lt_i32 s6, s33
	v_mad_u32_u24 v0, v108, s4, 0
	s_cselect_b64 s[4:5], -1, 0
	s_ashr_i32 s7, s6, 31
	s_lshl_b64 s[22:23], s[6:7], 2
	s_add_u32 s34, s26, s22
	s_addc_u32 s35, s27, s23
	s_add_i32 s7, s6, 1
	s_cmp_lt_i32 s7, s33
	s_cselect_b64 s[36:37], -1, 0
	s_add_i32 s7, s6, 2
	s_cmp_lt_i32 s7, s33
	s_cselect_b64 s[38:39], -1, 0
	;; [unrolled: 3-line block ×3, first 2 shown]
	s_add_i32 s7, s6, 4
	s_cmp_lt_i32 s7, s33
	v_lshrrev_b32_e32 v3, 1, v109
	s_cselect_b64 s[42:43], -1, 0
	s_add_i32 s7, s6, 5
	v_lshlrev_b32_e32 v1, 2, v109
	v_mul_u32_u24_e32 v2, 0x108, v111
	v_and_b32_e32 v3, 0x1f8, v3
	s_cmp_lt_i32 s7, s33
	v_add_u32_e32 v113, v0, v1
	v_add3_u32 v114, v0, v2, v3
	s_cselect_b64 s[44:45], -1, 0
	s_add_i32 s7, s6, 6
	v_lshlrev_b32_e32 v0, 8, v108
	s_cmp_lt_i32 s7, s33
	v_add_co_u32_e32 v0, vcc, s3, v0
	s_mul_i32 s3, s15, 3
	s_cselect_b64 s[46:47], -1, 0
	s_add_i32 s7, s6, 7
	v_writelane_b32 v119, s3, 11
	s_mul_i32 s3, s15, 5
	s_cmp_lt_i32 s7, s33
	v_writelane_b32 v119, s3, 12
	s_mul_i32 s3, s15, 6
	s_cselect_b64 s[48:49], -1, 0
	s_add_i32 s7, s6, 8
	v_writelane_b32 v119, s3, 13
	s_mul_i32 s3, s15, 7
	s_cmp_lt_i32 s7, s33
	v_writelane_b32 v119, s3, 14
	;; [unrolled: 7-line block ×4, first 2 shown]
	s_mul_i32 s3, s15, 13
	s_cselect_b64 s[54:55], -1, 0
	s_add_i32 s7, s6, 11
	v_writelane_b32 v119, s3, 19
	s_mul_i32 s3, s15, 14
	s_cmp_lt_i32 s7, s33
	v_mov_b32_e32 v2, s24
	v_writelane_b32 v119, s3, 20
	s_mul_i32 s3, s15, 15
	s_cselect_b64 s[56:57], -1, 0
	s_add_i32 s7, s6, 12
	v_addc_co_u32_e32 v2, vcc, 0, v2, vcc
	v_writelane_b32 v119, s3, 21
	s_mul_i32 s3, s15, 17
	s_cmp_lt_i32 s7, s33
	v_add_co_u32_e32 v0, vcc, v0, v1
	v_writelane_b32 v119, s3, 22
	s_mul_i32 s3, s15, 18
	s_cselect_b64 s[58:59], -1, 0
	s_ashr_i32 s23, s15, 31
	s_mov_b32 s22, s15
	v_addc_co_u32_e32 v1, vcc, 0, v2, vcc
	v_writelane_b32 v119, s3, 23
	s_mul_i32 s3, s15, 19
	s_lshl_b64 s[60:61], s[22:23], 2
	v_mov_b32_e32 v2, s9
	v_add_co_u32_e32 v16, vcc, s8, v0
	v_writelane_b32 v119, s3, 24
	s_mul_i32 s3, s15, 20
	v_mov_b32_e32 v116, 0
	v_addc_co_u32_e32 v17, vcc, v2, v1, vcc
	s_lshl_b32 s7, s15, 1
	s_lshl_b32 s63, s15, 2
	;; [unrolled: 1-line block ×4, first 2 shown]
	v_writelane_b32 v119, s3, 25
	s_mul_i32 s80, s15, 21
	s_mul_i32 s81, s15, 22
	;; [unrolled: 1-line block ×9, first 2 shown]
	v_mov_b32_e32 v115, s25
	s_mul_i32 s89, s15, 30
	v_mov_b32_e32 v117, s61
	v_mov_b32_e32 v8, 0
	;; [unrolled: 1-line block ×17, first 2 shown]
	s_mul_i32 s61, s15, 31
	s_lshl_b32 s90, s15, 5
	s_mul_i32 s91, s15, 33
	s_mul_i32 s92, s15, 34
	;; [unrolled: 1-line block ×31, first 2 shown]
	s_mov_b64 s[8:9], 0
	s_branch .LBB114_6
.LBB114_5:                              ;   in Loop: Header=BB114_6 Depth=1
	s_waitcnt vmcnt(0)
	v_cvt_f16_f32_e32 v82, v82
	v_cvt_f16_f32_e32 v83, v83
	;; [unrolled: 1-line block ×4, first 2 shown]
	v_add_co_u32_e32 v16, vcc, 0x600, v16
	v_pack_b32_f16 v82, v82, v83
	v_cvt_f16_f32_e32 v83, v84
	v_cvt_f16_f32_e32 v84, v85
	;; [unrolled: 1-line block ×4, first 2 shown]
	v_pack_b32_f16 v86, v86, v87
	ds_write2_b32 v113, v82, v86 offset1:66
	v_pack_b32_f16 v82, v83, v84
	v_pack_b32_f16 v83, v85, v90
	v_cvt_f16_f32_e32 v84, v88
	v_cvt_f16_f32_e32 v85, v89
	ds_write2_b32 v113, v82, v83 offset0:132 offset1:198
	v_cvt_f16_f32_e32 v82, v94
	v_cvt_f16_f32_e32 v83, v95
	v_pack_b32_f16 v84, v84, v85
	v_cvt_f16_f32_e32 v85, v92
	v_cvt_f16_f32_e32 v86, v93
	v_pack_b32_f16 v82, v82, v83
	v_add_u32_e32 v83, 0x400, v113
	ds_write2_b32 v83, v84, v82 offset0:8 offset1:74
	v_pack_b32_f16 v82, v85, v86
	v_cvt_f16_f32_e32 v84, v98
	v_cvt_f16_f32_e32 v85, v99
	;; [unrolled: 1-line block ×6, first 2 shown]
	v_pack_b32_f16 v84, v84, v85
	ds_write2_b32 v83, v82, v84 offset0:140 offset1:206
	v_pack_b32_f16 v82, v86, v87
	v_pack_b32_f16 v83, v88, v89
	v_add_u32_e32 v84, 0x800, v113
	ds_write2_b32 v84, v82, v83 offset0:16 offset1:82
	v_cvt_f16_f32_e32 v82, v100
	v_cvt_f16_f32_e32 v83, v101
	;; [unrolled: 1-line block ×6, first 2 shown]
	v_pack_b32_f16 v82, v82, v83
	v_pack_b32_f16 v83, v85, v86
	ds_write2_b32 v84, v82, v83 offset0:148 offset1:214
	v_pack_b32_f16 v82, v87, v88
	v_add_u32_e32 v83, 0xc00, v113
	ds_write2_b32 v83, v82, v116 offset0:24 offset1:90
	ds_write2_b32 v83, v116, v116 offset0:156 offset1:222
	ds_read2_b64 v[82:85], v114 offset1:4
	s_waitcnt lgkmcnt(0)
	v_mfma_f32_16x16x16f16 v[8:11], v[34:35], v[82:83], v[8:11]
	v_add_u32_e32 v112, 0x180, v112
	v_addc_co_u32_e32 v17, vcc, 0, v17, vcc
	v_cmp_le_i32_e32 vcc, s12, v112
	s_or_b64 s[8:9], vcc, s[8:9]
	v_mfma_f32_16x16x16f16 v[4:7], v[50:51], v[82:83], v[4:7]
	v_mfma_f32_16x16x16f16 v[0:3], v[64:65], v[82:83], v[0:3]
	;; [unrolled: 1-line block ×6, first 2 shown]
	ds_read2_b64 v[62:65], v114 offset0:8 offset1:12
	v_mfma_f32_16x16x16f16 v[12:15], v[78:79], v[84:85], v[12:15]
	s_waitcnt lgkmcnt(0)
	v_mfma_f32_16x16x16f16 v[8:11], v[28:29], v[62:63], v[8:11]
	v_mfma_f32_16x16x16f16 v[4:7], v[44:45], v[62:63], v[4:7]
	;; [unrolled: 1-line block ×5, first 2 shown]
	ds_read2_b64 v[26:29], v114 offset0:16 offset1:20
	v_mfma_f32_16x16x16f16 v[4:7], v[42:43], v[64:65], v[4:7]
	v_mfma_f32_16x16x16f16 v[0:3], v[58:59], v[64:65], v[0:3]
	;; [unrolled: 1-line block ×3, first 2 shown]
	s_waitcnt lgkmcnt(0)
	v_mfma_f32_16x16x16f16 v[8:11], v[24:25], v[26:27], v[8:11]
	v_mfma_f32_16x16x16f16 v[4:7], v[40:41], v[26:27], v[4:7]
	;; [unrolled: 1-line block ×5, first 2 shown]
	ds_read2_b64 v[22:25], v114 offset0:24 offset1:28
	v_mfma_f32_16x16x16f16 v[4:7], v[38:39], v[28:29], v[4:7]
	v_mfma_f32_16x16x16f16 v[0:3], v[54:55], v[28:29], v[0:3]
	;; [unrolled: 1-line block ×3, first 2 shown]
	s_waitcnt lgkmcnt(0)
	v_mfma_f32_16x16x16f16 v[8:11], v[20:21], v[22:23], v[8:11]
	v_mfma_f32_16x16x16f16 v[4:7], v[36:37], v[22:23], v[4:7]
	;; [unrolled: 1-line block ×8, first 2 shown]
	s_andn2_b64 exec, exec, s[8:9]
	s_cbranch_execz .LBB114_45
.LBB114_6:                              ; =>This Inner Loop Header: Depth=1
	v_add_co_u32_e32 v18, vcc, s60, v16
	v_addc_co_u32_e32 v19, vcc, v17, v117, vcc
	global_load_dword v30, v[16:17], off
	global_load_dword v31, v[18:19], off
	v_add_u32_e32 v18, s7, v112
	v_ashrrev_i32_e32 v19, 31, v18
	v_readlane_b32 s79, v119, 11
	v_lshlrev_b64 v[18:19], 2, v[18:19]
	v_add_u32_e32 v20, s79, v112
	v_add_co_u32_e32 v18, vcc, s0, v18
	v_ashrrev_i32_e32 v21, 31, v20
	v_addc_co_u32_e32 v19, vcc, v115, v19, vcc
	v_lshlrev_b64 v[20:21], 2, v[20:21]
	v_add_u32_e32 v22, s63, v112
	v_add_co_u32_e32 v20, vcc, s0, v20
	v_ashrrev_i32_e32 v23, 31, v22
	v_readlane_b32 s79, v119, 12
	v_addc_co_u32_e32 v21, vcc, v115, v21, vcc
	v_lshlrev_b64 v[22:23], 2, v[22:23]
	v_add_u32_e32 v24, s79, v112
	v_add_co_u32_e32 v22, vcc, s0, v22
	v_ashrrev_i32_e32 v25, 31, v24
	v_readlane_b32 s79, v119, 13
	;; [unrolled: 6-line block ×3, first 2 shown]
	v_addc_co_u32_e32 v25, vcc, v115, v25, vcc
	v_lshlrev_b64 v[26:27], 2, v[26:27]
	v_add_u32_e32 v28, s79, v112
	v_add_co_u32_e32 v26, vcc, s0, v26
	v_ashrrev_i32_e32 v29, 31, v28
	v_addc_co_u32_e32 v27, vcc, v115, v27, vcc
	v_lshlrev_b64 v[28:29], 2, v[28:29]
	v_add_co_u32_e32 v28, vcc, s0, v28
	v_addc_co_u32_e32 v29, vcc, v115, v29, vcc
	global_load_dword v32, v[18:19], off
	global_load_dword v33, v[20:21], off
	global_load_dword v34, v[22:23], off
	s_nop 0
	global_load_dword v24, v[24:25], off
	s_nop 0
	global_load_dword v25, v[26:27], off
	;; [unrolled: 2-line block ×3, first 2 shown]
	v_add_u32_e32 v18, s67, v112
	v_readlane_b32 s79, v119, 15
	v_ashrrev_i32_e32 v19, 31, v18
	v_add_u32_e32 v20, s79, v112
	v_lshlrev_b64 v[18:19], 2, v[18:19]
	v_readlane_b32 s79, v119, 16
	v_ashrrev_i32_e32 v21, 31, v20
	v_add_co_u32_e32 v18, vcc, s0, v18
	v_add_u32_e32 v22, s79, v112
	v_lshlrev_b64 v[20:21], 2, v[20:21]
	v_addc_co_u32_e32 v19, vcc, v115, v19, vcc
	v_ashrrev_i32_e32 v23, 31, v22
	v_add_co_u32_e32 v20, vcc, s0, v20
	v_readlane_b32 s79, v119, 17
	v_lshlrev_b64 v[22:23], 2, v[22:23]
	v_addc_co_u32_e32 v21, vcc, v115, v21, vcc
	global_load_dword v18, v[18:19], off
	s_nop 0
	global_load_dword v19, v[20:21], off
	v_add_u32_e32 v20, s79, v112
	v_add_co_u32_e32 v22, vcc, s0, v22
	v_ashrrev_i32_e32 v21, 31, v20
	v_addc_co_u32_e32 v23, vcc, v115, v23, vcc
	v_lshlrev_b64 v[20:21], 2, v[20:21]
	v_readlane_b32 s79, v119, 18
	v_add_u32_e32 v58, s23, v112
	v_ashrrev_i32_e32 v59, 31, v58
	v_lshlrev_b64 v[58:59], 2, v[58:59]
	s_waitcnt vmcnt(9)
	ds_write_b32 v113, v30
	s_waitcnt vmcnt(8)
	ds_write_b32 v113, v31 offset:264
	s_waitcnt vmcnt(7)
	ds_write_b32 v113, v32 offset:528
	;; [unrolled: 2-line block ×7, first 2 shown]
	v_add_co_u32_e32 v24, vcc, s0, v20
	v_add_u32_e32 v20, s79, v112
	v_addc_co_u32_e32 v25, vcc, v115, v21, vcc
	v_ashrrev_i32_e32 v21, 31, v20
	v_lshlrev_b64 v[20:21], 2, v[20:21]
	v_readlane_b32 s79, v119, 19
	v_add_co_u32_e32 v26, vcc, s0, v20
	v_add_u32_e32 v20, s79, v112
	v_addc_co_u32_e32 v27, vcc, v115, v21, vcc
	v_ashrrev_i32_e32 v21, 31, v20
	v_lshlrev_b64 v[20:21], 2, v[20:21]
	v_readlane_b32 s79, v119, 20
	;; [unrolled: 6-line block ×3, first 2 shown]
	v_add_co_u32_e32 v30, vcc, s0, v20
	v_add_u32_e32 v20, s79, v112
	v_addc_co_u32_e32 v31, vcc, v115, v21, vcc
	v_ashrrev_i32_e32 v21, 31, v20
	v_lshlrev_b64 v[20:21], 2, v[20:21]
	v_add_co_u32_e32 v32, vcc, s0, v20
	v_add_u32_e32 v20, s75, v112
	v_addc_co_u32_e32 v33, vcc, v115, v21, vcc
	v_ashrrev_i32_e32 v21, 31, v20
	v_lshlrev_b64 v[20:21], 2, v[20:21]
	v_readlane_b32 s79, v119, 22
	v_add_co_u32_e32 v34, vcc, s0, v20
	v_add_u32_e32 v20, s79, v112
	v_addc_co_u32_e32 v35, vcc, v115, v21, vcc
	v_ashrrev_i32_e32 v21, 31, v20
	v_lshlrev_b64 v[20:21], 2, v[20:21]
	v_add_co_u32_e32 v36, vcc, s0, v20
	v_readlane_b32 s79, v119, 23
	v_addc_co_u32_e32 v37, vcc, v115, v21, vcc
	global_load_dword v20, v[22:23], off
	global_load_dword v21, v[24:25], off
	s_nop 0
	global_load_dword v22, v[26:27], off
	global_load_dword v23, v[28:29], off
	;; [unrolled: 1-line block ×4, first 2 shown]
	s_nop 0
	global_load_dword v32, v[34:35], off
	global_load_dword v33, v[36:37], off
	v_add_u32_e32 v26, s79, v112
	v_ashrrev_i32_e32 v27, 31, v26
	v_readlane_b32 s79, v119, 24
	v_lshlrev_b64 v[26:27], 2, v[26:27]
	v_add_u32_e32 v28, s79, v112
	v_add_co_u32_e32 v26, vcc, s0, v26
	v_ashrrev_i32_e32 v29, 31, v28
	v_readlane_b32 s79, v119, 25
	v_addc_co_u32_e32 v27, vcc, v115, v27, vcc
	v_lshlrev_b64 v[28:29], 2, v[28:29]
	v_add_u32_e32 v30, s79, v112
	v_add_co_u32_e32 v28, vcc, s0, v28
	v_ashrrev_i32_e32 v31, 31, v30
	v_addc_co_u32_e32 v29, vcc, v115, v29, vcc
	v_lshlrev_b64 v[30:31], 2, v[30:31]
	v_add_u32_e32 v34, s80, v112
	v_add_co_u32_e32 v30, vcc, s0, v30
	v_ashrrev_i32_e32 v35, 31, v34
	;; [unrolled: 5-line block ×3, first 2 shown]
	v_addc_co_u32_e32 v35, vcc, v115, v35, vcc
	v_lshlrev_b64 v[36:37], 2, v[36:37]
	v_add_co_u32_e32 v40, vcc, s0, v36
	v_add_u32_e32 v36, s82, v112
	v_addc_co_u32_e32 v41, vcc, v115, v37, vcc
	v_ashrrev_i32_e32 v37, 31, v36
	v_lshlrev_b64 v[36:37], 2, v[36:37]
	v_add_co_u32_e32 v42, vcc, s0, v36
	v_add_u32_e32 v36, s83, v112
	v_addc_co_u32_e32 v43, vcc, v115, v37, vcc
	v_ashrrev_i32_e32 v37, 31, v36
	;; [unrolled: 5-line block ×3, first 2 shown]
	v_lshlrev_b64 v[36:37], 2, v[36:37]
	v_add_co_u32_e32 v46, vcc, s0, v36
	v_addc_co_u32_e32 v47, vcc, v115, v37, vcc
	global_load_dword v36, v[26:27], off
	global_load_dword v37, v[28:29], off
	;; [unrolled: 1-line block ×4, first 2 shown]
	s_nop 0
	global_load_dword v40, v[40:41], off
	s_nop 0
	global_load_dword v41, v[42:43], off
	;; [unrolled: 2-line block ×3, first 2 shown]
	global_load_dword v43, v[46:47], off
	v_add_u32_e32 v26, s85, v112
	v_ashrrev_i32_e32 v27, 31, v26
	v_lshlrev_b64 v[26:27], 2, v[26:27]
	v_add_u32_e32 v28, s86, v112
	v_add_co_u32_e32 v26, vcc, s0, v26
	v_ashrrev_i32_e32 v29, 31, v28
	v_addc_co_u32_e32 v27, vcc, v115, v27, vcc
	v_lshlrev_b64 v[28:29], 2, v[28:29]
	v_add_u32_e32 v30, s87, v112
	v_add_co_u32_e32 v28, vcc, s0, v28
	v_ashrrev_i32_e32 v31, 31, v30
	v_addc_co_u32_e32 v29, vcc, v115, v29, vcc
	;; [unrolled: 5-line block ×4, first 2 shown]
	v_lshlrev_b64 v[44:45], 2, v[44:45]
	v_add_co_u32_e32 v48, vcc, s0, v44
	v_add_u32_e32 v44, s61, v112
	v_addc_co_u32_e32 v49, vcc, v115, v45, vcc
	v_ashrrev_i32_e32 v45, 31, v44
	v_lshlrev_b64 v[44:45], 2, v[44:45]
	v_add_co_u32_e32 v52, vcc, s0, v44
	v_add_u32_e32 v44, s90, v112
	v_addc_co_u32_e32 v53, vcc, v115, v45, vcc
	v_ashrrev_i32_e32 v45, 31, v44
	v_lshlrev_b64 v[44:45], 2, v[44:45]
	v_add_co_u32_e32 v54, vcc, s0, v44
	v_add_u32_e32 v44, s91, v112
	v_addc_co_u32_e32 v55, vcc, v115, v45, vcc
	v_ashrrev_i32_e32 v45, 31, v44
	v_lshlrev_b64 v[44:45], 2, v[44:45]
	v_add_co_u32_e32 v56, vcc, s0, v44
	v_addc_co_u32_e32 v57, vcc, v115, v45, vcc
	global_load_dword v44, v[26:27], off
	global_load_dword v45, v[28:29], off
	;; [unrolled: 1-line block ×6, first 2 shown]
	s_nop 0
	global_load_dword v48, v[54:55], off
	global_load_dword v49, v[56:57], off
	v_add_u32_e32 v26, s92, v112
	v_ashrrev_i32_e32 v27, 31, v26
	v_lshlrev_b64 v[26:27], 2, v[26:27]
	v_add_u32_e32 v28, s93, v112
	v_add_co_u32_e32 v26, vcc, s0, v26
	v_ashrrev_i32_e32 v29, 31, v28
	v_addc_co_u32_e32 v27, vcc, v115, v27, vcc
	v_lshlrev_b64 v[28:29], 2, v[28:29]
	v_add_u32_e32 v30, s94, v112
	v_add_co_u32_e32 v28, vcc, s0, v28
	v_ashrrev_i32_e32 v31, 31, v30
	v_addc_co_u32_e32 v29, vcc, v115, v29, vcc
	;; [unrolled: 5-line block ×6, first 2 shown]
	v_lshlrev_b64 v[56:57], 2, v[56:57]
	v_add_co_u32_e32 v56, vcc, s0, v56
	v_addc_co_u32_e32 v57, vcc, v115, v57, vcc
	v_add_co_u32_e32 v58, vcc, s0, v58
	v_addc_co_u32_e32 v59, vcc, v115, v59, vcc
	global_load_dword v60, v[26:27], off
	global_load_dword v61, v[28:29], off
	;; [unrolled: 1-line block ×8, first 2 shown]
	v_add_u32_e32 v26, s28, v112
	v_ashrrev_i32_e32 v27, 31, v26
	v_lshlrev_b64 v[26:27], 2, v[26:27]
	v_add_u32_e32 v28, s29, v112
	v_add_co_u32_e32 v26, vcc, s0, v26
	v_ashrrev_i32_e32 v29, 31, v28
	v_addc_co_u32_e32 v27, vcc, v115, v27, vcc
	v_lshlrev_b64 v[28:29], 2, v[28:29]
	v_add_u32_e32 v30, s3, v112
	v_add_co_u32_e32 v28, vcc, s0, v28
	v_ashrrev_i32_e32 v31, 31, v30
	v_addc_co_u32_e32 v29, vcc, v115, v29, vcc
	;; [unrolled: 5-line block ×7, first 2 shown]
	v_lshlrev_b64 v[58:59], 2, v[58:59]
	v_add_co_u32_e32 v58, vcc, s0, v58
	v_addc_co_u32_e32 v59, vcc, v115, v59, vcc
	global_load_dword v68, v[26:27], off
	global_load_dword v69, v[28:29], off
	;; [unrolled: 1-line block ×8, first 2 shown]
	v_add_u32_e32 v26, s64, v112
	v_ashrrev_i32_e32 v27, 31, v26
	v_lshlrev_b64 v[26:27], 2, v[26:27]
	v_add_u32_e32 v28, s65, v112
	v_add_co_u32_e32 v26, vcc, s0, v26
	v_ashrrev_i32_e32 v29, 31, v28
	v_addc_co_u32_e32 v27, vcc, v115, v27, vcc
	v_lshlrev_b64 v[28:29], 2, v[28:29]
	v_add_u32_e32 v30, s66, v112
	v_add_co_u32_e32 v28, vcc, s0, v28
	v_ashrrev_i32_e32 v31, 31, v30
	v_addc_co_u32_e32 v29, vcc, v115, v29, vcc
	;; [unrolled: 5-line block ×7, first 2 shown]
	v_lshlrev_b64 v[58:59], 2, v[58:59]
	v_add_co_u32_e32 v58, vcc, s0, v58
	v_addc_co_u32_e32 v59, vcc, v115, v59, vcc
	global_load_dword v76, v[26:27], off
	global_load_dword v77, v[28:29], off
	;; [unrolled: 1-line block ×8, first 2 shown]
	v_add_u32_e32 v26, s73, v112
	v_ashrrev_i32_e32 v27, 31, v26
	v_lshlrev_b64 v[26:27], 2, v[26:27]
	v_add_u32_e32 v28, s74, v112
	v_add_co_u32_e32 v26, vcc, s0, v26
	v_ashrrev_i32_e32 v29, 31, v28
	v_addc_co_u32_e32 v27, vcc, v115, v27, vcc
	v_lshlrev_b64 v[28:29], 2, v[28:29]
	v_add_u32_e32 v30, s76, v112
	v_add_co_u32_e32 v28, vcc, s0, v28
	v_ashrrev_i32_e32 v31, 31, v30
	v_addc_co_u32_e32 v29, vcc, v115, v29, vcc
	;; [unrolled: 5-line block ×5, first 2 shown]
	v_lshlrev_b64 v[54:55], 2, v[54:55]
	v_add_co_u32_e32 v54, vcc, s0, v54
	v_addc_co_u32_e32 v55, vcc, v115, v55, vcc
	global_load_dword v84, v[26:27], off
	global_load_dword v85, v[28:29], off
	;; [unrolled: 1-line block ×6, first 2 shown]
	s_waitcnt vmcnt(55)
	ds_write_b32 v113, v18 offset:2112
	s_waitcnt vmcnt(54)
	ds_write_b32 v113, v19 offset:2376
	s_waitcnt vmcnt(53)
	ds_write_b32 v113, v20 offset:2640
	s_waitcnt vmcnt(52)
	ds_write_b32 v113, v21 offset:2904
	s_waitcnt vmcnt(51)
	ds_write_b32 v113, v22 offset:3168
	s_waitcnt vmcnt(50)
	ds_write_b32 v113, v23 offset:3432
	s_waitcnt vmcnt(49)
	ds_write_b32 v113, v24 offset:3696
	s_waitcnt vmcnt(48)
	ds_write_b32 v113, v25 offset:3960
	ds_read_b64 v[34:35], v114
	ds_read_b64 v[30:31], v114 offset:32
	ds_read_b64 v[28:29], v114 offset:64
	ds_read_b64 v[26:27], v114 offset:96
	ds_read_b64 v[24:25], v114 offset:128
	ds_read_b64 v[22:23], v114 offset:160
	ds_read_b64 v[20:21], v114 offset:192
	ds_read_b64 v[18:19], v114 offset:224
	s_waitcnt vmcnt(47)
	ds_write_b32 v113, v32
	s_waitcnt vmcnt(46)
	ds_write_b32 v113, v33 offset:264
	s_waitcnt vmcnt(45)
	ds_write_b32 v113, v36 offset:528
	s_waitcnt vmcnt(44)
	ds_write_b32 v113, v37 offset:792
	s_waitcnt vmcnt(43)
	ds_write_b32 v113, v38 offset:1056
	s_waitcnt vmcnt(42)
	ds_write_b32 v113, v39 offset:1320
	s_waitcnt vmcnt(41)
	ds_write_b32 v113, v40 offset:1584
	s_waitcnt vmcnt(40)
	ds_write_b32 v113, v41 offset:1848
	s_waitcnt vmcnt(39)
	ds_write_b32 v113, v42 offset:2112
	s_waitcnt vmcnt(38)
	ds_write_b32 v113, v43 offset:2376
	s_waitcnt vmcnt(37)
	ds_write_b32 v113, v44 offset:2640
	s_waitcnt vmcnt(36)
	ds_write_b32 v113, v45 offset:2904
	s_waitcnt vmcnt(35)
	ds_write_b32 v113, v46 offset:3168
	s_waitcnt vmcnt(34)
	ds_write_b32 v113, v47 offset:3432
	s_waitcnt vmcnt(33)
	ds_write_b32 v113, v50 offset:3696
	s_waitcnt vmcnt(32)
	ds_write_b32 v113, v51 offset:3960
	ds_read_b64 v[50:51], v114
	ds_read_b64 v[46:47], v114 offset:32
	ds_read_b64 v[44:45], v114 offset:64
	ds_read_b64 v[42:43], v114 offset:96
	ds_read_b64 v[40:41], v114 offset:128
	ds_read_b64 v[38:39], v114 offset:160
	ds_read_b64 v[36:37], v114 offset:192
	ds_read_b64 v[32:33], v114 offset:224
	s_waitcnt vmcnt(31)
	ds_write_b32 v113, v48
	s_waitcnt vmcnt(30)
	ds_write_b32 v113, v49 offset:264
	s_waitcnt vmcnt(29)
	ds_write_b32 v113, v60 offset:528
	s_waitcnt vmcnt(28)
	ds_write_b32 v113, v61 offset:792
	s_waitcnt vmcnt(27)
	ds_write_b32 v113, v62 offset:1056
	s_waitcnt vmcnt(26)
	ds_write_b32 v113, v63 offset:1320
	s_waitcnt vmcnt(25)
	ds_write_b32 v113, v64 offset:1584
	s_waitcnt vmcnt(24)
	ds_write_b32 v113, v65 offset:1848
	s_waitcnt vmcnt(23)
	ds_write_b32 v113, v66 offset:2112
	s_waitcnt vmcnt(22)
	ds_write_b32 v113, v67 offset:2376
	s_waitcnt vmcnt(21)
	ds_write_b32 v113, v68 offset:2640
	s_waitcnt vmcnt(20)
	ds_write_b32 v113, v69 offset:2904
	s_waitcnt vmcnt(19)
	ds_write_b32 v113, v70 offset:3168
	s_waitcnt vmcnt(18)
	ds_write_b32 v113, v71 offset:3432
	s_waitcnt vmcnt(17)
	ds_write_b32 v113, v72 offset:3696
	s_waitcnt vmcnt(16)
	ds_write_b32 v113, v73 offset:3960
	ds_read_b64 v[64:65], v114
	ds_read_b64 v[62:63], v114 offset:32
	ds_read_b64 v[60:61], v114 offset:64
	ds_read_b64 v[58:59], v114 offset:96
	ds_read_b64 v[56:57], v114 offset:128
	ds_read_b64 v[54:55], v114 offset:160
	ds_read_b64 v[52:53], v114 offset:192
	ds_read_b64 v[48:49], v114 offset:224
	s_waitcnt vmcnt(15)
	ds_write_b32 v113, v74
	s_waitcnt vmcnt(14)
	ds_write_b32 v113, v75 offset:264
	s_waitcnt vmcnt(13)
	ds_write_b32 v113, v76 offset:528
	s_waitcnt vmcnt(12)
	ds_write_b32 v113, v77 offset:792
	s_waitcnt vmcnt(11)
	ds_write_b32 v113, v78 offset:1056
	s_waitcnt vmcnt(10)
	ds_write_b32 v113, v79 offset:1320
	s_waitcnt vmcnt(9)
	ds_write_b32 v113, v80 offset:1584
	s_waitcnt vmcnt(8)
	ds_write_b32 v113, v81 offset:1848
	s_waitcnt vmcnt(7)
	ds_write_b32 v113, v82 offset:2112
	s_waitcnt vmcnt(6)
	ds_write_b32 v113, v83 offset:2376
	;; [unrolled: 2-line block ×8, first 2 shown]
	ds_read_b64 v[80:81], v114
	ds_read_b64 v[78:79], v114 offset:32
	ds_read_b64 v[76:77], v114 offset:64
	;; [unrolled: 1-line block ×7, first 2 shown]
	s_andn2_b64 vcc, exec, s[4:5]
	v_mov_b32_e32 v82, 0
	v_mov_b32_e32 v83, 0
	s_cbranch_vccnz .LBB114_9
; %bb.7:                                ;   in Loop: Header=BB114_6 Depth=1
	s_load_dword vcc_lo, s[34:35], 0x0
	v_mov_b32_e32 v83, 0
	v_mov_b32_e32 v82, 0
	s_waitcnt lgkmcnt(0)
	s_mul_hi_u32 vcc_hi, vcc_lo, s16
	s_add_i32 vcc_hi, vcc_lo, vcc_hi
	s_lshr_b32 s79, vcc_hi, s17
	s_cmp_ge_i32 s79, s13
	s_cbranch_scc1 .LBB114_9
; %bb.8:                                ;   in Loop: Header=BB114_6 Depth=1
	s_mul_i32 vcc_hi, s79, s18
	s_sub_i32 vcc_lo, vcc_lo, vcc_hi
	s_mul_i32 s79, s79, s20
	s_mul_i32 vcc_lo, vcc_lo, s1
	v_add_u32_e32 v82, s79, v112
	v_lshl_add_u32 v82, v82, 1, vcc_lo
	v_ashrrev_i32_e32 v83, 31, v82
	v_lshlrev_b64 v[82:83], 2, v[82:83]
	v_mov_b32_e32 v84, s11
	v_add_co_u32_e32 v82, vcc, s10, v82
	v_addc_co_u32_e32 v83, vcc, v84, v83, vcc
	global_load_dwordx2 v[82:83], v[82:83], off
.LBB114_9:                              ;   in Loop: Header=BB114_6 Depth=1
	s_andn2_b64 vcc, exec, s[36:37]
	v_mov_b32_e32 v84, 0
	v_mov_b32_e32 v86, 0
	v_mov_b32_e32 v87, 0
	s_cbranch_vccnz .LBB114_12
; %bb.10:                               ;   in Loop: Header=BB114_6 Depth=1
	s_load_dword vcc_lo, s[34:35], 0x4
	v_mov_b32_e32 v87, 0
	v_mov_b32_e32 v86, 0
	s_waitcnt lgkmcnt(0)
	s_mul_hi_u32 s79, vcc_lo, s16
	s_add_i32 s79, vcc_lo, s79
	s_lshr_b32 vcc_hi, s79, s17
	s_cmp_ge_i32 vcc_hi, s13
	s_cbranch_scc1 .LBB114_12
; %bb.11:                               ;   in Loop: Header=BB114_6 Depth=1
	s_mul_i32 s79, vcc_hi, s18
	s_sub_i32 s79, vcc_lo, s79
	s_mul_i32 vcc_hi, vcc_hi, s20
	s_mul_i32 s79, s79, s1
	v_add_u32_e32 v85, vcc_hi, v112
	v_lshl_add_u32 v86, v85, 1, s79
	v_ashrrev_i32_e32 v87, 31, v86
	v_lshlrev_b64 v[86:87], 2, v[86:87]
	v_mov_b32_e32 v85, s11
	v_add_co_u32_e32 v86, vcc, s10, v86
	v_addc_co_u32_e32 v87, vcc, v85, v87, vcc
	global_load_dwordx2 v[86:87], v[86:87], off
.LBB114_12:                             ;   in Loop: Header=BB114_6 Depth=1
	s_andn2_b64 vcc, exec, s[38:39]
	v_mov_b32_e32 v85, 0
	s_cbranch_vccnz .LBB114_15
; %bb.13:                               ;   in Loop: Header=BB114_6 Depth=1
	s_load_dword vcc_lo, s[34:35], 0x8
	v_mov_b32_e32 v85, 0
	v_mov_b32_e32 v84, 0
	s_waitcnt lgkmcnt(0)
	s_mul_hi_u32 s79, vcc_lo, s16
	s_add_i32 s79, vcc_lo, s79
	s_lshr_b32 vcc_hi, s79, s17
	s_cmp_ge_i32 vcc_hi, s13
	s_cbranch_scc1 .LBB114_15
; %bb.14:                               ;   in Loop: Header=BB114_6 Depth=1
	s_mul_i32 s79, vcc_hi, s18
	s_sub_i32 s79, vcc_lo, s79
	s_mul_i32 vcc_hi, vcc_hi, s20
	s_mul_i32 s79, s79, s1
	v_add_u32_e32 v84, vcc_hi, v112
	v_lshl_add_u32 v84, v84, 1, s79
	v_ashrrev_i32_e32 v85, 31, v84
	v_lshlrev_b64 v[84:85], 2, v[84:85]
	v_mov_b32_e32 v88, s11
	v_add_co_u32_e32 v84, vcc, s10, v84
	v_addc_co_u32_e32 v85, vcc, v88, v85, vcc
	global_load_dwordx2 v[84:85], v[84:85], off
.LBB114_15:                             ;   in Loop: Header=BB114_6 Depth=1
	s_andn2_b64 vcc, exec, s[40:41]
	v_mov_b32_e32 v88, 0
	v_mov_b32_e32 v90, 0
	v_mov_b32_e32 v91, 0
	s_cbranch_vccnz .LBB114_18
; %bb.16:                               ;   in Loop: Header=BB114_6 Depth=1
	s_load_dword vcc_lo, s[34:35], 0xc
	v_mov_b32_e32 v91, 0
	v_mov_b32_e32 v90, 0
	s_waitcnt lgkmcnt(0)
	s_mul_hi_u32 s79, vcc_lo, s16
	s_add_i32 s79, vcc_lo, s79
	s_lshr_b32 vcc_hi, s79, s17
	s_cmp_ge_i32 vcc_hi, s13
	s_cbranch_scc1 .LBB114_18
; %bb.17:                               ;   in Loop: Header=BB114_6 Depth=1
	s_mul_i32 s79, vcc_hi, s18
	s_sub_i32 s79, vcc_lo, s79
	s_mul_i32 vcc_hi, vcc_hi, s20
	s_mul_i32 s79, s79, s1
	v_add_u32_e32 v89, vcc_hi, v112
	v_lshl_add_u32 v90, v89, 1, s79
	v_ashrrev_i32_e32 v91, 31, v90
	v_lshlrev_b64 v[90:91], 2, v[90:91]
	v_mov_b32_e32 v89, s11
	v_add_co_u32_e32 v90, vcc, s10, v90
	v_addc_co_u32_e32 v91, vcc, v89, v91, vcc
	global_load_dwordx2 v[90:91], v[90:91], off
.LBB114_18:                             ;   in Loop: Header=BB114_6 Depth=1
	s_andn2_b64 vcc, exec, s[42:43]
	v_mov_b32_e32 v89, 0
	s_cbranch_vccnz .LBB114_21
; %bb.19:                               ;   in Loop: Header=BB114_6 Depth=1
	s_load_dword vcc_lo, s[34:35], 0x10
	v_mov_b32_e32 v89, 0
	v_mov_b32_e32 v88, 0
	s_waitcnt lgkmcnt(0)
	s_mul_hi_u32 s79, vcc_lo, s16
	s_add_i32 s79, vcc_lo, s79
	s_lshr_b32 vcc_hi, s79, s17
	s_cmp_ge_i32 vcc_hi, s13
	s_cbranch_scc1 .LBB114_21
; %bb.20:                               ;   in Loop: Header=BB114_6 Depth=1
	s_mul_i32 s79, vcc_hi, s18
	s_sub_i32 s79, vcc_lo, s79
	s_mul_i32 vcc_hi, vcc_hi, s20
	s_mul_i32 s79, s79, s1
	v_add_u32_e32 v88, vcc_hi, v112
	v_lshl_add_u32 v88, v88, 1, s79
	v_ashrrev_i32_e32 v89, 31, v88
	v_lshlrev_b64 v[88:89], 2, v[88:89]
	v_mov_b32_e32 v92, s11
	v_add_co_u32_e32 v88, vcc, s10, v88
	v_addc_co_u32_e32 v89, vcc, v92, v89, vcc
	global_load_dwordx2 v[88:89], v[88:89], off
.LBB114_21:                             ;   in Loop: Header=BB114_6 Depth=1
	;; [unrolled: 56-line block ×5, first 2 shown]
	s_andn2_b64 vcc, exec, s[56:57]
	v_mov_b32_e32 v104, 0
	v_mov_b32_e32 v106, 0
	;; [unrolled: 1-line block ×3, first 2 shown]
	s_cbranch_vccnz .LBB114_42
; %bb.40:                               ;   in Loop: Header=BB114_6 Depth=1
	s_load_dword vcc_lo, s[34:35], 0x2c
	v_mov_b32_e32 v107, 0
	v_mov_b32_e32 v106, 0
	s_waitcnt lgkmcnt(0)
	s_mul_hi_u32 s79, vcc_lo, s16
	s_add_i32 s79, vcc_lo, s79
	s_lshr_b32 vcc_hi, s79, s17
	s_cmp_ge_i32 vcc_hi, s13
	s_cbranch_scc1 .LBB114_42
; %bb.41:                               ;   in Loop: Header=BB114_6 Depth=1
	s_mul_i32 s79, vcc_hi, s18
	s_sub_i32 s79, vcc_lo, s79
	s_mul_i32 vcc_hi, vcc_hi, s20
	s_mul_i32 s79, s79, s1
	v_add_u32_e32 v105, vcc_hi, v112
	v_lshl_add_u32 v106, v105, 1, s79
	v_ashrrev_i32_e32 v107, 31, v106
	v_lshlrev_b64 v[106:107], 2, v[106:107]
	v_mov_b32_e32 v105, s11
	v_add_co_u32_e32 v106, vcc, s10, v106
	v_addc_co_u32_e32 v107, vcc, v105, v107, vcc
	global_load_dwordx2 v[106:107], v[106:107], off
.LBB114_42:                             ;   in Loop: Header=BB114_6 Depth=1
	s_andn2_b64 vcc, exec, s[58:59]
	v_mov_b32_e32 v105, 0
	s_cbranch_vccnz .LBB114_5
; %bb.43:                               ;   in Loop: Header=BB114_6 Depth=1
	s_load_dword vcc_lo, s[34:35], 0x30
	v_mov_b32_e32 v105, 0
	v_mov_b32_e32 v104, 0
	s_waitcnt lgkmcnt(0)
	s_mul_hi_u32 s79, vcc_lo, s16
	s_add_i32 s79, vcc_lo, s79
	s_lshr_b32 vcc_hi, s79, s17
	s_cmp_ge_i32 vcc_hi, s13
	s_cbranch_scc1 .LBB114_5
; %bb.44:                               ;   in Loop: Header=BB114_6 Depth=1
	s_mul_i32 s79, vcc_hi, s18
	s_sub_i32 s79, vcc_lo, s79
	s_mul_i32 vcc_hi, vcc_hi, s20
	s_mul_i32 s79, s79, s1
	v_add_u32_e32 v104, vcc_hi, v112
	v_lshl_add_u32 v104, v104, 1, s79
	v_ashrrev_i32_e32 v105, 31, v104
	v_lshlrev_b64 v[104:105], 2, v[104:105]
	v_mov_b32_e32 v118, s11
	v_add_co_u32_e32 v104, vcc, s10, v104
	v_addc_co_u32_e32 v105, vcc, v118, v105, vcc
	global_load_dwordx2 v[104:105], v[104:105], off
	s_branch .LBB114_5
.LBB114_45:
	s_or_b64 exec, exec, s[8:9]
	v_readlane_b32 s24, v119, 6
	v_readlane_b32 s26, v119, 9
	v_readlane_b32 s25, v119, 7
	v_readlane_b32 s27, v119, 10
	v_readlane_b32 s7, v119, 8
.LBB114_46:
	v_readlane_b32 s0, v119, 4
	v_readlane_b32 s1, v119, 5
	s_or_b64 exec, exec, s[0:1]
	v_mul_u32_u24_e32 v16, 0x608, v111
	v_lshlrev_b32_e32 v17, 2, v110
	v_add3_u32 v16, 0, v16, v17
	v_and_b32_e32 v17, 0x3f0, v109
	v_add_u32_e32 v17, v16, v17
	s_lshl_b64 s[0:1], s[26:27], 2
	v_readlane_b32 s4, v119, 0
	s_barrier
	ds_write2_b32 v17, v8, v9 offset1:1
	ds_write_b32 v17, v10 offset:8
	v_or_b32_e32 v8, 12, v109
	v_readlane_b32 s5, v119, 1
	s_add_u32 s3, s4, s0
	v_and_b32_e32 v8, 0x3fc, v8
	s_addc_u32 s8, s5, s1
	v_add_u32_e32 v8, v16, v8
	ds_write_b32 v8, v11
	ds_write2_b32 v17, v4, v5 offset0:16 offset1:17
	ds_write_b32 v17, v6 offset:72
	ds_write_b32 v8, v7 offset:64
	ds_write2_b32 v17, v0, v1 offset0:32 offset1:33
	ds_write_b32 v17, v2 offset:136
	ds_write_b32 v8, v3 offset:128
	;; [unrolled: 3-line block ×3, first 2 shown]
	s_cmp_gt_i32 s14, 0
	v_add_u32_e32 v0, s6, v108
	s_cselect_b64 s[4:5], -1, 0
	v_cmp_gt_i32_e64 s[0:1], s33, v0
	v_cmp_gt_u32_e32 vcc, 13, v108
	s_and_b64 s[0:1], s[4:5], s[0:1]
	v_lshl_add_u32 v3, v109, 2, 0
	v_add_u32_e32 v2, s7, v109
	v_mul_u32_u24_e32 v4, 0x608, v108
	s_and_b64 s[10:11], vcc, s[0:1]
	s_waitcnt lgkmcnt(0)
	s_barrier
	s_and_saveexec_b64 s[0:1], s[10:11]
	s_cbranch_execz .LBB114_49
; %bb.47:
	v_ashrrev_i32_e32 v1, 31, v0
	v_lshlrev_b64 v[6:7], 2, v[0:1]
	v_mov_b32_e32 v1, s8
	v_add_co_u32_e32 v6, vcc, s3, v6
	v_addc_co_u32_e32 v7, vcc, v1, v7, vcc
	global_load_dword v5, v[6:7], off
	s_waitcnt vmcnt(0)
	v_mul_hi_u32 v1, v5, s19
	v_add_u32_e32 v1, v5, v1
	v_lshrrev_b32_e32 v1, s24, v1
	v_cmp_gt_i32_e32 vcc, s13, v1
	s_and_b64 exec, exec, vcc
	s_cbranch_execz .LBB114_49
; %bb.48:
	v_add_u32_e32 v10, v3, v4
	ds_read2st64_b32 v[6:7], v10 offset1:1
	ds_read2st64_b32 v[8:9], v10 offset0:2 offset1:3
	ds_read2st64_b32 v[10:11], v10 offset0:4 offset1:5
	v_mul_lo_u32 v12, v1, s25
	v_sub_u32_e32 v5, v5, v12
	v_mul_lo_u32 v5, v5, s2
	s_waitcnt lgkmcnt(2)
	v_add_f32_e32 v6, 0, v6
	v_add_f32_e32 v6, v6, v7
	s_waitcnt lgkmcnt(1)
	v_add_f32_e32 v6, v6, v8
	v_add_f32_e32 v6, v6, v9
	s_waitcnt lgkmcnt(0)
	v_add_f32_e32 v6, v6, v10
	v_mul_lo_u32 v1, v1, s21
	v_add_f32_e32 v8, v6, v11
	v_add3_u32 v6, v2, v1, v5
	v_mov_b32_e32 v7, 0
	v_readlane_b32 s10, v119, 2
	v_lshlrev_b64 v[6:7], 2, v[6:7]
	v_readlane_b32 s11, v119, 3
	v_mov_b32_e32 v1, s11
	v_add_co_u32_e32 v6, vcc, s10, v6
	v_addc_co_u32_e32 v7, vcc, v1, v7, vcc
	global_store_dword v[6:7], v8, off
.LBB114_49:
	s_or_b64 exec, exec, s[0:1]
	v_add_u32_e32 v0, 6, v0
	v_cmp_gt_i32_e64 s[0:1], s33, v0
	v_cmp_gt_u32_e32 vcc, 7, v108
	s_and_b64 s[0:1], s[4:5], s[0:1]
	s_and_b64 s[10:11], vcc, s[0:1]
	s_and_saveexec_b64 s[0:1], s[10:11]
	s_cbranch_execz .LBB114_52
; %bb.50:
	s_ashr_i32 s7, s6, 31
	v_mov_b32_e32 v1, s7
	v_add_co_u32_e32 v0, vcc, s6, v108
	v_addc_co_u32_e32 v1, vcc, 0, v1, vcc
	v_lshlrev_b64 v[0:1], 2, v[0:1]
	v_mov_b32_e32 v5, s8
	v_add_co_u32_e32 v0, vcc, s3, v0
	v_addc_co_u32_e32 v1, vcc, v5, v1, vcc
	global_load_dword v5, v[0:1], off offset:24
	v_mov_b32_e32 v1, 0
	s_waitcnt vmcnt(0)
	v_mul_hi_u32 v0, v5, s19
	v_add_u32_e32 v0, v5, v0
	v_lshrrev_b32_e32 v0, s24, v0
	v_cmp_gt_i32_e32 vcc, s13, v0
	s_and_b64 exec, exec, vcc
	s_cbranch_execz .LBB114_52
; %bb.51:
	v_add_u32_e32 v4, v4, v3
	v_add_u32_e32 v4, 48, v4
	ds_read2st64_b32 v[6:7], v4 offset0:36 offset1:37
	ds_read2st64_b32 v[8:9], v4 offset0:38 offset1:39
	v_mul_lo_u32 v10, v0, s25
	v_sub_u32_e32 v10, v5, v10
	ds_read2st64_b32 v[4:5], v4 offset0:40 offset1:41
	s_waitcnt lgkmcnt(2)
	v_add_f32_e32 v6, 0, v6
	v_add_f32_e32 v6, v6, v7
	s_waitcnt lgkmcnt(1)
	v_add_f32_e32 v6, v6, v8
	v_add_f32_e32 v6, v6, v9
	;; [unrolled: 3-line block ×3, first 2 shown]
	v_mul_lo_u32 v5, v10, s2
	v_mul_lo_u32 v0, v0, s21
	v_add3_u32 v0, v2, v0, v5
	v_readlane_b32 s10, v119, 2
	v_lshlrev_b64 v[0:1], 2, v[0:1]
	v_readlane_b32 s11, v119, 3
	v_mov_b32_e32 v5, s11
	v_add_co_u32_e32 v0, vcc, s10, v0
	v_addc_co_u32_e32 v1, vcc, v5, v1, vcc
	global_store_dword v[0:1], v4, off
.LBB114_52:
	s_or_b64 exec, exec, s[0:1]
	v_cmp_eq_u32_e32 vcc, 0, v108
	s_and_saveexec_b64 s[0:1], vcc
	s_cbranch_execz .LBB114_56
; %bb.53:
	s_add_i32 s0, s6, 12
	s_cmp_ge_i32 s0, s33
	s_cselect_b64 s[0:1], -1, 0
	s_xor_b64 s[4:5], s[4:5], -1
	s_or_b64 s[0:1], s[4:5], s[0:1]
	s_and_b64 vcc, exec, s[0:1]
	s_cbranch_vccnz .LBB114_56
; %bb.54:
	s_ashr_i32 s7, s6, 31
	s_lshl_b64 s[0:1], s[6:7], 2
	s_add_u32 s0, s3, s0
	s_addc_u32 s1, s8, s1
	s_load_dword s1, s[0:1], 0x30
	s_waitcnt lgkmcnt(0)
	s_mul_hi_u32 s0, s1, s19
	s_add_i32 s0, s1, s0
	s_lshr_b32 s0, s0, s24
	s_cmp_ge_i32 s0, s13
	s_cbranch_scc1 .LBB114_56
; %bb.55:
	v_add_u32_e32 v3, 0x60, v3
	ds_read2st64_b32 v[0:1], v3 offset0:72 offset1:73
	ds_read2st64_b32 v[4:5], v3 offset0:74 offset1:75
	ds_read2st64_b32 v[6:7], v3 offset0:76 offset1:77
	s_mul_i32 s3, s0, s25
	s_sub_i32 s1, s1, s3
	s_mul_i32 s1, s1, s2
	s_waitcnt lgkmcnt(2)
	v_add_f32_e32 v0, 0, v0
	v_add_f32_e32 v0, v0, v1
	s_waitcnt lgkmcnt(1)
	v_add_f32_e32 v0, v0, v4
	v_add_f32_e32 v0, v0, v5
	s_mul_i32 s0, s0, s21
	s_waitcnt lgkmcnt(0)
	v_add_f32_e32 v0, v0, v6
	s_add_i32 s1, s1, s0
	v_add_f32_e32 v3, v0, v7
	v_add_u32_e32 v0, s1, v2
	v_mov_b32_e32 v1, 0
	v_readlane_b32 s0, v119, 2
	v_lshlrev_b64 v[0:1], 2, v[0:1]
	v_readlane_b32 s1, v119, 3
	v_mov_b32_e32 v2, s1
	v_add_co_u32_e32 v0, vcc, s0, v0
	v_addc_co_u32_e32 v1, vcc, v2, v1, vcc
	global_store_dword v[0:1], v3, off
.LBB114_56:
	s_endpgm
	.section	.rodata,"a",@progbits
	.p2align	6, 0x0
	.amdhsa_kernel _ZL13mul_mat_f_idsI7__half2Li64ELi13ELi6EEvPKT_PKfPKiS7_S7_Pfiiiiiiiiiiiiii15HIP_vector_typeIjLj3EESA_
		.amdhsa_group_segment_fixed_size 0
		.amdhsa_private_segment_fixed_size 0
		.amdhsa_kernarg_size 128
		.amdhsa_user_sgpr_count 6
		.amdhsa_user_sgpr_private_segment_buffer 1
		.amdhsa_user_sgpr_dispatch_ptr 0
		.amdhsa_user_sgpr_queue_ptr 0
		.amdhsa_user_sgpr_kernarg_segment_ptr 1
		.amdhsa_user_sgpr_dispatch_id 0
		.amdhsa_user_sgpr_flat_scratch_init 0
		.amdhsa_user_sgpr_kernarg_preload_length 0
		.amdhsa_user_sgpr_kernarg_preload_offset 0
		.amdhsa_user_sgpr_private_segment_size 0
		.amdhsa_uses_dynamic_stack 0
		.amdhsa_system_sgpr_private_segment_wavefront_offset 0
		.amdhsa_system_sgpr_workgroup_id_x 1
		.amdhsa_system_sgpr_workgroup_id_y 1
		.amdhsa_system_sgpr_workgroup_id_z 1
		.amdhsa_system_sgpr_workgroup_info 0
		.amdhsa_system_vgpr_workitem_id 1
		.amdhsa_next_free_vgpr 120
		.amdhsa_next_free_sgpr 96
		.amdhsa_accum_offset 120
		.amdhsa_reserve_vcc 1
		.amdhsa_reserve_flat_scratch 0
		.amdhsa_float_round_mode_32 0
		.amdhsa_float_round_mode_16_64 0
		.amdhsa_float_denorm_mode_32 3
		.amdhsa_float_denorm_mode_16_64 3
		.amdhsa_dx10_clamp 1
		.amdhsa_ieee_mode 1
		.amdhsa_fp16_overflow 0
		.amdhsa_tg_split 0
		.amdhsa_exception_fp_ieee_invalid_op 0
		.amdhsa_exception_fp_denorm_src 0
		.amdhsa_exception_fp_ieee_div_zero 0
		.amdhsa_exception_fp_ieee_overflow 0
		.amdhsa_exception_fp_ieee_underflow 0
		.amdhsa_exception_fp_ieee_inexact 0
		.amdhsa_exception_int_div_zero 0
	.end_amdhsa_kernel
	.section	.text._ZL13mul_mat_f_idsI7__half2Li64ELi13ELi6EEvPKT_PKfPKiS7_S7_Pfiiiiiiiiiiiiii15HIP_vector_typeIjLj3EESA_,"axG",@progbits,_ZL13mul_mat_f_idsI7__half2Li64ELi13ELi6EEvPKT_PKfPKiS7_S7_Pfiiiiiiiiiiiiii15HIP_vector_typeIjLj3EESA_,comdat
.Lfunc_end114:
	.size	_ZL13mul_mat_f_idsI7__half2Li64ELi13ELi6EEvPKT_PKfPKiS7_S7_Pfiiiiiiiiiiiiii15HIP_vector_typeIjLj3EESA_, .Lfunc_end114-_ZL13mul_mat_f_idsI7__half2Li64ELi13ELi6EEvPKT_PKfPKiS7_S7_Pfiiiiiiiiiiiiii15HIP_vector_typeIjLj3EESA_
                                        ; -- End function
	.section	.AMDGPU.csdata,"",@progbits
; Kernel info:
; codeLenInByte = 7524
; NumSgprs: 100
; NumVgprs: 120
; NumAgprs: 0
; TotalNumVgprs: 120
; ScratchSize: 0
; MemoryBound: 0
; FloatMode: 240
; IeeeMode: 1
; LDSByteSize: 0 bytes/workgroup (compile time only)
; SGPRBlocks: 12
; VGPRBlocks: 14
; NumSGPRsForWavesPerEU: 100
; NumVGPRsForWavesPerEU: 120
; AccumOffset: 120
; Occupancy: 4
; WaveLimiterHint : 1
; COMPUTE_PGM_RSRC2:SCRATCH_EN: 0
; COMPUTE_PGM_RSRC2:USER_SGPR: 6
; COMPUTE_PGM_RSRC2:TRAP_HANDLER: 0
; COMPUTE_PGM_RSRC2:TGID_X_EN: 1
; COMPUTE_PGM_RSRC2:TGID_Y_EN: 1
; COMPUTE_PGM_RSRC2:TGID_Z_EN: 1
; COMPUTE_PGM_RSRC2:TIDIG_COMP_CNT: 1
; COMPUTE_PGM_RSRC3_GFX90A:ACCUM_OFFSET: 29
; COMPUTE_PGM_RSRC3_GFX90A:TG_SPLIT: 0
	.section	.text._ZL9mul_mat_fI7__half2Li64ELi13ELi6ELb1EEvPKT_PKfPKiPfiiiiiiiiiiiiiiii,"axG",@progbits,_ZL9mul_mat_fI7__half2Li64ELi13ELi6ELb1EEvPKT_PKfPKiPfiiiiiiiiiiiiiiii,comdat
	.globl	_ZL9mul_mat_fI7__half2Li64ELi13ELi6ELb1EEvPKT_PKfPKiPfiiiiiiiiiiiiiiii ; -- Begin function _ZL9mul_mat_fI7__half2Li64ELi13ELi6ELb1EEvPKT_PKfPKiPfiiiiiiiiiiiiiiii
	.p2align	8
	.type	_ZL9mul_mat_fI7__half2Li64ELi13ELi6ELb1EEvPKT_PKfPKiPfiiiiiiiiiiiiiiii,@function
_ZL9mul_mat_fI7__half2Li64ELi13ELi6ELb1EEvPKT_PKfPKiPfiiiiiiiiiiiiiiii: ; @_ZL9mul_mat_fI7__half2Li64ELi13ELi6ELb1EEvPKT_PKfPKiPfiiiiiiiiiiiiiiii
; %bb.0:
	s_load_dwordx8 s[16:23], s[4:5], 0x20
	v_and_b32_e32 v16, 0x3ff, v0
	v_bfe_u32 v17, v0, 10, 10
	v_cmp_eq_u32_e32 vcc, 0, v16
	s_waitcnt lgkmcnt(0)
	s_add_i32 s0, s17, 12
	s_mul_hi_i32 s0, s0, 0x4ec4ec4f
	s_lshr_b32 s1, s0, 31
	s_ashr_i32 s0, s0, 2
	s_add_i32 s0, s0, s1
	v_cvt_f32_u32_e32 v1, s0
	s_load_dwordx4 s[24:27], s[4:5], 0x44
	s_load_dword s1, s[4:5], 0x64
	s_add_u32 s34, s4, 0x60
	s_addc_u32 s35, s5, 0
	v_rcp_iflag_f32_e32 v1, v1
	s_sub_i32 s2, 0, s0
	v_mul_f32_e32 v1, 0x4f7ffffe, v1
	v_cvt_u32_f32_e32 v1, v1
	v_readfirstlane_b32 s3, v1
	s_mul_i32 s2, s2, s3
	s_mul_hi_u32 s2, s3, s2
	s_add_i32 s3, s3, s2
	s_waitcnt lgkmcnt(0)
	s_mul_hi_u32 s2, s1, s3
	s_mul_i32 s3, s2, s0
	s_sub_i32 s1, s1, s3
	s_add_i32 s9, s2, 1
	s_sub_i32 s3, s1, s0
	s_cmp_ge_u32 s1, s0
	s_cselect_b32 s2, s9, s2
	s_cselect_b32 s1, s3, s1
	s_add_i32 s3, s2, 1
	s_cmp_ge_u32 s1, s0
	s_cselect_b32 s10, s3, s2
	v_cvt_f32_u32_e32 v1, s10
	s_abs_i32 s40, s27
	v_cvt_f32_u32_e32 v2, s40
	s_load_dwordx2 s[0:1], s[4:5], 0x10
	v_rcp_iflag_f32_e32 v1, v1
	s_sub_i32 s2, 0, s10
	v_rcp_iflag_f32_e32 v2, v2
	v_mul_f32_e32 v1, 0x4f7ffffe, v1
	v_cvt_u32_f32_e32 v1, v1
	v_mul_f32_e32 v2, 0x4f7ffffe, v2
	v_cvt_u32_f32_e32 v2, v2
	v_readfirstlane_b32 s3, v1
	s_mul_i32 s2, s2, s3
	s_mul_hi_u32 s2, s3, s2
	s_add_i32 s3, s3, s2
	v_readfirstlane_b32 s9, v2
	s_mul_hi_u32 s11, s7, s3
	s_and_saveexec_b64 s[2:3], vcc
	s_cbranch_execz .LBB115_2
; %bb.1:
	v_mov_b32_e32 v1, 0x100
	v_lshl_add_u32 v1, v17, 2, v1
	v_mov_b32_e32 v2, -1
	ds_write_b32 v1, v2
.LBB115_2:
	s_or_b64 exec, exec, s[2:3]
	s_mul_i32 s2, s11, s10
	s_sub_i32 s2, s7, s2
	s_add_i32 s3, s11, 1
	s_sub_i32 s12, s2, s10
	s_cmp_ge_u32 s2, s10
	s_cselect_b32 s3, s3, s11
	s_cselect_b32 s2, s12, s2
	s_add_i32 s11, s3, 1
	s_cmp_ge_u32 s2, s10
	s_cselect_b32 s2, s11, s3
	s_mul_i32 s3, s2, s10
	s_mul_i32 s52, s2, 13
	s_sub_i32 s7, s7, s3
	s_mul_hi_i32 s3, s52, s23
	s_mul_i32 s2, s52, s23
	s_lshl_b64 s[2:3], s[2:3], 2
	s_waitcnt lgkmcnt(0)
	s_add_u32 s33, s0, s2
	v_add_u32_e32 v1, s52, v17
	s_addc_u32 s1, s1, s3
	v_cmp_gt_i32_e64 s[10:11], s18, v16
	v_cmp_gt_i32_e64 s[42:43], s17, v1
	v_mov_b32_e32 v1, 0
	s_and_saveexec_b64 s[14:15], s[42:43]
	s_cbranch_execz .LBB115_10
; %bb.3:
	v_mov_b32_e32 v1, 0
	s_and_saveexec_b64 s[28:29], s[10:11]
	s_cbranch_execz .LBB115_9
; %bb.4:
	v_mul_lo_u32 v2, v17, s23
	v_ashrrev_i32_e32 v3, 31, v2
	v_lshlrev_b64 v[2:3], 2, v[2:3]
	v_mov_b32_e32 v1, s1
	v_add_co_u32_e64 v4, s[2:3], s33, v2
	v_addc_co_u32_e64 v5, s[2:3], v1, v3, s[2:3]
	v_mov_b32_e32 v1, 0x100
	v_lshl_add_u32 v6, v17, 2, v1
	v_mul_lo_u32 v2, v16, s22
	s_lshl_b32 s0, s22, 6
	s_mov_b64 s[30:31], 0
	v_mov_b32_e32 v1, 0
	v_mov_b32_e32 v7, v16
	s_branch .LBB115_6
.LBB115_5:                              ;   in Loop: Header=BB115_6 Depth=1
	s_or_b64 exec, exec, s[36:37]
	v_add_u32_e32 v7, 64, v7
	v_cmp_le_i32_e64 s[12:13], s18, v7
	s_xor_b64 s[2:3], s[2:3], -1
	s_or_b64 s[2:3], s[2:3], s[12:13]
	s_and_b64 s[2:3], exec, s[2:3]
	s_or_b64 s[30:31], s[2:3], s[30:31]
	v_add_u32_e32 v2, s0, v2
	s_andn2_b64 exec, exec, s[30:31]
	s_cbranch_execz .LBB115_8
.LBB115_6:                              ; =>This Inner Loop Header: Depth=1
	v_ashrrev_i32_e32 v3, 31, v2
	v_lshlrev_b64 v[8:9], 2, v[2:3]
	v_add_co_u32_e64 v8, s[2:3], v4, v8
	v_addc_co_u32_e64 v9, s[2:3], v5, v9, s[2:3]
	global_load_dword v3, v[8:9], off
	s_waitcnt vmcnt(0)
	v_cmp_ne_u32_e64 s[2:3], s7, v3
	v_cmp_eq_u32_e64 s[12:13], s7, v3
	s_and_saveexec_b64 s[36:37], s[12:13]
	s_cbranch_execz .LBB115_5
; %bb.7:                                ;   in Loop: Header=BB115_6 Depth=1
	v_mov_b32_e32 v1, 1
	ds_write_b32 v6, v7
	s_branch .LBB115_5
.LBB115_8:
	s_or_b64 exec, exec, s[30:31]
.LBB115_9:
	s_or_b64 exec, exec, s[28:29]
.LBB115_10:
	s_or_b64 exec, exec, s[14:15]
	s_sub_i32 s0, 0, s40
	s_and_saveexec_b64 s[2:3], vcc
	s_cbranch_execz .LBB115_12
; %bb.11:
	v_mov_b32_e32 v2, 0x100
	v_lshl_add_u32 v2, v17, 2, v2
	v_mov_b32_e32 v3, -1
	ds_write_b32 v2, v3 offset:24
.LBB115_12:
	s_or_b64 exec, exec, s[2:3]
	v_add_u32_e32 v88, 6, v17
	s_mul_i32 s0, s0, s9
	v_add_u32_e32 v2, s52, v88
	v_cmp_gt_i32_e64 s[2:3], s17, v2
	s_mov_b64 s[28:29], exec
                                        ; implicit-def: $vgpr104 : SGPR spill to VGPR lane
	v_writelane_b32 v104, s2, 0
	v_writelane_b32 v104, s3, 1
	s_and_b64 s[2:3], s[28:29], s[2:3]
	s_mov_b64 exec, s[2:3]
	s_cbranch_execz .LBB115_20
; %bb.13:
	s_and_saveexec_b64 s[30:31], s[10:11]
	s_cbranch_execz .LBB115_19
; %bb.14:
	v_mul_lo_u32 v2, v88, s23
	v_ashrrev_i32_e32 v3, 31, v2
	v_lshlrev_b64 v[2:3], 2, v[2:3]
	v_mov_b32_e32 v5, s1
	v_add_co_u32_e64 v4, s[12:13], s33, v2
	v_mov_b32_e32 v2, 0x100
	v_addc_co_u32_e64 v5, s[12:13], v5, v3, s[12:13]
	v_lshl_add_u32 v6, v17, 2, v2
	v_mul_lo_u32 v2, v16, s22
	s_lshl_b32 s2, s22, 6
	s_mov_b64 s[36:37], 0
	v_mov_b32_e32 v7, v16
	s_branch .LBB115_16
.LBB115_15:                             ;   in Loop: Header=BB115_16 Depth=1
	s_or_b64 exec, exec, s[38:39]
	v_add_u32_e32 v7, 64, v7
	v_cmp_le_i32_e64 s[14:15], s18, v7
	s_xor_b64 s[12:13], s[12:13], -1
	s_or_b64 s[12:13], s[12:13], s[14:15]
	s_and_b64 s[12:13], exec, s[12:13]
	s_or_b64 s[36:37], s[12:13], s[36:37]
	v_add_u32_e32 v2, s2, v2
	s_andn2_b64 exec, exec, s[36:37]
	s_cbranch_execz .LBB115_18
.LBB115_16:                             ; =>This Inner Loop Header: Depth=1
	v_ashrrev_i32_e32 v3, 31, v2
	v_lshlrev_b64 v[8:9], 2, v[2:3]
	v_add_co_u32_e64 v8, s[12:13], v4, v8
	v_addc_co_u32_e64 v9, s[12:13], v5, v9, s[12:13]
	global_load_dword v3, v[8:9], off
	s_waitcnt vmcnt(0)
	v_cmp_ne_u32_e64 s[12:13], s7, v3
	v_cmp_eq_u32_e64 s[14:15], s7, v3
	s_and_saveexec_b64 s[38:39], s[14:15]
	s_cbranch_execz .LBB115_15
; %bb.17:                               ;   in Loop: Header=BB115_16 Depth=1
	v_mov_b32_e32 v1, 1
	ds_write_b32 v6, v7 offset:24
	s_branch .LBB115_15
.LBB115_18:
	s_or_b64 exec, exec, s[36:37]
.LBB115_19:
	s_or_b64 exec, exec, s[30:31]
.LBB115_20:
	s_or_b64 exec, exec, s[28:29]
	s_mul_hi_u32 s2, s9, s0
	s_and_saveexec_b64 s[12:13], vcc
	s_cbranch_execz .LBB115_22
; %bb.21:
	v_mov_b32_e32 v2, 0x100
	v_lshl_add_u32 v2, v17, 2, v2
	v_mov_b32_e32 v3, -1
	ds_write_b32 v2, v3 offset:48
.LBB115_22:
	s_or_b64 exec, exec, s[12:13]
	s_load_dwordx4 s[28:31], s[4:5], 0x54
	v_add_u32_e32 v89, 12, v17
	s_abs_i32 s0, s8
	s_add_i32 s9, s9, s2
	v_add_u32_e32 v2, s52, v89
	v_cmp_gt_i32_e64 s[2:3], s17, v2
	s_mov_b64 s[14:15], exec
	v_writelane_b32 v104, s2, 2
	v_writelane_b32 v104, s3, 3
	s_and_b64 s[2:3], s[14:15], s[2:3]
	s_mov_b64 exec, s[2:3]
	s_cbranch_execz .LBB115_30
; %bb.23:
	s_and_saveexec_b64 s[36:37], s[10:11]
	s_cbranch_execz .LBB115_29
; %bb.24:
	v_mul_lo_u32 v2, v89, s23
	v_ashrrev_i32_e32 v3, 31, v2
	v_lshlrev_b64 v[2:3], 2, v[2:3]
	v_mov_b32_e32 v5, s1
	v_add_co_u32_e32 v4, vcc, s33, v2
	v_mov_b32_e32 v2, 0x100
	v_addc_co_u32_e32 v5, vcc, v5, v3, vcc
	v_lshl_add_u32 v6, v17, 2, v2
	v_mul_lo_u32 v2, v16, s22
	s_lshl_b32 s1, s22, 6
	s_mov_b64 s[22:23], 0
	v_mov_b32_e32 v7, v16
	s_branch .LBB115_26
.LBB115_25:                             ;   in Loop: Header=BB115_26 Depth=1
	s_or_b64 exec, exec, s[38:39]
	v_add_u32_e32 v7, 64, v7
	v_cmp_le_i32_e64 s[10:11], s18, v7
	s_xor_b64 s[2:3], vcc, -1
	s_or_b64 s[2:3], s[2:3], s[10:11]
	s_and_b64 s[2:3], exec, s[2:3]
	s_or_b64 s[22:23], s[2:3], s[22:23]
	v_add_u32_e32 v2, s1, v2
	s_andn2_b64 exec, exec, s[22:23]
	s_cbranch_execz .LBB115_28
.LBB115_26:                             ; =>This Inner Loop Header: Depth=1
	v_ashrrev_i32_e32 v3, 31, v2
	v_lshlrev_b64 v[8:9], 2, v[2:3]
	v_add_co_u32_e32 v8, vcc, v4, v8
	v_addc_co_u32_e32 v9, vcc, v5, v9, vcc
	global_load_dword v3, v[8:9], off
	s_waitcnt vmcnt(0)
	v_cmp_ne_u32_e32 vcc, s7, v3
	v_cmp_eq_u32_e64 s[10:11], s7, v3
	s_and_saveexec_b64 s[38:39], s[10:11]
	s_cbranch_execz .LBB115_25
; %bb.27:                               ;   in Loop: Header=BB115_26 Depth=1
	v_mov_b32_e32 v1, 1
	ds_write_b32 v6, v7 offset:48
	s_branch .LBB115_25
.LBB115_28:
	s_or_b64 exec, exec, s[22:23]
.LBB115_29:
	s_or_b64 exec, exec, s[36:37]
.LBB115_30:
	s_or_b64 exec, exec, s[14:15]
	s_load_dwordx2 s[2:3], s[34:35], 0xc
	s_load_dwordx4 s[36:39], s[4:5], 0x0
	s_load_dwordx2 s[10:11], s[4:5], 0x18
	v_cmp_ne_u32_e32 vcc, 0, v1
	v_cndmask_b32_e64 v1, 0, 1, vcc
                                        ; kill: killed $sgpr4 killed $sgpr5
	s_waitcnt lgkmcnt(0)
	s_and_b32 s5, s3, 0xffff
	s_lshr_b32 s4, s2, 16
	v_or_b32_dpp v1, v1, v1 row_shl:1 row_mask:0xf bank_mask:0xf bound_ctrl:1
	s_and_b32 s3, s2, 0xffff
	s_mul_i32 s2, s4, s3
	v_or_b32_dpp v1, v1, v1 row_shl:2 row_mask:0xf bank_mask:0xf bound_ctrl:1
	s_bfe_i32 s2, s2, 0x180000
	s_mul_i32 s2, s2, s5
	v_or_b32_dpp v1, v1, v1 row_shl:4 row_mask:0xf bank_mask:0xf bound_ctrl:1
	s_add_i32 s5, s2, 63
	s_bitcmp1_b32 exec_hi, 0
	v_or_b32_dpp v1, v1, v1 row_shl:8 row_mask:0xf bank_mask:0xf bound_ctrl:1
	s_mul_hi_u32 s1, s0, s9
	v_writelane_b32 v104, s10, 4
	v_mov_b32_dpp v2, v1 wave_shl:1 row_mask:0xf bank_mask:0xf bound_ctrl:1
	v_writelane_b32 v104, s11, 5
                                        ; kill: killed $sgpr34 killed $sgpr35
	s_nop 0
	v_or_b32_dpp v1, v2, v1 row_mirror row_mask:0xf bank_mask:0xf bound_ctrl:1
	v_readlane_b32 s2, v1, 32
	s_cselect_b32 s2, s2, 0
	v_readlane_b32 s9, v1, 0
	s_or_b32 s2, s2, s9
	s_andn2_b32 s5, s5, 63
	s_cmp_lg_u32 s5, 64
	v_mov_b32_e32 v1, s2
	s_cbranch_scc0 .LBB115_37
; %bb.31:
	v_bfe_u32 v0, v0, 20, 10
	v_mbcnt_lo_u32_b32 v1, -1, 0
	v_mad_u32_u24 v0, v0, s4, v17
	v_mbcnt_hi_u32_b32 v2, -1, v1
	v_mad_u64_u32 v[0:1], s[4:5], v0, s3, v[16:17]
	v_lshrrev_b32_e32 v1, 6, v0
	v_or_b32_e32 v1, v2, v1
	v_cmp_eq_u32_e32 vcc, 0, v1
	s_and_saveexec_b64 s[4:5], vcc
	s_cbranch_execz .LBB115_33
; %bb.32:
	v_mov_b32_e32 v1, 0
	v_mov_b32_e32 v3, s2
	ds_write_b32 v1, v3
.LBB115_33:
	s_or_b64 exec, exec, s[4:5]
	v_cmp_eq_u32_e32 vcc, 0, v2
	v_cmp_lt_u32_e64 s[4:5], 63, v0
	s_and_b64 s[10:11], s[4:5], vcc
	s_waitcnt lgkmcnt(0)
	s_barrier
	s_and_saveexec_b64 s[4:5], s[10:11]
	s_cbranch_execz .LBB115_36
; %bb.34:
	v_mbcnt_lo_u32_b32 v0, exec_lo, 0
	v_mbcnt_hi_u32_b32 v0, exec_hi, v0
	v_cmp_eq_u32_e32 vcc, 0, v0
	s_and_b64 exec, exec, vcc
	s_cbranch_execz .LBB115_36
; %bb.35:
	v_mov_b32_e32 v0, 0
	v_mov_b32_e32 v1, s2
	ds_or_b32 v0, v1
.LBB115_36:
	s_or_b64 exec, exec, s[4:5]
	v_mov_b32_e32 v0, 0
	s_waitcnt lgkmcnt(0)
	s_barrier
	ds_read_b32 v1, v0
	s_waitcnt lgkmcnt(0)
	s_barrier
.LBB115_37:
	v_cmp_ne_u32_e32 vcc, 0, v1
	s_ashr_i32 s2, s8, 31
	s_ashr_i32 s3, s27, 31
	s_cbranch_vccz .LBB115_94
; %bb.38:
	v_lshlrev_b32_e32 v90, 6, v17
	v_add_u32_e32 v92, v90, v16
	v_cmp_le_i32_e32 vcc, s16, v92
	v_and_b32_e32 v91, 15, v16
                                        ; implicit-def: $sgpr9
	s_and_saveexec_b64 s[4:5], vcc
	s_xor_b64 s[4:5], exec, s[4:5]
; %bb.39:
	v_and_b32_e32 v91, 15, v16
	s_mov_b32 s9, 0
                                        ; implicit-def: $vgpr92
; %bb.40:
	s_or_saveexec_b64 s[4:5], s[4:5]
	s_lshl_b32 s6, s6, 6
	v_mov_b32_e32 v11, s9
	v_mov_b32_e32 v10, s9
	;; [unrolled: 1-line block ×16, first 2 shown]
	v_writelane_b32 v104, s4, 6
	v_writelane_b32 v104, s5, 7
	s_xor_b64 exec, exec, s[4:5]
	s_cbranch_execz .LBB115_83
; %bb.41:
	s_xor_b32 s2, s2, s3
	s_mul_i32 s3, s1, s40
	s_sub_i32 s0, s0, s3
	s_add_i32 s3, s1, 1
	s_sub_i32 s4, s0, s40
	s_cmp_ge_u32 s0, s40
	s_cselect_b32 s1, s3, s1
	s_cselect_b32 s0, s4, s0
	s_add_i32 s3, s1, 1
	s_cmp_ge_u32 s0, s40
	s_cselect_b32 s0, s3, s1
	s_xor_b32 s0, s0, s2
	s_sub_i32 s0, s0, s2
	s_mul_hi_i32 s1, s0, s28
	s_mul_i32 s0, s0, s28
	s_mul_i32 s2, s7, s24
	v_writelane_b32 v104, s42, 8
	s_ashr_i32 s3, s2, 31
	s_lshl_b64 s[0:1], s[0:1], 2
	v_writelane_b32 v104, s43, 9
	s_add_u32 s5, s36, s0
	v_writelane_b32 v104, s6, 10
	s_mul_i32 s4, s6, s19
	s_addc_u32 s6, s37, s1
	s_lshl_b64 s[2:3], s[2:3], 2
	s_add_u32 s7, s5, s2
	s_addc_u32 s6, s6, s3
	s_ashr_i32 s5, s4, 31
	s_lshl_b64 s[4:5], s[4:5], 2
	s_add_u32 s24, s7, s4
	s_addc_u32 s10, s6, s5
	s_movk_i32 s6, 0x1080
	v_mov_b32_e32 v93, 0x100
	v_writelane_b32 v104, s8, 11
	v_mad_u32_u24 v0, v17, s6, v93
	s_mul_hi_i32 s7, s29, s8
	v_writelane_b32 v104, s28, 12
	s_mul_i32 s6, s29, s8
	s_mul_hi_i32 s9, s20, s52
	s_mul_i32 s8, s20, s52
	s_lshl_b64 s[8:9], s[8:9], 3
	s_lshl_b64 s[6:7], s[6:7], 2
	v_writelane_b32 v104, s29, 13
	s_add_u32 s6, s38, s6
	v_writelane_b32 v104, s30, 14
	s_addc_u32 s7, s39, s7
	v_writelane_b32 v104, s31, 15
	s_add_u32 s31, s6, s8
	s_addc_u32 s33, s7, s9
	s_cmp_lt_i32 s52, s17
	s_cselect_b64 s[6:7], -1, 0
	s_add_i32 s8, s52, 1
	s_cmp_lt_i32 s8, s17
	s_cselect_b64 s[14:15], -1, 0
	s_add_i32 s8, s52, 2
	s_cmp_lt_i32 s8, s17
	s_cselect_b64 s[22:23], -1, 0
	s_lshl_b32 s8, s20, 2
	v_writelane_b32 v104, s8, 16
	s_add_i32 s8, s52, 3
	s_cmp_lt_i32 s8, s17
	s_cselect_b64 s[28:29], -1, 0
	s_add_i32 s8, s52, 4
	s_cmp_lt_i32 s8, s17
	s_cselect_b64 s[34:35], -1, 0
	s_lshl_b32 s8, s20, 3
	v_writelane_b32 v104, s8, 17
	s_add_i32 s8, s52, 5
	s_cmp_lt_i32 s8, s17
	s_cselect_b64 s[38:39], -1, 0
	s_add_i32 s8, s52, 6
	s_cmp_lt_i32 s8, s17
	s_mul_i32 s8, s20, 6
	s_cselect_b64 s[40:41], -1, 0
	v_writelane_b32 v104, s8, 18
	s_add_i32 s8, s52, 7
	s_cmp_lt_i32 s8, s17
	s_cselect_b64 s[42:43], -1, 0
	s_add_i32 s8, s52, 8
	s_cmp_lt_i32 s8, s17
	s_cselect_b64 s[44:45], -1, 0
	s_lshl_b32 s8, s20, 4
	v_writelane_b32 v104, s8, 19
	s_add_i32 s8, s52, 9
	s_cmp_lt_i32 s8, s17
	s_cselect_b64 s[46:47], -1, 0
	s_add_i32 s8, s52, 10
	s_cmp_lt_i32 s8, s17
	s_mul_i32 s8, s20, 10
	s_cselect_b64 s[48:49], -1, 0
	v_writelane_b32 v104, s8, 20
	s_add_i32 s8, s52, 11
	s_cmp_lt_i32 s8, s17
	s_cselect_b64 s[50:51], -1, 0
	s_add_i32 s8, s52, 12
	v_writelane_b32 v104, s52, 21
	s_cmp_lt_i32 s8, s17
	s_mul_i32 s8, s20, 12
	s_cselect_b64 s[52:53], -1, 0
	v_writelane_b32 v104, s8, 22
	s_ashr_i32 s9, s19, 31
	s_mov_b32 s8, s19
	s_lshl_b64 s[54:55], s[8:9], 2
	s_add_u32 s0, s0, s4
	v_lshrrev_b32_e32 v2, 1, v16
	s_addc_u32 s1, s1, s5
	v_mul_u32_u24_e32 v1, 0x108, v91
	v_and_b32_e32 v2, 0x1f8, v2
	s_add_u32 s0, s0, s2
	v_lshl_add_u32 v94, v16, 2, v0
	v_add3_u32 v95, v0, v1, v2
	v_lshlrev_b32_e32 v0, 1, v16
	s_addc_u32 s1, s1, s3
	v_lshl_add_u32 v96, v17, 7, v0
	v_lshlrev_b32_e32 v0, 2, v92
	s_add_u32 s0, s36, s0
	v_add_co_u32_e32 v18, vcc, s0, v0
	s_mul_i32 s0, s20, 24
	v_writelane_b32 v104, s0, 23
	s_mul_i32 s0, s20, 22
	v_writelane_b32 v104, s0, 24
	;; [unrolled: 2-line block ×4, first 2 shown]
	s_mul_i32 s0, s20, 14
	s_addc_u32 s1, s37, s1
	v_writelane_b32 v104, s0, 27
	s_lshl_b32 s0, s20, 1
	v_writelane_b32 v104, s0, 28
	s_mul_i32 s0, s19, 3
	v_writelane_b32 v104, s0, 29
	s_mul_i32 s0, s19, 5
	v_mov_b32_e32 v1, s1
	v_writelane_b32 v104, s0, 30
	s_mul_i32 s0, s19, 6
	v_mov_b32_e32 v98, 0
	v_addc_co_u32_e32 v19, vcc, 0, v1, vcc
	s_lshl_b32 s64, s19, 1
	s_lshl_b32 s66, s19, 2
	v_writelane_b32 v104, s0, 31
	s_mul_i32 s69, s19, 7
	s_lshl_b32 s70, s19, 3
	s_mul_i32 s71, s19, 9
	s_mul_i32 s72, s19, 10
	;; [unrolled: 1-line block ×7, first 2 shown]
	s_lshl_b32 s78, s19, 4
	v_mov_b32_e32 v97, s10
	s_mul_i32 s79, s19, 17
	v_mov_b32_e32 v99, s55
	v_mov_b32_e32 v12, 0
	;; [unrolled: 1-line block ×17, first 2 shown]
	s_mul_i32 s55, s19, 18
	s_mul_i32 s80, s19, 19
	;; [unrolled: 1-line block ×14, first 2 shown]
	s_lshl_b32 s93, s19, 5
	s_mul_i32 s94, s19, 33
	s_mul_i32 s95, s19, 34
	;; [unrolled: 1-line block ×31, first 2 shown]
	s_mov_b64 s[18:19], 0
	s_branch .LBB115_43
.LBB115_42:                             ;   in Loop: Header=BB115_43 Depth=1
	s_waitcnt vmcnt(0)
	v_cvt_f16_f32_e32 v84, v84
	v_cvt_f16_f32_e32 v85, v85
	v_add_u32_e32 v86, 0xc00, v94
	ds_write2_b32 v86, v98, v98 offset0:172 offset1:238
	v_add_co_u32_e32 v18, vcc, 0x600, v18
	v_pack_b32_f16 v84, v84, v85
	ds_write2_b32 v86, v84, v98 offset0:40 offset1:106
	ds_read2_b64 v[84:87], v95 offset0:8 offset1:12
	v_add_u32_e32 v92, 0x180, v92
	v_addc_co_u32_e32 v19, vcc, 0, v19, vcc
	s_waitcnt lgkmcnt(0)
	v_mfma_f32_16x16x16f16 v[8:11], v[36:37], v[84:85], v[8:11]
	v_cmp_le_i32_e32 vcc, s16, v92
	v_add_u32_e32 v96, 0x300, v96
	s_or_b64 s[18:19], vcc, s[18:19]
	v_mfma_f32_16x16x16f16 v[4:7], v[52:53], v[84:85], v[4:7]
	v_mfma_f32_16x16x16f16 v[0:3], v[66:67], v[84:85], v[0:3]
	;; [unrolled: 1-line block ×5, first 2 shown]
	ds_read2_b64 v[50:53], v95 offset0:16 offset1:20
	v_mfma_f32_16x16x16f16 v[0:3], v[64:65], v[86:87], v[0:3]
	v_mfma_f32_16x16x16f16 v[12:15], v[80:81], v[86:87], v[12:15]
	s_waitcnt lgkmcnt(0)
	v_mfma_f32_16x16x16f16 v[8:11], v[30:31], v[50:51], v[8:11]
	v_mfma_f32_16x16x16f16 v[4:7], v[46:47], v[50:51], v[4:7]
	;; [unrolled: 1-line block ×5, first 2 shown]
	ds_read2_b64 v[28:31], v95 offset0:24 offset1:28
	v_mfma_f32_16x16x16f16 v[4:7], v[44:45], v[52:53], v[4:7]
	v_mfma_f32_16x16x16f16 v[0:3], v[60:61], v[52:53], v[0:3]
	;; [unrolled: 1-line block ×3, first 2 shown]
	s_waitcnt lgkmcnt(0)
	v_mfma_f32_16x16x16f16 v[8:11], v[26:27], v[28:29], v[8:11]
	v_mfma_f32_16x16x16f16 v[4:7], v[42:43], v[28:29], v[4:7]
	;; [unrolled: 1-line block ×5, first 2 shown]
	ds_read2_b64 v[24:27], v95 offset0:32 offset1:36
	v_mfma_f32_16x16x16f16 v[4:7], v[40:41], v[30:31], v[4:7]
	v_mfma_f32_16x16x16f16 v[0:3], v[56:57], v[30:31], v[0:3]
	;; [unrolled: 1-line block ×3, first 2 shown]
	s_waitcnt lgkmcnt(0)
	v_mfma_f32_16x16x16f16 v[8:11], v[22:23], v[24:25], v[8:11]
	v_mfma_f32_16x16x16f16 v[4:7], v[38:39], v[24:25], v[4:7]
	;; [unrolled: 1-line block ×8, first 2 shown]
	s_andn2_b64 exec, exec, s[18:19]
	s_cbranch_execz .LBB115_82
.LBB115_43:                             ; =>This Inner Loop Header: Depth=1
	v_add_co_u32_e32 v20, vcc, s54, v18
	v_addc_co_u32_e32 v21, vcc, v19, v99, vcc
	global_load_dword v32, v[18:19], off
	global_load_dword v33, v[20:21], off
	v_add_u32_e32 v20, s64, v92
	v_ashrrev_i32_e32 v21, 31, v20
	v_lshlrev_b64 v[20:21], 2, v[20:21]
	v_add_co_u32_e32 v20, vcc, s24, v20
	v_addc_co_u32_e32 v21, vcc, v97, v21, vcc
	v_readlane_b32 vcc_lo, v104, 29
	v_add_u32_e32 v22, vcc_lo, v92
	v_ashrrev_i32_e32 v23, 31, v22
	v_lshlrev_b64 v[22:23], 2, v[22:23]
	v_add_u32_e32 v24, s66, v92
	v_add_co_u32_e32 v22, vcc, s24, v22
	v_ashrrev_i32_e32 v25, 31, v24
	v_addc_co_u32_e32 v23, vcc, v97, v23, vcc
	v_lshlrev_b64 v[24:25], 2, v[24:25]
	v_add_co_u32_e32 v24, vcc, s24, v24
	v_addc_co_u32_e32 v25, vcc, v97, v25, vcc
	v_readlane_b32 vcc_lo, v104, 30
	v_add_u32_e32 v26, vcc_lo, v92
	v_ashrrev_i32_e32 v27, 31, v26
	v_lshlrev_b64 v[26:27], 2, v[26:27]
	v_add_co_u32_e32 v26, vcc, s24, v26
	v_addc_co_u32_e32 v27, vcc, v97, v27, vcc
	v_readlane_b32 vcc_lo, v104, 31
	v_add_u32_e32 v28, vcc_lo, v92
	v_ashrrev_i32_e32 v29, 31, v28
	v_lshlrev_b64 v[28:29], 2, v[28:29]
	v_add_u32_e32 v30, s69, v92
	v_add_co_u32_e32 v28, vcc, s24, v28
	v_ashrrev_i32_e32 v31, 31, v30
	v_addc_co_u32_e32 v29, vcc, v97, v29, vcc
	v_lshlrev_b64 v[30:31], 2, v[30:31]
	v_add_co_u32_e32 v30, vcc, s24, v30
	v_addc_co_u32_e32 v31, vcc, v97, v31, vcc
	global_load_dword v34, v[20:21], off
	global_load_dword v35, v[22:23], off
	;; [unrolled: 1-line block ×3, first 2 shown]
	s_nop 0
	global_load_dword v26, v[26:27], off
	s_nop 0
	global_load_dword v27, v[28:29], off
	;; [unrolled: 2-line block ×3, first 2 shown]
	v_add_u32_e32 v20, s70, v92
	v_ashrrev_i32_e32 v21, 31, v20
	v_add_u32_e32 v22, s71, v92
	v_lshlrev_b64 v[20:21], 2, v[20:21]
	v_ashrrev_i32_e32 v23, 31, v22
	v_add_co_u32_e32 v20, vcc, s24, v20
	v_add_u32_e32 v24, s72, v92
	v_lshlrev_b64 v[22:23], 2, v[22:23]
	v_addc_co_u32_e32 v21, vcc, v97, v21, vcc
	v_ashrrev_i32_e32 v25, 31, v24
	v_add_co_u32_e32 v22, vcc, s24, v22
	v_lshlrev_b64 v[24:25], 2, v[24:25]
	v_addc_co_u32_e32 v23, vcc, v97, v23, vcc
	global_load_dword v20, v[20:21], off
	s_nop 0
	global_load_dword v21, v[22:23], off
	v_add_u32_e32 v22, s73, v92
	v_add_co_u32_e32 v24, vcc, s24, v24
	v_ashrrev_i32_e32 v23, 31, v22
	v_addc_co_u32_e32 v25, vcc, v97, v25, vcc
	v_lshlrev_b64 v[22:23], 2, v[22:23]
	v_add_u32_e32 v60, s17, v92
	v_ashrrev_i32_e32 v61, 31, v60
	v_lshlrev_b64 v[60:61], 2, v[60:61]
	s_waitcnt vmcnt(9)
	ds_write_b32 v94, v32 offset:64
	s_waitcnt vmcnt(8)
	ds_write_b32 v94, v33 offset:328
	;; [unrolled: 2-line block ×8, first 2 shown]
	v_add_co_u32_e32 v26, vcc, s24, v22
	v_add_u32_e32 v22, s74, v92
	v_addc_co_u32_e32 v27, vcc, v97, v23, vcc
	v_ashrrev_i32_e32 v23, 31, v22
	v_lshlrev_b64 v[22:23], 2, v[22:23]
	v_add_co_u32_e32 v28, vcc, s24, v22
	v_add_u32_e32 v22, s75, v92
	v_addc_co_u32_e32 v29, vcc, v97, v23, vcc
	v_ashrrev_i32_e32 v23, 31, v22
	v_lshlrev_b64 v[22:23], 2, v[22:23]
	;; [unrolled: 5-line block ×6, first 2 shown]
	v_add_co_u32_e32 v38, vcc, s24, v22
	v_addc_co_u32_e32 v39, vcc, v97, v23, vcc
	global_load_dword v22, v[24:25], off
	global_load_dword v23, v[26:27], off
	s_nop 0
	global_load_dword v24, v[28:29], off
	global_load_dword v25, v[30:31], off
	;; [unrolled: 1-line block ×4, first 2 shown]
	s_nop 0
	global_load_dword v34, v[36:37], off
	global_load_dword v35, v[38:39], off
	v_add_u32_e32 v28, s55, v92
	v_ashrrev_i32_e32 v29, 31, v28
	v_lshlrev_b64 v[28:29], 2, v[28:29]
	v_add_u32_e32 v30, s80, v92
	v_add_co_u32_e32 v28, vcc, s24, v28
	v_ashrrev_i32_e32 v31, 31, v30
	v_addc_co_u32_e32 v29, vcc, v97, v29, vcc
	v_lshlrev_b64 v[30:31], 2, v[30:31]
	v_add_u32_e32 v32, s81, v92
	v_add_co_u32_e32 v30, vcc, s24, v30
	v_ashrrev_i32_e32 v33, 31, v32
	v_addc_co_u32_e32 v31, vcc, v97, v31, vcc
	;; [unrolled: 5-line block ×4, first 2 shown]
	v_lshlrev_b64 v[38:39], 2, v[38:39]
	v_add_co_u32_e32 v42, vcc, s24, v38
	v_add_u32_e32 v38, s84, v92
	v_addc_co_u32_e32 v43, vcc, v97, v39, vcc
	v_ashrrev_i32_e32 v39, 31, v38
	v_lshlrev_b64 v[38:39], 2, v[38:39]
	v_add_co_u32_e32 v44, vcc, s24, v38
	v_add_u32_e32 v38, s85, v92
	v_addc_co_u32_e32 v45, vcc, v97, v39, vcc
	v_ashrrev_i32_e32 v39, 31, v38
	;; [unrolled: 5-line block ×3, first 2 shown]
	v_lshlrev_b64 v[38:39], 2, v[38:39]
	v_add_co_u32_e32 v48, vcc, s24, v38
	v_addc_co_u32_e32 v49, vcc, v97, v39, vcc
	global_load_dword v38, v[28:29], off
	global_load_dword v39, v[30:31], off
	;; [unrolled: 1-line block ×4, first 2 shown]
	s_nop 0
	global_load_dword v42, v[42:43], off
	s_nop 0
	global_load_dword v43, v[44:45], off
	;; [unrolled: 2-line block ×3, first 2 shown]
	global_load_dword v45, v[48:49], off
	v_add_u32_e32 v28, s87, v92
	v_ashrrev_i32_e32 v29, 31, v28
	v_lshlrev_b64 v[28:29], 2, v[28:29]
	v_add_u32_e32 v30, s88, v92
	v_add_co_u32_e32 v28, vcc, s24, v28
	v_ashrrev_i32_e32 v31, 31, v30
	v_addc_co_u32_e32 v29, vcc, v97, v29, vcc
	v_lshlrev_b64 v[30:31], 2, v[30:31]
	v_add_u32_e32 v32, s89, v92
	v_add_co_u32_e32 v30, vcc, s24, v30
	v_ashrrev_i32_e32 v33, 31, v32
	v_addc_co_u32_e32 v31, vcc, v97, v31, vcc
	;; [unrolled: 5-line block ×4, first 2 shown]
	v_lshlrev_b64 v[46:47], 2, v[46:47]
	v_add_co_u32_e32 v48, vcc, s24, v46
	v_add_u32_e32 v46, s92, v92
	v_addc_co_u32_e32 v49, vcc, v97, v47, vcc
	v_ashrrev_i32_e32 v47, 31, v46
	v_lshlrev_b64 v[46:47], 2, v[46:47]
	v_add_co_u32_e32 v54, vcc, s24, v46
	v_add_u32_e32 v46, s93, v92
	v_addc_co_u32_e32 v55, vcc, v97, v47, vcc
	v_ashrrev_i32_e32 v47, 31, v46
	;; [unrolled: 5-line block ×3, first 2 shown]
	v_lshlrev_b64 v[46:47], 2, v[46:47]
	v_add_co_u32_e32 v58, vcc, s24, v46
	v_addc_co_u32_e32 v59, vcc, v97, v47, vcc
	global_load_dword v46, v[28:29], off
	global_load_dword v47, v[30:31], off
	global_load_dword v50, v[32:33], off
	global_load_dword v51, v[36:37], off
	global_load_dword v52, v[48:49], off
	global_load_dword v53, v[54:55], off
	s_nop 0
	global_load_dword v48, v[56:57], off
	global_load_dword v49, v[58:59], off
	v_add_u32_e32 v28, s95, v92
	v_ashrrev_i32_e32 v29, 31, v28
	v_lshlrev_b64 v[28:29], 2, v[28:29]
	v_add_u32_e32 v30, s10, v92
	v_add_co_u32_e32 v28, vcc, s24, v28
	v_ashrrev_i32_e32 v31, 31, v30
	v_addc_co_u32_e32 v29, vcc, v97, v29, vcc
	v_lshlrev_b64 v[30:31], 2, v[30:31]
	v_add_u32_e32 v32, s11, v92
	v_add_co_u32_e32 v30, vcc, s24, v30
	v_ashrrev_i32_e32 v33, 31, v32
	v_addc_co_u32_e32 v31, vcc, v97, v31, vcc
	;; [unrolled: 5-line block ×6, first 2 shown]
	v_lshlrev_b64 v[58:59], 2, v[58:59]
	v_add_co_u32_e32 v58, vcc, s24, v58
	v_addc_co_u32_e32 v59, vcc, v97, v59, vcc
	v_add_co_u32_e32 v60, vcc, s24, v60
	v_addc_co_u32_e32 v61, vcc, v97, v61, vcc
	global_load_dword v62, v[28:29], off
	global_load_dword v63, v[30:31], off
	;; [unrolled: 1-line block ×8, first 2 shown]
	v_add_u32_e32 v28, s36, v92
	v_ashrrev_i32_e32 v29, 31, v28
	v_lshlrev_b64 v[28:29], 2, v[28:29]
	v_add_u32_e32 v30, s37, v92
	v_add_co_u32_e32 v28, vcc, s24, v28
	v_ashrrev_i32_e32 v31, 31, v30
	v_addc_co_u32_e32 v29, vcc, v97, v29, vcc
	v_lshlrev_b64 v[30:31], 2, v[30:31]
	v_add_u32_e32 v32, s61, v92
	v_add_co_u32_e32 v30, vcc, s24, v30
	v_ashrrev_i32_e32 v33, 31, v32
	v_addc_co_u32_e32 v31, vcc, v97, v31, vcc
	;; [unrolled: 5-line block ×7, first 2 shown]
	v_lshlrev_b64 v[60:61], 2, v[60:61]
	v_add_co_u32_e32 v60, vcc, s24, v60
	v_addc_co_u32_e32 v61, vcc, v97, v61, vcc
	global_load_dword v70, v[28:29], off
	global_load_dword v71, v[30:31], off
	global_load_dword v72, v[32:33], off
	global_load_dword v73, v[36:37], off
	global_load_dword v74, v[54:55], off
	global_load_dword v75, v[56:57], off
	global_load_dword v76, v[58:59], off
	global_load_dword v77, v[60:61], off
	v_add_u32_e32 v28, s13, v92
	v_ashrrev_i32_e32 v29, 31, v28
	v_lshlrev_b64 v[28:29], 2, v[28:29]
	v_add_u32_e32 v30, s0, v92
	v_add_co_u32_e32 v28, vcc, s24, v28
	v_ashrrev_i32_e32 v31, 31, v30
	v_addc_co_u32_e32 v29, vcc, v97, v29, vcc
	v_lshlrev_b64 v[30:31], 2, v[30:31]
	v_add_u32_e32 v32, s1, v92
	v_add_co_u32_e32 v30, vcc, s24, v30
	v_ashrrev_i32_e32 v33, 31, v32
	v_addc_co_u32_e32 v31, vcc, v97, v31, vcc
	;; [unrolled: 5-line block ×7, first 2 shown]
	v_lshlrev_b64 v[60:61], 2, v[60:61]
	v_add_co_u32_e32 v60, vcc, s24, v60
	v_addc_co_u32_e32 v61, vcc, v97, v61, vcc
	global_load_dword v78, v[28:29], off
	global_load_dword v79, v[30:31], off
	global_load_dword v80, v[32:33], off
	global_load_dword v81, v[36:37], off
	global_load_dword v82, v[54:55], off
	global_load_dword v83, v[56:57], off
	global_load_dword v84, v[58:59], off
	global_load_dword v85, v[60:61], off
	v_add_u32_e32 v28, s20, v92
	v_ashrrev_i32_e32 v29, 31, v28
	v_lshlrev_b64 v[28:29], 2, v[28:29]
	v_add_u32_e32 v30, s9, v92
	v_add_co_u32_e32 v28, vcc, s24, v28
	v_ashrrev_i32_e32 v31, 31, v30
	v_addc_co_u32_e32 v29, vcc, v97, v29, vcc
	v_lshlrev_b64 v[30:31], 2, v[30:31]
	v_add_u32_e32 v32, s8, v92
	v_add_co_u32_e32 v30, vcc, s24, v30
	v_ashrrev_i32_e32 v33, 31, v32
	v_addc_co_u32_e32 v31, vcc, v97, v31, vcc
	;; [unrolled: 5-line block ×5, first 2 shown]
	v_lshlrev_b64 v[56:57], 2, v[56:57]
	v_add_co_u32_e32 v56, vcc, s24, v56
	v_addc_co_u32_e32 v57, vcc, v97, v57, vcc
	global_load_dword v86, v[28:29], off
	global_load_dword v87, v[30:31], off
	;; [unrolled: 1-line block ×6, first 2 shown]
	s_waitcnt vmcnt(55)
	ds_write_b32 v94, v20 offset:2176
	s_waitcnt vmcnt(54)
	ds_write_b32 v94, v21 offset:2440
	s_waitcnt vmcnt(53)
	ds_write_b32 v94, v22 offset:2704
	s_waitcnt vmcnt(52)
	ds_write_b32 v94, v23 offset:2968
	s_waitcnt vmcnt(51)
	ds_write_b32 v94, v24 offset:3232
	s_waitcnt vmcnt(50)
	ds_write_b32 v94, v25 offset:3496
	s_waitcnt vmcnt(49)
	ds_write_b32 v94, v26 offset:3760
	s_waitcnt vmcnt(48)
	ds_write_b32 v94, v27 offset:4024
	ds_read_b64 v[36:37], v95 offset:64
	ds_read_b64 v[32:33], v95 offset:96
	ds_read_b64 v[30:31], v95 offset:128
	ds_read_b64 v[28:29], v95 offset:160
	ds_read_b64 v[26:27], v95 offset:192
	ds_read_b64 v[24:25], v95 offset:224
	ds_read_b64 v[22:23], v95 offset:256
	ds_read_b64 v[20:21], v95 offset:288
	s_waitcnt vmcnt(47)
	ds_write_b32 v94, v34 offset:64
	s_waitcnt vmcnt(46)
	ds_write_b32 v94, v35 offset:328
	s_waitcnt vmcnt(45)
	ds_write_b32 v94, v38 offset:592
	s_waitcnt vmcnt(44)
	ds_write_b32 v94, v39 offset:856
	s_waitcnt vmcnt(43)
	ds_write_b32 v94, v40 offset:1120
	s_waitcnt vmcnt(42)
	ds_write_b32 v94, v41 offset:1384
	s_waitcnt vmcnt(41)
	ds_write_b32 v94, v42 offset:1648
	s_waitcnt vmcnt(40)
	ds_write_b32 v94, v43 offset:1912
	s_waitcnt vmcnt(39)
	ds_write_b32 v94, v44 offset:2176
	s_waitcnt vmcnt(38)
	ds_write_b32 v94, v45 offset:2440
	s_waitcnt vmcnt(37)
	ds_write_b32 v94, v46 offset:2704
	s_waitcnt vmcnt(36)
	ds_write_b32 v94, v47 offset:2968
	s_waitcnt vmcnt(35)
	ds_write_b32 v94, v50 offset:3232
	s_waitcnt vmcnt(34)
	ds_write_b32 v94, v51 offset:3496
	s_waitcnt vmcnt(33)
	ds_write_b32 v94, v52 offset:3760
	s_waitcnt vmcnt(32)
	ds_write_b32 v94, v53 offset:4024
	ds_read_b64 v[52:53], v95 offset:64
	ds_read_b64 v[50:51], v95 offset:96
	ds_read_b64 v[46:47], v95 offset:128
	ds_read_b64 v[44:45], v95 offset:160
	ds_read_b64 v[42:43], v95 offset:192
	ds_read_b64 v[40:41], v95 offset:224
	ds_read_b64 v[38:39], v95 offset:256
	ds_read_b64 v[34:35], v95 offset:288
	s_waitcnt vmcnt(31)
	ds_write_b32 v94, v48 offset:64
	s_waitcnt vmcnt(30)
	ds_write_b32 v94, v49 offset:328
	s_waitcnt vmcnt(29)
	ds_write_b32 v94, v62 offset:592
	s_waitcnt vmcnt(28)
	ds_write_b32 v94, v63 offset:856
	s_waitcnt vmcnt(27)
	ds_write_b32 v94, v64 offset:1120
	s_waitcnt vmcnt(26)
	ds_write_b32 v94, v65 offset:1384
	s_waitcnt vmcnt(25)
	ds_write_b32 v94, v66 offset:1648
	s_waitcnt vmcnt(24)
	ds_write_b32 v94, v67 offset:1912
	;; [unrolled: 40-line block ×3, first 2 shown]
	s_waitcnt vmcnt(7)
	ds_write_b32 v94, v84 offset:2176
	s_waitcnt vmcnt(6)
	ds_write_b32 v94, v85 offset:2440
	;; [unrolled: 2-line block ×8, first 2 shown]
	ds_read_b64 v[82:83], v95 offset:64
	ds_read_b64 v[80:81], v95 offset:96
	;; [unrolled: 1-line block ×8, first 2 shown]
	s_andn2_b64 vcc, exec, s[6:7]
	v_mov_b32_e32 v84, 0
	v_mov_b32_e32 v85, 0
	s_cbranch_vccnz .LBB115_46
; %bb.44:                               ;   in Loop: Header=BB115_43 Depth=1
	ds_read_b32 v86, v93
	v_mov_b32_e32 v85, 0
	v_mov_b32_e32 v84, 0
	s_waitcnt lgkmcnt(0)
	v_cmp_gt_i32_e32 vcc, 0, v86
	s_cbranch_vccnz .LBB115_46
; %bb.45:                               ;   in Loop: Header=BB115_43 Depth=1
	v_mul_lo_u32 v84, v86, s25
	v_add_u32_e32 v84, v96, v84
	v_ashrrev_i32_e32 v85, 31, v84
	v_lshlrev_b64 v[84:85], 2, v[84:85]
	v_mov_b32_e32 v86, s33
	v_add_co_u32_e32 v84, vcc, s31, v84
	v_addc_co_u32_e32 v85, vcc, v86, v85, vcc
	global_load_dwordx2 v[84:85], v[84:85], off
.LBB115_46:                             ;   in Loop: Header=BB115_43 Depth=1
	s_waitcnt vmcnt(0)
	v_cvt_f16_f32_e32 v84, v84
	v_cvt_f16_f32_e32 v85, v85
	s_andn2_b64 vcc, exec, s[14:15]
	v_mov_b32_e32 v86, 0
	v_mov_b32_e32 v87, 0
	v_pack_b32_f16 v84, v84, v85
	ds_write_b32 v94, v84 offset:64
	v_mov_b32_e32 v84, 0
	s_cbranch_vccnz .LBB115_49
; %bb.47:                               ;   in Loop: Header=BB115_43 Depth=1
	ds_read_b32 v85, v93 offset:4
	v_mov_b32_e32 v87, 0
	v_mov_b32_e32 v86, 0
	s_waitcnt lgkmcnt(0)
	v_cmp_gt_i32_e32 vcc, 0, v85
	s_cbranch_vccnz .LBB115_49
; %bb.48:                               ;   in Loop: Header=BB115_43 Depth=1
	v_mul_lo_u32 v85, v85, s25
	v_readlane_b32 vcc_lo, v104, 28
	v_add_u32_e32 v85, vcc_lo, v85
	v_add_u32_e32 v86, v85, v96
	v_ashrrev_i32_e32 v87, 31, v86
	v_lshlrev_b64 v[86:87], 2, v[86:87]
	v_mov_b32_e32 v85, s33
	v_add_co_u32_e32 v86, vcc, s31, v86
	v_addc_co_u32_e32 v87, vcc, v85, v87, vcc
	global_load_dwordx2 v[86:87], v[86:87], off
.LBB115_49:                             ;   in Loop: Header=BB115_43 Depth=1
	s_waitcnt vmcnt(0)
	v_cvt_f16_f32_e32 v85, v86
	v_cvt_f16_f32_e32 v86, v87
	s_andn2_b64 vcc, exec, s[22:23]
	v_pack_b32_f16 v85, v85, v86
	ds_write_b32 v94, v85 offset:328
	v_mov_b32_e32 v85, 0
	s_cbranch_vccnz .LBB115_52
; %bb.50:                               ;   in Loop: Header=BB115_43 Depth=1
	ds_read_b32 v86, v93 offset:8
	v_mov_b32_e32 v85, 0
	v_mov_b32_e32 v84, 0
	s_waitcnt lgkmcnt(0)
	v_cmp_gt_i32_e32 vcc, 0, v86
	s_cbranch_vccnz .LBB115_52
; %bb.51:                               ;   in Loop: Header=BB115_43 Depth=1
	v_mul_lo_u32 v84, v86, s25
	v_readlane_b32 vcc_lo, v104, 16
	v_add_u32_e32 v84, vcc_lo, v84
	v_add_u32_e32 v84, v84, v96
	v_ashrrev_i32_e32 v85, 31, v84
	v_lshlrev_b64 v[84:85], 2, v[84:85]
	v_mov_b32_e32 v86, s33
	v_add_co_u32_e32 v84, vcc, s31, v84
	v_addc_co_u32_e32 v85, vcc, v86, v85, vcc
	global_load_dwordx2 v[84:85], v[84:85], off
.LBB115_52:                             ;   in Loop: Header=BB115_43 Depth=1
	s_waitcnt vmcnt(0)
	v_cvt_f16_f32_e32 v84, v84
	v_cvt_f16_f32_e32 v85, v85
	s_andn2_b64 vcc, exec, s[28:29]
	v_mov_b32_e32 v86, 0
	v_mov_b32_e32 v87, 0
	v_pack_b32_f16 v84, v84, v85
	ds_write_b32 v94, v84 offset:592
	v_mov_b32_e32 v84, 0
	s_cbranch_vccnz .LBB115_55
; %bb.53:                               ;   in Loop: Header=BB115_43 Depth=1
	ds_read_b32 v85, v93 offset:12
	v_mov_b32_e32 v87, 0
	v_mov_b32_e32 v86, 0
	s_waitcnt lgkmcnt(0)
	v_cmp_gt_i32_e32 vcc, 0, v85
	s_cbranch_vccnz .LBB115_55
; %bb.54:                               ;   in Loop: Header=BB115_43 Depth=1
	v_mul_lo_u32 v85, v85, s25
	v_readlane_b32 vcc_lo, v104, 18
	v_add_u32_e32 v85, vcc_lo, v85
	v_add_u32_e32 v86, v85, v96
	v_ashrrev_i32_e32 v87, 31, v86
	v_lshlrev_b64 v[86:87], 2, v[86:87]
	v_mov_b32_e32 v85, s33
	v_add_co_u32_e32 v86, vcc, s31, v86
	v_addc_co_u32_e32 v87, vcc, v85, v87, vcc
	global_load_dwordx2 v[86:87], v[86:87], off
.LBB115_55:                             ;   in Loop: Header=BB115_43 Depth=1
	s_waitcnt vmcnt(0)
	v_cvt_f16_f32_e32 v85, v86
	v_cvt_f16_f32_e32 v86, v87
	s_andn2_b64 vcc, exec, s[34:35]
	v_pack_b32_f16 v85, v85, v86
	ds_write_b32 v94, v85 offset:856
	v_mov_b32_e32 v85, 0
	s_cbranch_vccnz .LBB115_58
; %bb.56:                               ;   in Loop: Header=BB115_43 Depth=1
	ds_read_b32 v86, v93 offset:16
	v_mov_b32_e32 v85, 0
	v_mov_b32_e32 v84, 0
	s_waitcnt lgkmcnt(0)
	v_cmp_gt_i32_e32 vcc, 0, v86
	s_cbranch_vccnz .LBB115_58
; %bb.57:                               ;   in Loop: Header=BB115_43 Depth=1
	v_mul_lo_u32 v84, v86, s25
	v_readlane_b32 vcc_lo, v104, 17
	v_add_u32_e32 v84, vcc_lo, v84
	v_add_u32_e32 v84, v84, v96
	v_ashrrev_i32_e32 v85, 31, v84
	v_lshlrev_b64 v[84:85], 2, v[84:85]
	v_mov_b32_e32 v86, s33
	v_add_co_u32_e32 v84, vcc, s31, v84
	v_addc_co_u32_e32 v85, vcc, v86, v85, vcc
	global_load_dwordx2 v[84:85], v[84:85], off
.LBB115_58:                             ;   in Loop: Header=BB115_43 Depth=1
	;; [unrolled: 56-line block ×5, first 2 shown]
	s_waitcnt vmcnt(0)
	v_cvt_f16_f32_e32 v84, v84
	v_cvt_f16_f32_e32 v85, v85
	s_andn2_b64 vcc, exec, s[50:51]
	v_mov_b32_e32 v86, 0
	v_mov_b32_e32 v87, 0
	v_pack_b32_f16 v84, v84, v85
	ds_write_b32 v94, v84 offset:2704
	v_mov_b32_e32 v84, 0
	s_cbranch_vccnz .LBB115_79
; %bb.77:                               ;   in Loop: Header=BB115_43 Depth=1
	ds_read_b32 v85, v93 offset:44
	v_mov_b32_e32 v87, 0
	v_mov_b32_e32 v86, 0
	s_waitcnt lgkmcnt(0)
	v_cmp_gt_i32_e32 vcc, 0, v85
	s_cbranch_vccnz .LBB115_79
; %bb.78:                               ;   in Loop: Header=BB115_43 Depth=1
	v_mul_lo_u32 v85, v85, s25
	v_readlane_b32 vcc_lo, v104, 24
	v_add_u32_e32 v85, vcc_lo, v85
	v_add_u32_e32 v86, v85, v96
	v_ashrrev_i32_e32 v87, 31, v86
	v_lshlrev_b64 v[86:87], 2, v[86:87]
	v_mov_b32_e32 v85, s33
	v_add_co_u32_e32 v86, vcc, s31, v86
	v_addc_co_u32_e32 v87, vcc, v85, v87, vcc
	global_load_dwordx2 v[86:87], v[86:87], off
.LBB115_79:                             ;   in Loop: Header=BB115_43 Depth=1
	s_waitcnt vmcnt(0)
	v_cvt_f16_f32_e32 v85, v86
	v_cvt_f16_f32_e32 v86, v87
	s_andn2_b64 vcc, exec, s[52:53]
	v_pack_b32_f16 v85, v85, v86
	ds_write_b32 v94, v85 offset:2968
	v_mov_b32_e32 v85, 0
	s_cbranch_vccnz .LBB115_42
; %bb.80:                               ;   in Loop: Header=BB115_43 Depth=1
	ds_read_b32 v86, v93 offset:48
	v_mov_b32_e32 v85, 0
	v_mov_b32_e32 v84, 0
	s_waitcnt lgkmcnt(0)
	v_cmp_gt_i32_e32 vcc, 0, v86
	s_cbranch_vccnz .LBB115_42
; %bb.81:                               ;   in Loop: Header=BB115_43 Depth=1
	v_mul_lo_u32 v84, v86, s25
	v_readlane_b32 vcc_lo, v104, 23
	v_add_u32_e32 v84, vcc_lo, v84
	v_add_u32_e32 v84, v84, v96
	v_ashrrev_i32_e32 v85, 31, v84
	v_lshlrev_b64 v[84:85], 2, v[84:85]
	v_mov_b32_e32 v86, s33
	v_add_co_u32_e32 v84, vcc, s31, v84
	v_addc_co_u32_e32 v85, vcc, v86, v85, vcc
	global_load_dwordx2 v[84:85], v[84:85], off
	s_branch .LBB115_42
.LBB115_82:
	s_or_b64 exec, exec, s[18:19]
	v_readlane_b32 s42, v104, 8
	v_readlane_b32 s28, v104, 12
	;; [unrolled: 1-line block ×9, first 2 shown]
.LBB115_83:
	v_readlane_b32 s0, v104, 6
	v_readlane_b32 s1, v104, 7
	s_or_b64 exec, exec, s[0:1]
	v_mul_u32_u24_e32 v18, 0x608, v91
	s_movk_i32 s1, 0x100
	v_lshlrev_b32_e32 v19, 2, v90
	v_add3_u32 v18, s1, v18, v19
	v_and_b32_e32 v20, 0x3f0, v16
	v_add_u32_e32 v21, v18, v20
	s_barrier
	v_add_u32_e32 v19, 64, v18
	ds_write2_b32 v21, v8, v9 offset0:16 offset1:17
	v_or_b32_e32 v9, 12, v16
	v_add_u32_e32 v8, v19, v20
	v_and_b32_e32 v9, 0x3fc, v9
	ds_write_b32 v8, v10 offset:8
	v_add_u32_e32 v10, v18, v9
	ds_write_b32 v10, v11 offset:64
	ds_write2_b32 v8, v4, v5 offset0:16 offset1:17
	ds_write_b32 v8, v6 offset:72
	v_add_u32_e32 v4, v19, v9
	v_mov_b32_e32 v6, 0x100
	s_movk_i32 s0, 0x608
	ds_write_b32 v4, v7 offset:64
	ds_write2_b32 v8, v0, v1 offset0:32 offset1:33
	ds_write_b32 v8, v2 offset:136
	ds_write_b32 v4, v3 offset:128
	ds_write2_b32 v8, v12, v13 offset0:48 offset1:49
	ds_write_b32 v8, v14 offset:200
	ds_write_b32 v4, v15 offset:192
	v_lshl_add_u32 v7, v16, 2, v6
	v_mad_u32_u24 v2, v17, s0, v7
	s_waitcnt lgkmcnt(0)
	s_barrier
	ds_read2_b32 v[4:5], v2 offset0:16 offset1:80
	ds_read2_b32 v[0:1], v2 offset0:144 offset1:208
	v_add_u32_e32 v2, 64, v2
	ds_read2st64_b32 v[2:3], v2 offset0:4 offset1:5
	v_cmp_gt_u32_e32 vcc, 13, v17
	v_mov_b32_e32 v9, -1
	s_and_saveexec_b64 s[4:5], vcc
	s_cbranch_execz .LBB115_85
; %bb.84:
	v_lshl_add_u32 v6, v17, 2, v6
	ds_read_b32 v9, v6
.LBB115_85:
	s_or_b64 exec, exec, s[4:5]
	s_mul_hi_i32 s1, s30, s8
	s_mul_i32 s0, s30, s8
	s_lshl_b64 s[0:1], s[0:1], 2
	v_readlane_b32 s4, v104, 4
	s_mul_hi_i32 s3, s52, s21
	s_mul_i32 s2, s52, s21
	v_readlane_b32 s5, v104, 5
	s_add_u32 s4, s4, s0
	s_addc_u32 s5, s5, s1
	s_lshl_b64 s[0:1], s[2:3], 2
	s_add_u32 s2, s4, s0
	s_waitcnt lgkmcnt(0)
	v_cmp_lt_i32_e32 vcc, -1, v9
	v_mul_u32_u24_e32 v8, 0x608, v17
	v_add_u32_e32 v6, s6, v16
	s_addc_u32 s3, s5, s1
	s_and_b64 s[4:5], vcc, s[42:43]
	s_and_saveexec_b64 s[0:1], s[4:5]
	s_cbranch_execz .LBB115_87
; %bb.86:
	v_add_f32_e32 v4, 0, v4
	v_add_f32_e32 v4, v4, v5
	;; [unrolled: 1-line block ×6, first 2 shown]
	v_mul_lo_u32 v0, v9, s26
	v_mul_lo_u32 v1, v17, s21
	v_add3_u32 v0, v6, v1, v0
	v_mov_b32_e32 v1, 0
	v_lshlrev_b64 v[0:1], 2, v[0:1]
	v_mov_b32_e32 v3, s3
	v_add_co_u32_e32 v0, vcc, s2, v0
	v_addc_co_u32_e32 v1, vcc, v3, v1, vcc
	global_store_dword v[0:1], v2, off
.LBB115_87:
	s_or_b64 exec, exec, s[0:1]
	v_add_u32_e32 v7, v8, v7
	v_add_u32_e32 v0, 0x70, v7
	ds_read2st64_b32 v[4:5], v0 offset0:36 offset1:37
	ds_read2st64_b32 v[2:3], v0 offset0:38 offset1:39
	;; [unrolled: 1-line block ×3, first 2 shown]
	v_cmp_gt_u32_e32 vcc, 7, v17
	v_mov_b32_e32 v8, -1
	s_and_saveexec_b64 s[0:1], vcc
	s_cbranch_execz .LBB115_89
; %bb.88:
	v_mov_b32_e32 v8, 0x100
	v_lshl_add_u32 v8, v17, 2, v8
	ds_read_b32 v8, v8 offset:24
.LBB115_89:
	s_or_b64 exec, exec, s[0:1]
	v_readlane_b32 s0, v104, 0
	s_waitcnt lgkmcnt(0)
	v_cmp_lt_i32_e32 vcc, -1, v8
	v_readlane_b32 s1, v104, 1
	s_and_b64 s[4:5], vcc, s[0:1]
	s_and_saveexec_b64 s[0:1], s[4:5]
	s_cbranch_execz .LBB115_91
; %bb.90:
	v_add_f32_e32 v4, 0, v4
	v_add_f32_e32 v4, v4, v5
	;; [unrolled: 1-line block ×6, first 2 shown]
	v_mul_lo_u32 v0, v8, s26
	v_mul_lo_u32 v1, v88, s21
	v_add3_u32 v0, v6, v1, v0
	v_mov_b32_e32 v1, 0
	v_lshlrev_b64 v[0:1], 2, v[0:1]
	v_mov_b32_e32 v3, s3
	v_add_co_u32_e32 v0, vcc, s2, v0
	v_addc_co_u32_e32 v1, vcc, v3, v1, vcc
	global_store_dword v[0:1], v2, off
.LBB115_91:
	s_or_b64 exec, exec, s[0:1]
	v_cmp_eq_u32_e32 vcc, 0, v17
	s_and_saveexec_b64 s[0:1], vcc
	s_cbranch_execz .LBB115_94
; %bb.92:
	v_mov_b32_e32 v0, 0x100
	ds_read_b32 v0, v0 offset:48
	v_readlane_b32 s4, v104, 2
	v_readlane_b32 s5, v104, 3
	s_waitcnt lgkmcnt(0)
	v_readfirstlane_b32 s0, v0
	s_cmp_gt_i32 s0, -1
	s_cselect_b64 s[0:1], -1, 0
	s_and_b64 s[0:1], s[0:1], s[4:5]
	s_and_b64 exec, exec, s[0:1]
	s_cbranch_execz .LBB115_94
; %bb.93:
	v_add_u32_e32 v4, 0xa0, v7
	ds_read2st64_b32 v[2:3], v4 offset0:72 offset1:73
	v_mul_lo_u32 v7, v0, s26
	ds_read2st64_b32 v[0:1], v4 offset0:74 offset1:75
	ds_read2st64_b32 v[4:5], v4 offset0:76 offset1:77
	v_mul_lo_u32 v8, v89, s21
	s_waitcnt lgkmcnt(2)
	v_add_f32_e32 v2, 0, v2
	v_add_f32_e32 v2, v2, v3
	s_waitcnt lgkmcnt(1)
	v_add_f32_e32 v0, v2, v0
	v_add_f32_e32 v0, v0, v1
	s_waitcnt lgkmcnt(0)
	v_add_f32_e32 v0, v0, v4
	v_add_f32_e32 v2, v0, v5
	v_add3_u32 v0, v6, v8, v7
	v_mov_b32_e32 v1, 0
	v_lshlrev_b64 v[0:1], 2, v[0:1]
	v_mov_b32_e32 v3, s3
	v_add_co_u32_e32 v0, vcc, s2, v0
	v_addc_co_u32_e32 v1, vcc, v3, v1, vcc
	global_store_dword v[0:1], v2, off
.LBB115_94:
	s_endpgm
	.section	.rodata,"a",@progbits
	.p2align	6, 0x0
	.amdhsa_kernel _ZL9mul_mat_fI7__half2Li64ELi13ELi6ELb1EEvPKT_PKfPKiPfiiiiiiiiiiiiiiii
		.amdhsa_group_segment_fixed_size 256
		.amdhsa_private_segment_fixed_size 0
		.amdhsa_kernarg_size 352
		.amdhsa_user_sgpr_count 6
		.amdhsa_user_sgpr_private_segment_buffer 1
		.amdhsa_user_sgpr_dispatch_ptr 0
		.amdhsa_user_sgpr_queue_ptr 0
		.amdhsa_user_sgpr_kernarg_segment_ptr 1
		.amdhsa_user_sgpr_dispatch_id 0
		.amdhsa_user_sgpr_flat_scratch_init 0
		.amdhsa_user_sgpr_kernarg_preload_length 0
		.amdhsa_user_sgpr_kernarg_preload_offset 0
		.amdhsa_user_sgpr_private_segment_size 0
		.amdhsa_uses_dynamic_stack 0
		.amdhsa_system_sgpr_private_segment_wavefront_offset 0
		.amdhsa_system_sgpr_workgroup_id_x 1
		.amdhsa_system_sgpr_workgroup_id_y 1
		.amdhsa_system_sgpr_workgroup_id_z 1
		.amdhsa_system_sgpr_workgroup_info 0
		.amdhsa_system_vgpr_workitem_id 2
		.amdhsa_next_free_vgpr 105
		.amdhsa_next_free_sgpr 96
		.amdhsa_accum_offset 108
		.amdhsa_reserve_vcc 1
		.amdhsa_reserve_flat_scratch 0
		.amdhsa_float_round_mode_32 0
		.amdhsa_float_round_mode_16_64 0
		.amdhsa_float_denorm_mode_32 3
		.amdhsa_float_denorm_mode_16_64 3
		.amdhsa_dx10_clamp 1
		.amdhsa_ieee_mode 1
		.amdhsa_fp16_overflow 0
		.amdhsa_tg_split 0
		.amdhsa_exception_fp_ieee_invalid_op 0
		.amdhsa_exception_fp_denorm_src 0
		.amdhsa_exception_fp_ieee_div_zero 0
		.amdhsa_exception_fp_ieee_overflow 0
		.amdhsa_exception_fp_ieee_underflow 0
		.amdhsa_exception_fp_ieee_inexact 0
		.amdhsa_exception_int_div_zero 0
	.end_amdhsa_kernel
	.section	.text._ZL9mul_mat_fI7__half2Li64ELi13ELi6ELb1EEvPKT_PKfPKiPfiiiiiiiiiiiiiiii,"axG",@progbits,_ZL9mul_mat_fI7__half2Li64ELi13ELi6ELb1EEvPKT_PKfPKiPfiiiiiiiiiiiiiiii,comdat
.Lfunc_end115:
	.size	_ZL9mul_mat_fI7__half2Li64ELi13ELi6ELb1EEvPKT_PKfPKiPfiiiiiiiiiiiiiiii, .Lfunc_end115-_ZL9mul_mat_fI7__half2Li64ELi13ELi6ELb1EEvPKT_PKfPKiPfiiiiiiiiiiiiiiii
                                        ; -- End function
	.section	.AMDGPU.csdata,"",@progbits
; Kernel info:
; codeLenInByte = 8836
; NumSgprs: 100
; NumVgprs: 105
; NumAgprs: 0
; TotalNumVgprs: 105
; ScratchSize: 0
; MemoryBound: 0
; FloatMode: 240
; IeeeMode: 1
; LDSByteSize: 256 bytes/workgroup (compile time only)
; SGPRBlocks: 12
; VGPRBlocks: 13
; NumSGPRsForWavesPerEU: 100
; NumVGPRsForWavesPerEU: 105
; AccumOffset: 108
; Occupancy: 4
; WaveLimiterHint : 0
; COMPUTE_PGM_RSRC2:SCRATCH_EN: 0
; COMPUTE_PGM_RSRC2:USER_SGPR: 6
; COMPUTE_PGM_RSRC2:TRAP_HANDLER: 0
; COMPUTE_PGM_RSRC2:TGID_X_EN: 1
; COMPUTE_PGM_RSRC2:TGID_Y_EN: 1
; COMPUTE_PGM_RSRC2:TGID_Z_EN: 1
; COMPUTE_PGM_RSRC2:TIDIG_COMP_CNT: 2
; COMPUTE_PGM_RSRC3_GFX90A:ACCUM_OFFSET: 26
; COMPUTE_PGM_RSRC3_GFX90A:TG_SPLIT: 0
	.section	.text._ZL9mul_mat_fI7__half2Li64ELi13ELi6ELb0EEvPKT_PKfPKiPfiiiiiiiiiiiiiiii,"axG",@progbits,_ZL9mul_mat_fI7__half2Li64ELi13ELi6ELb0EEvPKT_PKfPKiPfiiiiiiiiiiiiiiii,comdat
	.globl	_ZL9mul_mat_fI7__half2Li64ELi13ELi6ELb0EEvPKT_PKfPKiPfiiiiiiiiiiiiiiii ; -- Begin function _ZL9mul_mat_fI7__half2Li64ELi13ELi6ELb0EEvPKT_PKfPKiPfiiiiiiiiiiiiiiii
	.p2align	8
	.type	_ZL9mul_mat_fI7__half2Li64ELi13ELi6ELb0EEvPKT_PKfPKiPfiiiiiiiiiiiiiiii,@function
_ZL9mul_mat_fI7__half2Li64ELi13ELi6ELb0EEvPKT_PKfPKiPfiiiiiiiiiiiiiiii: ; @_ZL9mul_mat_fI7__half2Li64ELi13ELi6ELb0EEvPKT_PKfPKiPfiiiiiiiiiiiiiiii
; %bb.0:
	s_load_dwordx8 s[12:19], s[4:5], 0x40
	s_load_dword s9, s[4:5], 0x20
	s_load_dwordx4 s[0:3], s[4:5], 0x2c
	v_bfe_u32 v86, v0, 10, 10
	v_lshlrev_b32_e32 v88, 6, v86
	v_and_b32_e32 v87, 0x3ff, v0
	s_waitcnt lgkmcnt(0)
	s_abs_i32 s27, s12
	s_abs_i32 s26, s16
	v_cvt_f32_u32_e32 v1, s27
	v_cvt_f32_u32_e32 v2, s26
	v_add_u32_e32 v90, v88, v87
	s_mov_b32 s22, 0
	v_rcp_iflag_f32_e32 v1, v1
	v_rcp_iflag_f32_e32 v2, v2
	s_ashr_i32 s28, s8, 31
	v_cmp_le_i32_e32 vcc, s9, v90
	v_mul_f32_e32 v1, 0x4f7ffffe, v1
	v_mul_f32_e32 v2, 0x4f7ffffe, v2
	v_cvt_u32_f32_e32 v1, v1
	v_cvt_u32_f32_e32 v2, v2
	v_and_b32_e32 v89, 15, v87
	v_readfirstlane_b32 s21, v1
	v_readfirstlane_b32 s20, v2
	s_and_saveexec_b64 s[10:11], vcc
	s_xor_b64 s[10:11], exec, s[10:11]
; %bb.1:
	v_and_b32_e32 v89, 15, v87
                                        ; implicit-def: $vgpr90
; %bb.2:
	s_or_saveexec_b64 s[24:25], s[10:11]
	s_load_dwordx2 s[10:11], s[4:5], 0x18
	s_lshl_b32 s3, s6, 6
	v_mov_b32_e32 v15, s22
	v_mov_b32_e32 v14, s22
	;; [unrolled: 1-line block ×16, first 2 shown]
	s_xor_b64 exec, exec, s[24:25]
	s_cbranch_execz .LBB116_6
; %bb.3:
	s_sub_i32 s6, 0, s27
	s_sub_i32 s22, 0, s26
	s_mul_i32 s6, s6, s21
	s_mul_i32 s22, s22, s20
	s_mul_hi_u32 s6, s21, s6
	s_mul_hi_u32 s22, s20, s22
	s_abs_i32 s29, s7
	s_add_i32 s6, s21, s6
	s_add_i32 s31, s20, s22
	s_load_dwordx4 s[20:23], s[4:5], 0x0
	s_mul_hi_u32 s4, s29, s6
	s_ashr_i32 s6, s7, 31
	s_ashr_i32 s12, s12, 31
	s_xor_b32 s6, s6, s12
	s_mul_i32 s12, s4, s27
	s_abs_i32 s30, s8
	s_sub_i32 s12, s29, s12
	s_mul_hi_u32 s5, s30, s31
	s_ashr_i32 s16, s16, 31
	s_add_i32 s29, s4, 1
	s_sub_i32 s31, s12, s27
	s_cmp_ge_u32 s12, s27
	s_cselect_b32 s4, s29, s4
	s_cselect_b32 s12, s31, s12
	s_add_i32 s29, s4, 1
	s_cmp_ge_u32 s12, s27
	s_cselect_b32 s4, s29, s4
	s_mul_i32 s12, s5, s26
	s_xor_b32 s4, s4, s6
	s_sub_i32 s12, s30, s12
	s_sub_i32 s6, s4, s6
	s_xor_b32 s4, s28, s16
	s_add_i32 s16, s5, 1
	s_sub_i32 s27, s12, s26
	s_cmp_ge_u32 s12, s26
	s_cselect_b32 s5, s16, s5
	s_cselect_b32 s12, s27, s12
	s_add_i32 s16, s5, 1
	s_cmp_ge_u32 s12, s26
	s_cselect_b32 s5, s16, s5
	s_xor_b32 s5, s5, s4
	s_sub_i32 s4, s5, s4
	s_mul_hi_i32 s5, s4, s17
	s_mul_i32 s4, s4, s17
	s_mul_i32 s12, s6, s13
	s_ashr_i32 s13, s12, 31
	s_lshl_b64 s[26:27], s[4:5], 2
	s_mul_i32 s16, s3, s0
	s_waitcnt lgkmcnt(0)
	s_add_u32 s6, s20, s26
	s_addc_u32 s29, s21, s27
	s_ashr_i32 s17, s16, 31
	s_lshl_b64 s[16:17], s[16:17], 2
	s_lshl_b64 s[12:13], s[12:13], 2
	s_mul_hi_i32 s5, s18, s8
	s_mul_i32 s4, s18, s8
	s_add_u32 s18, s12, s16
	s_addc_u32 s30, s13, s17
	s_mul_i32 s28, s7, s14
	s_add_u32 s6, s18, s6
	s_addc_u32 s73, s30, s29
	s_ashr_i32 s29, s28, 31
	s_lshl_b64 s[16:17], s[4:5], 2
	s_lshl_b64 s[4:5], s[28:29], 2
	s_add_u32 s22, s22, s4
	s_addc_u32 s23, s23, s5
	s_add_u32 s14, s22, s16
	s_movk_i32 s4, 0x1080
	s_addc_u32 s74, s23, s17
	v_mad_u32_u24 v0, v86, s4, 0
	s_ashr_i32 s5, s0, 31
	s_mov_b32 s4, s0
	v_lshrrev_b32_e32 v3, 1, v87
	s_ashr_i32 s13, s1, 31
	s_lshl_b64 s[4:5], s[4:5], 2
	v_lshlrev_b32_e32 v1, 2, v87
	v_mul_u32_u24_e32 v2, 0x108, v89
	v_and_b32_e32 v3, 0x1f8, v3
	s_add_u32 s18, s18, s26
	v_add_u32_e32 v91, v0, v1
	v_add3_u32 v92, v0, v2, v3
	v_lshlrev_b32_e32 v0, 8, v86
	s_addc_u32 s26, s30, s27
	v_mov_b32_e32 v2, s26
	v_add_co_u32_e32 v0, vcc, s18, v0
	v_addc_co_u32_e32 v2, vcc, 0, v2, vcc
	v_add_co_u32_e32 v0, vcc, v0, v1
	v_addc_co_u32_e32 v1, vcc, 0, v2, vcc
	v_mov_b32_e32 v2, s21
	v_add_co_u32_e32 v16, vcc, s20, v0
	v_addc_co_u32_e32 v17, vcc, v2, v1, vcc
	v_lshlrev_b32_e32 v0, 9, v86
	v_mov_b32_e32 v1, s17
	v_add_co_u32_e32 v0, vcc, s16, v0
	v_addc_co_u32_e32 v1, vcc, 0, v1, vcc
	v_lshlrev_b32_e32 v2, 3, v87
	v_add_co_u32_e32 v0, vcc, v0, v2
	s_mov_b32 s12, s1
	v_addc_co_u32_e32 v1, vcc, 0, v1, vcc
	s_lshl_b64 s[12:13], s[12:13], 3
	v_mov_b32_e32 v2, s23
	v_add_co_u32_e32 v18, vcc, s22, v0
	v_mov_b32_e32 v95, 0
	v_addc_co_u32_e32 v19, vcc, v2, v1, vcc
	s_mul_i32 s16, s0, 63
	s_lshl_b32 s17, s1, 1
	s_mul_i32 s18, s1, 3
	s_lshl_b32 s20, s1, 2
	s_mul_i32 s21, s1, 5
	s_mul_i32 s22, s1, 6
	;; [unrolled: 1-line block ×3, first 2 shown]
	s_lshl_b32 s26, s1, 3
	s_mul_i32 s27, s1, 9
	s_mul_i32 s28, s1, 10
	;; [unrolled: 1-line block ×4, first 2 shown]
	s_lshl_b32 s31, s0, 1
	s_mul_i32 s33, s0, 3
	s_lshl_b32 s34, s0, 2
	s_mul_i32 s35, s0, 5
	s_mul_i32 s36, s0, 6
	;; [unrolled: 1-line block ×3, first 2 shown]
	s_lshl_b32 s38, s0, 3
	s_mul_i32 s39, s0, 9
	s_mul_i32 s40, s0, 10
	;; [unrolled: 1-line block ×7, first 2 shown]
	s_lshl_b32 s46, s0, 4
	s_mul_i32 s47, s0, 17
	s_mul_i32 s48, s0, 18
	;; [unrolled: 1-line block ×15, first 2 shown]
	s_lshl_b32 s62, s0, 5
	s_mul_i32 s63, s0, 33
	s_mul_i32 s64, s0, 34
	;; [unrolled: 1-line block ×10, first 2 shown]
	v_mov_b32_e32 v93, s73
	s_mul_i32 s73, s0, 43
	v_mov_b32_e32 v94, s74
	s_mul_i32 s74, s0, 44
	v_mov_b32_e32 v96, s5
	v_mov_b32_e32 v97, s13
	v_mov_b32_e32 v0, 0
	v_mov_b32_e32 v1, v95
	v_mov_b32_e32 v2, v95
	v_mov_b32_e32 v3, v95
	v_mov_b32_e32 v4, 0
	v_mov_b32_e32 v5, v95
	v_mov_b32_e32 v6, v95
	v_mov_b32_e32 v7, v95
	v_mov_b32_e32 v8, 0
	v_mov_b32_e32 v9, v95
	v_mov_b32_e32 v10, v95
	v_mov_b32_e32 v11, v95
	v_mov_b32_e32 v12, 0
	v_mov_b32_e32 v13, v95
	v_mov_b32_e32 v14, v95
	v_mov_b32_e32 v15, v95
	s_mul_i32 s5, s0, 45
	s_mul_i32 s13, s0, 46
	;; [unrolled: 1-line block ×18, first 2 shown]
	s_mov_b64 s[0:1], 0
.LBB116_4:                              ; =>This Inner Loop Header: Depth=1
	global_load_dword v20, v[16:17], off
	v_add_u32_e32 v36, s46, v90
	v_ashrrev_i32_e32 v37, 31, v36
	v_lshlrev_b64 v[36:37], 2, v[36:37]
	v_add_u32_e32 v52, s62, v90
	v_ashrrev_i32_e32 v53, 31, v52
	v_lshlrev_b64 v[52:53], 2, v[52:53]
	;; [unrolled: 3-line block ×3, first 2 shown]
	s_waitcnt vmcnt(0)
	ds_write_b32 v91, v20
	v_add_co_u32_e32 v20, vcc, s4, v16
	v_addc_co_u32_e32 v21, vcc, v17, v96, vcc
	global_load_dword v20, v[20:21], off
	s_waitcnt vmcnt(0)
	ds_write_b32 v91, v20 offset:264
	v_add_u32_e32 v20, s31, v90
	v_ashrrev_i32_e32 v21, 31, v20
	v_lshlrev_b64 v[20:21], 2, v[20:21]
	v_add_co_u32_e32 v20, vcc, s6, v20
	v_addc_co_u32_e32 v21, vcc, v93, v21, vcc
	global_load_dword v20, v[20:21], off
	s_waitcnt vmcnt(0)
	ds_write_b32 v91, v20 offset:528
	v_add_u32_e32 v20, s33, v90
	v_ashrrev_i32_e32 v21, 31, v20
	v_lshlrev_b64 v[20:21], 2, v[20:21]
	;; [unrolled: 8-line block ×14, first 2 shown]
	v_add_co_u32_e32 v20, vcc, s6, v20
	v_addc_co_u32_e32 v21, vcc, v93, v21, vcc
	global_load_dword v20, v[20:21], off
	v_add_co_u32_e32 v36, vcc, s6, v36
	v_addc_co_u32_e32 v37, vcc, v93, v37, vcc
	s_waitcnt vmcnt(0)
	ds_write_b32 v91, v20 offset:3960
	ds_read_b64 v[34:35], v92
	ds_read_b64 v[32:33], v92 offset:32
	ds_read_b64 v[30:31], v92 offset:64
	;; [unrolled: 1-line block ×7, first 2 shown]
	global_load_dword v36, v[36:37], off
	s_waitcnt vmcnt(0)
	ds_write_b32 v91, v36
	v_add_u32_e32 v36, s47, v90
	v_ashrrev_i32_e32 v37, 31, v36
	v_lshlrev_b64 v[36:37], 2, v[36:37]
	v_add_co_u32_e32 v36, vcc, s6, v36
	v_addc_co_u32_e32 v37, vcc, v93, v37, vcc
	global_load_dword v36, v[36:37], off
	s_waitcnt vmcnt(0)
	ds_write_b32 v91, v36 offset:264
	v_add_u32_e32 v36, s48, v90
	v_ashrrev_i32_e32 v37, 31, v36
	v_lshlrev_b64 v[36:37], 2, v[36:37]
	v_add_co_u32_e32 v36, vcc, s6, v36
	v_addc_co_u32_e32 v37, vcc, v93, v37, vcc
	global_load_dword v36, v[36:37], off
	s_waitcnt vmcnt(0)
	ds_write_b32 v91, v36 offset:528
	;; [unrolled: 8-line block ×14, first 2 shown]
	v_add_u32_e32 v36, s61, v90
	v_ashrrev_i32_e32 v37, 31, v36
	v_lshlrev_b64 v[36:37], 2, v[36:37]
	v_add_co_u32_e32 v36, vcc, s6, v36
	v_addc_co_u32_e32 v37, vcc, v93, v37, vcc
	global_load_dword v36, v[36:37], off
	v_add_co_u32_e32 v52, vcc, s6, v52
	v_addc_co_u32_e32 v53, vcc, v93, v53, vcc
	s_waitcnt vmcnt(0)
	ds_write_b32 v91, v36 offset:3960
	ds_read_b64 v[50:51], v92
	ds_read_b64 v[48:49], v92 offset:32
	ds_read_b64 v[46:47], v92 offset:64
	;; [unrolled: 1-line block ×7, first 2 shown]
	global_load_dword v52, v[52:53], off
	s_waitcnt vmcnt(0)
	ds_write_b32 v91, v52
	v_add_u32_e32 v52, s63, v90
	v_ashrrev_i32_e32 v53, 31, v52
	v_lshlrev_b64 v[52:53], 2, v[52:53]
	v_add_co_u32_e32 v52, vcc, s6, v52
	v_addc_co_u32_e32 v53, vcc, v93, v53, vcc
	global_load_dword v52, v[52:53], off
	s_waitcnt vmcnt(0)
	ds_write_b32 v91, v52 offset:264
	v_add_u32_e32 v52, s64, v90
	v_ashrrev_i32_e32 v53, 31, v52
	v_lshlrev_b64 v[52:53], 2, v[52:53]
	v_add_co_u32_e32 v52, vcc, s6, v52
	v_addc_co_u32_e32 v53, vcc, v93, v53, vcc
	global_load_dword v52, v[52:53], off
	s_waitcnt vmcnt(0)
	ds_write_b32 v91, v52 offset:528
	v_add_u32_e32 v52, s65, v90
	v_ashrrev_i32_e32 v53, 31, v52
	v_lshlrev_b64 v[52:53], 2, v[52:53]
	v_add_co_u32_e32 v52, vcc, s6, v52
	v_addc_co_u32_e32 v53, vcc, v93, v53, vcc
	global_load_dword v52, v[52:53], off
	s_waitcnt vmcnt(0)
	ds_write_b32 v91, v52 offset:792
	v_add_u32_e32 v52, s66, v90
	v_ashrrev_i32_e32 v53, 31, v52
	v_lshlrev_b64 v[52:53], 2, v[52:53]
	v_add_co_u32_e32 v52, vcc, s6, v52
	v_addc_co_u32_e32 v53, vcc, v93, v53, vcc
	global_load_dword v52, v[52:53], off
	s_waitcnt vmcnt(0)
	ds_write_b32 v91, v52 offset:1056
	v_add_u32_e32 v52, s67, v90
	v_ashrrev_i32_e32 v53, 31, v52
	v_lshlrev_b64 v[52:53], 2, v[52:53]
	v_add_co_u32_e32 v52, vcc, s6, v52
	v_addc_co_u32_e32 v53, vcc, v93, v53, vcc
	global_load_dword v52, v[52:53], off
	s_waitcnt vmcnt(0)
	ds_write_b32 v91, v52 offset:1320
	v_add_u32_e32 v52, s68, v90
	v_ashrrev_i32_e32 v53, 31, v52
	v_lshlrev_b64 v[52:53], 2, v[52:53]
	v_add_co_u32_e32 v52, vcc, s6, v52
	v_addc_co_u32_e32 v53, vcc, v93, v53, vcc
	global_load_dword v52, v[52:53], off
	s_waitcnt vmcnt(0)
	ds_write_b32 v91, v52 offset:1584
	v_add_u32_e32 v52, s69, v90
	v_ashrrev_i32_e32 v53, 31, v52
	v_lshlrev_b64 v[52:53], 2, v[52:53]
	v_add_co_u32_e32 v52, vcc, s6, v52
	v_addc_co_u32_e32 v53, vcc, v93, v53, vcc
	global_load_dword v52, v[52:53], off
	s_waitcnt vmcnt(0)
	ds_write_b32 v91, v52 offset:1848
	v_add_u32_e32 v52, s70, v90
	v_ashrrev_i32_e32 v53, 31, v52
	v_lshlrev_b64 v[52:53], 2, v[52:53]
	v_add_co_u32_e32 v52, vcc, s6, v52
	v_addc_co_u32_e32 v53, vcc, v93, v53, vcc
	global_load_dword v52, v[52:53], off
	s_waitcnt vmcnt(0)
	ds_write_b32 v91, v52 offset:2112
	v_add_u32_e32 v52, s71, v90
	v_ashrrev_i32_e32 v53, 31, v52
	v_lshlrev_b64 v[52:53], 2, v[52:53]
	v_add_co_u32_e32 v52, vcc, s6, v52
	v_addc_co_u32_e32 v53, vcc, v93, v53, vcc
	global_load_dword v52, v[52:53], off
	s_waitcnt vmcnt(0)
	ds_write_b32 v91, v52 offset:2376
	v_add_u32_e32 v52, s72, v90
	v_ashrrev_i32_e32 v53, 31, v52
	v_lshlrev_b64 v[52:53], 2, v[52:53]
	v_add_co_u32_e32 v52, vcc, s6, v52
	v_addc_co_u32_e32 v53, vcc, v93, v53, vcc
	global_load_dword v52, v[52:53], off
	s_waitcnt vmcnt(0)
	ds_write_b32 v91, v52 offset:2640
	v_add_u32_e32 v52, s73, v90
	v_ashrrev_i32_e32 v53, 31, v52
	v_lshlrev_b64 v[52:53], 2, v[52:53]
	v_add_co_u32_e32 v52, vcc, s6, v52
	v_addc_co_u32_e32 v53, vcc, v93, v53, vcc
	global_load_dword v52, v[52:53], off
	s_waitcnt vmcnt(0)
	ds_write_b32 v91, v52 offset:2904
	v_add_u32_e32 v52, s74, v90
	v_ashrrev_i32_e32 v53, 31, v52
	v_lshlrev_b64 v[52:53], 2, v[52:53]
	v_add_co_u32_e32 v52, vcc, s6, v52
	v_addc_co_u32_e32 v53, vcc, v93, v53, vcc
	global_load_dword v52, v[52:53], off
	s_waitcnt vmcnt(0)
	ds_write_b32 v91, v52 offset:3168
	v_add_u32_e32 v52, s5, v90
	v_ashrrev_i32_e32 v53, 31, v52
	v_lshlrev_b64 v[52:53], 2, v[52:53]
	v_add_co_u32_e32 v52, vcc, s6, v52
	v_addc_co_u32_e32 v53, vcc, v93, v53, vcc
	global_load_dword v52, v[52:53], off
	s_waitcnt vmcnt(0)
	ds_write_b32 v91, v52 offset:3432
	v_add_u32_e32 v52, s13, v90
	v_ashrrev_i32_e32 v53, 31, v52
	v_lshlrev_b64 v[52:53], 2, v[52:53]
	v_add_co_u32_e32 v52, vcc, s6, v52
	v_addc_co_u32_e32 v53, vcc, v93, v53, vcc
	global_load_dword v52, v[52:53], off
	s_waitcnt vmcnt(0)
	ds_write_b32 v91, v52 offset:3696
	v_add_u32_e32 v52, s75, v90
	v_ashrrev_i32_e32 v53, 31, v52
	v_lshlrev_b64 v[52:53], 2, v[52:53]
	v_add_co_u32_e32 v52, vcc, s6, v52
	v_addc_co_u32_e32 v53, vcc, v93, v53, vcc
	global_load_dword v52, v[52:53], off
	v_add_co_u32_e32 v68, vcc, s6, v68
	v_addc_co_u32_e32 v69, vcc, v93, v69, vcc
	s_waitcnt vmcnt(0)
	ds_write_b32 v91, v52 offset:3960
	ds_read_b64 v[66:67], v92
	ds_read_b64 v[64:65], v92 offset:32
	ds_read_b64 v[62:63], v92 offset:64
	;; [unrolled: 1-line block ×7, first 2 shown]
	global_load_dword v68, v[68:69], off
	s_waitcnt vmcnt(0)
	ds_write_b32 v91, v68
	v_add_u32_e32 v68, s77, v90
	v_ashrrev_i32_e32 v69, 31, v68
	v_lshlrev_b64 v[68:69], 2, v[68:69]
	v_add_co_u32_e32 v68, vcc, s6, v68
	v_addc_co_u32_e32 v69, vcc, v93, v69, vcc
	global_load_dword v68, v[68:69], off
	s_waitcnt vmcnt(0)
	ds_write_b32 v91, v68 offset:264
	v_add_u32_e32 v68, s78, v90
	v_ashrrev_i32_e32 v69, 31, v68
	v_lshlrev_b64 v[68:69], 2, v[68:69]
	v_add_co_u32_e32 v68, vcc, s6, v68
	v_addc_co_u32_e32 v69, vcc, v93, v69, vcc
	global_load_dword v68, v[68:69], off
	s_waitcnt vmcnt(0)
	ds_write_b32 v91, v68 offset:528
	;; [unrolled: 8-line block ×15, first 2 shown]
	ds_read_b64 v[82:83], v92
	ds_read_b64 v[80:81], v92 offset:32
	ds_read_b64 v[78:79], v92 offset:64
	;; [unrolled: 1-line block ×7, first 2 shown]
	global_load_dwordx2 v[84:85], v[18:19], off
	s_waitcnt vmcnt(0)
	v_cvt_f16_f32_e32 v84, v84
	v_cvt_f16_f32_e32 v85, v85
	v_pack_b32_f16 v84, v84, v85
	ds_write_b32 v91, v84
	v_add_co_u32_e32 v84, vcc, s12, v18
	v_addc_co_u32_e32 v85, vcc, v19, v97, vcc
	global_load_dwordx2 v[84:85], v[84:85], off
	s_waitcnt vmcnt(0)
	v_cvt_f16_f32_e32 v84, v84
	v_cvt_f16_f32_e32 v85, v85
	v_pack_b32_f16 v84, v84, v85
	ds_write_b32 v91, v84 offset:264
	v_add_u32_e32 v84, s17, v90
	v_ashrrev_i32_e32 v85, 31, v84
	v_lshlrev_b64 v[84:85], 3, v[84:85]
	v_add_co_u32_e32 v84, vcc, s14, v84
	v_addc_co_u32_e32 v85, vcc, v94, v85, vcc
	global_load_dwordx2 v[84:85], v[84:85], off
	s_waitcnt vmcnt(0)
	v_cvt_f16_f32_e32 v84, v84
	v_cvt_f16_f32_e32 v85, v85
	v_pack_b32_f16 v84, v84, v85
	ds_write_b32 v91, v84 offset:528
	v_add_u32_e32 v84, s18, v90
	v_ashrrev_i32_e32 v85, 31, v84
	v_lshlrev_b64 v[84:85], 3, v[84:85]
	;; [unrolled: 11-line block ×11, first 2 shown]
	v_add_co_u32_e32 v84, vcc, s14, v84
	v_addc_co_u32_e32 v85, vcc, v94, v85, vcc
	global_load_dwordx2 v[84:85], v[84:85], off
	v_add_co_u32_e32 v16, vcc, 0x600, v16
	v_addc_co_u32_e32 v17, vcc, 0, v17, vcc
	v_add_co_u32_e32 v18, vcc, 0xc00, v18
	v_add_u32_e32 v90, 0x180, v90
	v_addc_co_u32_e32 v19, vcc, 0, v19, vcc
	v_cmp_le_i32_e32 vcc, s9, v90
	s_or_b64 s[0:1], vcc, s[0:1]
	s_waitcnt vmcnt(0)
	v_cvt_f16_f32_e32 v84, v84
	v_cvt_f16_f32_e32 v85, v85
	v_pack_b32_f16 v84, v84, v85
	ds_write_b32 v91, v84 offset:3168
	ds_write_b32 v91, v95 offset:3432
	;; [unrolled: 1-line block ×4, first 2 shown]
	ds_read_b64 v[84:85], v92
	ds_read_b64 v[98:99], v92 offset:32
	s_waitcnt lgkmcnt(1)
	v_mfma_f32_16x16x16f16 v[12:15], v[34:35], v[84:85], v[12:15]
	v_mfma_f32_16x16x16f16 v[8:11], v[50:51], v[84:85], v[8:11]
	;; [unrolled: 1-line block ×4, first 2 shown]
	s_waitcnt lgkmcnt(0)
	v_mfma_f32_16x16x16f16 v[12:15], v[32:33], v[98:99], v[12:15]
	ds_read_b64 v[32:33], v92 offset:64
	v_mfma_f32_16x16x16f16 v[8:11], v[48:49], v[98:99], v[8:11]
	v_mfma_f32_16x16x16f16 v[4:7], v[64:65], v[98:99], v[4:7]
	v_mfma_f32_16x16x16f16 v[0:3], v[80:81], v[98:99], v[0:3]
	s_waitcnt lgkmcnt(0)
	v_mfma_f32_16x16x16f16 v[12:15], v[30:31], v[32:33], v[12:15]
	ds_read_b64 v[30:31], v92 offset:96
	v_mfma_f32_16x16x16f16 v[8:11], v[46:47], v[32:33], v[8:11]
	v_mfma_f32_16x16x16f16 v[4:7], v[62:63], v[32:33], v[4:7]
	v_mfma_f32_16x16x16f16 v[0:3], v[78:79], v[32:33], v[0:3]
	;; [unrolled: 6-line block ×6, first 2 shown]
	s_waitcnt lgkmcnt(0)
	v_mfma_f32_16x16x16f16 v[12:15], v[20:21], v[22:23], v[12:15]
	v_mfma_f32_16x16x16f16 v[8:11], v[36:37], v[22:23], v[8:11]
	v_mfma_f32_16x16x16f16 v[4:7], v[52:53], v[22:23], v[4:7]
	v_mfma_f32_16x16x16f16 v[0:3], v[68:69], v[22:23], v[0:3]
	s_andn2_b64 exec, exec, s[0:1]
	s_cbranch_execnz .LBB116_4
; %bb.5:
	s_or_b64 exec, exec, s[0:1]
.LBB116_6:
	s_or_b64 exec, exec, s[24:25]
	v_mul_u32_u24_e32 v16, 0x608, v89
	v_lshlrev_b32_e32 v17, 2, v88
	v_add3_u32 v16, 0, v16, v17
	v_and_b32_e32 v17, 0x3f0, v87
	s_mul_hi_i32 s1, s19, s8
	s_mul_i32 s0, s19, s8
	v_add_u32_e32 v17, v16, v17
	s_lshl_b64 s[0:1], s[0:1], 2
	s_waitcnt lgkmcnt(0)
	s_barrier
	ds_write2_b32 v17, v12, v13 offset1:1
	ds_write_b32 v17, v14 offset:8
	v_or_b32_e32 v12, 12, v87
	s_mul_i32 s4, s7, s15
	s_add_u32 s6, s10, s0
	v_and_b32_e32 v12, 0x3fc, v12
	s_addc_u32 s7, s11, s1
	s_ashr_i32 s5, s4, 31
	v_add_u32_e32 v12, v16, v12
	s_lshl_b64 s[0:1], s[4:5], 2
	s_movk_i32 s4, 0x608
	ds_write_b32 v12, v15
	ds_write2_b32 v17, v8, v9 offset0:16 offset1:17
	ds_write_b32 v17, v10 offset:72
	ds_write_b32 v12, v11 offset:64
	ds_write2_b32 v17, v4, v5 offset0:32 offset1:33
	ds_write_b32 v17, v6 offset:136
	ds_write_b32 v12, v7 offset:128
	;; [unrolled: 3-line block ×3, first 2 shown]
	v_lshl_add_u32 v1, v87, 2, 0
	v_mad_u32_u24 v8, v86, s4, v1
	s_waitcnt lgkmcnt(0)
	s_barrier
	ds_read2st64_b32 v[2:3], v8 offset1:1
	ds_read2st64_b32 v[4:5], v8 offset0:2 offset1:3
	ds_read2st64_b32 v[6:7], v8 offset0:4 offset1:5
	v_add_u32_e32 v0, s3, v87
	s_add_u32 s0, s6, s0
	s_waitcnt lgkmcnt(2)
	v_add_f32_e32 v2, 0, v2
	v_add_f32_e32 v2, v2, v3
	s_waitcnt lgkmcnt(1)
	v_add_f32_e32 v2, v2, v4
	v_add_f32_e32 v2, v2, v5
	;; [unrolled: 3-line block ×3, first 2 shown]
	v_mad_u64_u32 v[2:3], s[4:5], v86, s2, v[0:1]
	v_mov_b32_e32 v3, 0
	v_add_u32_e32 v11, 48, v8
	s_addc_u32 s1, s7, s1
	v_lshlrev_b64 v[4:5], 2, v[2:3]
	ds_read2st64_b32 v[6:7], v11 offset0:36 offset1:37
	v_mov_b32_e32 v9, s1
	v_add_co_u32_e32 v4, vcc, s0, v4
	v_addc_co_u32_e32 v5, vcc, v9, v5, vcc
	ds_read2st64_b32 v[8:9], v11 offset0:38 offset1:39
	global_store_dword v[4:5], v10, off
	ds_read2st64_b32 v[4:5], v11 offset0:40 offset1:41
	s_waitcnt lgkmcnt(2)
	v_add_f32_e32 v6, 0, v6
	v_add_f32_e32 v6, v6, v7
	s_waitcnt lgkmcnt(1)
	v_add_f32_e32 v6, v6, v8
	v_add_f32_e32 v6, v6, v9
	;; [unrolled: 3-line block ×3, first 2 shown]
	v_mad_u64_u32 v[4:5], s[4:5], s2, 6, v[2:3]
	v_mov_b32_e32 v5, v3
	v_lshlrev_b64 v[4:5], 2, v[4:5]
	v_mov_b32_e32 v2, s1
	v_add_co_u32_e32 v4, vcc, s0, v4
	v_addc_co_u32_e32 v5, vcc, v2, v5, vcc
	v_cmp_eq_u32_e32 vcc, 0, v86
	global_store_dword v[4:5], v6, off
	s_and_saveexec_b64 s[4:5], vcc
	s_cbranch_execz .LBB116_8
; %bb.7:
	v_add_u32_e32 v2, 0x60, v1
	ds_read2st64_b32 v[4:5], v2 offset0:72 offset1:73
	ds_read2st64_b32 v[6:7], v2 offset0:74 offset1:75
	v_mad_u64_u32 v[0:1], s[2:3], s2, 12, v[0:1]
	ds_read2st64_b32 v[8:9], v2 offset0:76 offset1:77
	s_waitcnt lgkmcnt(2)
	v_add_f32_e32 v1, 0, v4
	v_add_f32_e32 v1, v1, v5
	s_waitcnt lgkmcnt(1)
	v_add_f32_e32 v1, v1, v6
	v_add_f32_e32 v1, v1, v7
	;; [unrolled: 3-line block ×3, first 2 shown]
	v_mov_b32_e32 v1, v3
	v_lshlrev_b64 v[0:1], 2, v[0:1]
	v_mov_b32_e32 v3, s1
	v_add_co_u32_e32 v0, vcc, s0, v0
	v_addc_co_u32_e32 v1, vcc, v3, v1, vcc
	global_store_dword v[0:1], v2, off
.LBB116_8:
	s_endpgm
	.section	.rodata,"a",@progbits
	.p2align	6, 0x0
	.amdhsa_kernel _ZL9mul_mat_fI7__half2Li64ELi13ELi6ELb0EEvPKT_PKfPKiPfiiiiiiiiiiiiiiii
		.amdhsa_group_segment_fixed_size 0
		.amdhsa_private_segment_fixed_size 0
		.amdhsa_kernarg_size 96
		.amdhsa_user_sgpr_count 6
		.amdhsa_user_sgpr_private_segment_buffer 1
		.amdhsa_user_sgpr_dispatch_ptr 0
		.amdhsa_user_sgpr_queue_ptr 0
		.amdhsa_user_sgpr_kernarg_segment_ptr 1
		.amdhsa_user_sgpr_dispatch_id 0
		.amdhsa_user_sgpr_flat_scratch_init 0
		.amdhsa_user_sgpr_kernarg_preload_length 0
		.amdhsa_user_sgpr_kernarg_preload_offset 0
		.amdhsa_user_sgpr_private_segment_size 0
		.amdhsa_uses_dynamic_stack 0
		.amdhsa_system_sgpr_private_segment_wavefront_offset 0
		.amdhsa_system_sgpr_workgroup_id_x 1
		.amdhsa_system_sgpr_workgroup_id_y 1
		.amdhsa_system_sgpr_workgroup_id_z 1
		.amdhsa_system_sgpr_workgroup_info 0
		.amdhsa_system_vgpr_workitem_id 1
		.amdhsa_next_free_vgpr 100
		.amdhsa_next_free_sgpr 91
		.amdhsa_accum_offset 100
		.amdhsa_reserve_vcc 1
		.amdhsa_reserve_flat_scratch 0
		.amdhsa_float_round_mode_32 0
		.amdhsa_float_round_mode_16_64 0
		.amdhsa_float_denorm_mode_32 3
		.amdhsa_float_denorm_mode_16_64 3
		.amdhsa_dx10_clamp 1
		.amdhsa_ieee_mode 1
		.amdhsa_fp16_overflow 0
		.amdhsa_tg_split 0
		.amdhsa_exception_fp_ieee_invalid_op 0
		.amdhsa_exception_fp_denorm_src 0
		.amdhsa_exception_fp_ieee_div_zero 0
		.amdhsa_exception_fp_ieee_overflow 0
		.amdhsa_exception_fp_ieee_underflow 0
		.amdhsa_exception_fp_ieee_inexact 0
		.amdhsa_exception_int_div_zero 0
	.end_amdhsa_kernel
	.section	.text._ZL9mul_mat_fI7__half2Li64ELi13ELi6ELb0EEvPKT_PKfPKiPfiiiiiiiiiiiiiiii,"axG",@progbits,_ZL9mul_mat_fI7__half2Li64ELi13ELi6ELb0EEvPKT_PKfPKiPfiiiiiiiiiiiiiiii,comdat
.Lfunc_end116:
	.size	_ZL9mul_mat_fI7__half2Li64ELi13ELi6ELb0EEvPKT_PKfPKiPfiiiiiiiiiiiiiiii, .Lfunc_end116-_ZL9mul_mat_fI7__half2Li64ELi13ELi6ELb0EEvPKT_PKfPKiPfiiiiiiiiiiiiiiii
                                        ; -- End function
	.section	.AMDGPU.csdata,"",@progbits
; Kernel info:
; codeLenInByte = 5792
; NumSgprs: 95
; NumVgprs: 100
; NumAgprs: 0
; TotalNumVgprs: 100
; ScratchSize: 0
; MemoryBound: 0
; FloatMode: 240
; IeeeMode: 1
; LDSByteSize: 0 bytes/workgroup (compile time only)
; SGPRBlocks: 11
; VGPRBlocks: 12
; NumSGPRsForWavesPerEU: 95
; NumVGPRsForWavesPerEU: 100
; AccumOffset: 100
; Occupancy: 4
; WaveLimiterHint : 0
; COMPUTE_PGM_RSRC2:SCRATCH_EN: 0
; COMPUTE_PGM_RSRC2:USER_SGPR: 6
; COMPUTE_PGM_RSRC2:TRAP_HANDLER: 0
; COMPUTE_PGM_RSRC2:TGID_X_EN: 1
; COMPUTE_PGM_RSRC2:TGID_Y_EN: 1
; COMPUTE_PGM_RSRC2:TGID_Z_EN: 1
; COMPUTE_PGM_RSRC2:TIDIG_COMP_CNT: 1
; COMPUTE_PGM_RSRC3_GFX90A:ACCUM_OFFSET: 24
; COMPUTE_PGM_RSRC3_GFX90A:TG_SPLIT: 0
	.section	.text._ZL13mul_mat_f_idsI7__half2Li64ELi13ELi7EEvPKT_PKfPKiS7_S7_Pfiiiiiiiiiiiiii15HIP_vector_typeIjLj3EESA_,"axG",@progbits,_ZL13mul_mat_f_idsI7__half2Li64ELi13ELi7EEvPKT_PKfPKiS7_S7_Pfiiiiiiiiiiiiii15HIP_vector_typeIjLj3EESA_,comdat
	.globl	_ZL13mul_mat_f_idsI7__half2Li64ELi13ELi7EEvPKT_PKfPKiS7_S7_Pfiiiiiiiiiiiiii15HIP_vector_typeIjLj3EESA_ ; -- Begin function _ZL13mul_mat_f_idsI7__half2Li64ELi13ELi7EEvPKT_PKfPKiS7_S7_Pfiiiiiiiiiiiiii15HIP_vector_typeIjLj3EESA_
	.p2align	8
	.type	_ZL13mul_mat_f_idsI7__half2Li64ELi13ELi7EEvPKT_PKfPKiS7_S7_Pfiiiiiiiiiiiiii15HIP_vector_typeIjLj3EESA_,@function
_ZL13mul_mat_f_idsI7__half2Li64ELi13ELi7EEvPKT_PKfPKiS7_S7_Pfiiiiiiiiiiiiii15HIP_vector_typeIjLj3EESA_: ; @_ZL13mul_mat_f_idsI7__half2Li64ELi13ELi7EEvPKT_PKfPKiS7_S7_Pfiiiiiiiiiiiiii15HIP_vector_typeIjLj3EESA_
; %bb.0:
	s_load_dwordx2 s[0:1], s[4:5], 0x20
	s_mov_b32 s34, s7
	s_ashr_i32 s35, s7, 31
	s_lshl_b64 s[2:3], s[34:35], 2
	s_waitcnt lgkmcnt(0)
	s_add_u32 s0, s0, s2
	s_addc_u32 s1, s1, s3
	s_load_dwordx2 s[26:27], s[0:1], 0x0
	s_waitcnt lgkmcnt(0)
	s_sub_i32 s33, s27, s26
	s_add_i32 s0, s33, 12
	s_mul_hi_i32 s0, s0, 0x4ec4ec4f
	s_lshr_b32 s1, s0, 31
	s_ashr_i32 s0, s0, 2
	s_add_i32 s0, s0, s1
	s_cmp_ge_i32 s8, s0
	s_cbranch_scc1 .LBB117_53
; %bb.1:
	v_bfe_u32 v108, v0, 10, 10
	v_lshlrev_b32_e32 v110, 6, v108
	v_and_b32_e32 v109, 0x3ff, v0
	s_load_dwordx4 s[12:15], s[4:5], 0x30
	s_load_dwordx2 s[20:21], s[4:5], 0x40
	s_load_dwordx4 s[0:3], s[4:5], 0x4c
	s_load_dwordx4 s[16:19], s[4:5], 0x68
	s_load_dwordx2 s[24:25], s[4:5], 0x78
	v_add_u32_e32 v112, v110, v109
	s_ashr_i32 s27, s26, 31
	s_waitcnt lgkmcnt(0)
	v_cmp_le_i32_e32 vcc, s12, v112
	v_and_b32_e32 v111, 15, v109
                                        ; implicit-def: $sgpr3
	s_and_saveexec_b64 s[10:11], vcc
	s_xor_b64 s[10:11], exec, s[10:11]
; %bb.2:
	v_and_b32_e32 v111, 15, v109
	s_mov_b32 s3, 0
                                        ; implicit-def: $vgpr112
; %bb.3:
	s_or_saveexec_b64 s[22:23], s[10:11]
	s_load_dwordx2 s[10:11], s[4:5], 0x18
                                        ; implicit-def: $vgpr119 : SGPR spill to VGPR lane
	s_lshl_b32 s28, s6, 6
	s_mul_i32 s6, s8, 13
	v_mov_b32_e32 v15, s3
	v_mov_b32_e32 v14, s3
	s_waitcnt lgkmcnt(0)
	v_writelane_b32 v119, s10, 0
	v_writelane_b32 v119, s11, 1
	s_load_dwordx2 s[10:11], s[4:5], 0x28
	v_mov_b32_e32 v13, s3
	v_mov_b32_e32 v12, s3
	;; [unrolled: 1-line block ×4, first 2 shown]
	s_waitcnt lgkmcnt(0)
	v_writelane_b32 v119, s10, 2
	v_writelane_b32 v119, s11, 3
	v_mov_b32_e32 v1, s3
	v_mov_b32_e32 v0, s3
	;; [unrolled: 1-line block ×10, first 2 shown]
	v_writelane_b32 v119, s22, 4
	v_writelane_b32 v119, s23, 5
	s_xor_b64 exec, exec, s[22:23]
	s_cbranch_execz .LBB117_46
; %bb.4:
	v_writelane_b32 v119, s24, 6
	v_writelane_b32 v119, s25, 7
	s_load_dwordx4 s[8:11], s[4:5], 0x0
	s_load_dwordx2 s[22:23], s[4:5], 0x10
	s_mul_i32 s4, s34, s0
	s_mul_i32 s24, s28, s15
	s_ashr_i32 s5, s4, 31
	s_ashr_i32 s25, s24, 31
	s_lshl_b64 s[24:25], s[24:25], 2
	s_lshl_b64 s[4:5], s[4:5], 2
	s_add_u32 s3, s4, s24
	s_addc_u32 s24, s5, s25
	v_writelane_b32 v119, s28, 8
	s_waitcnt lgkmcnt(0)
	s_add_u32 s0, s3, s8
	s_addc_u32 s25, s24, s9
	v_writelane_b32 v119, s26, 9
	s_lshl_b64 s[4:5], s[26:27], 2
	v_writelane_b32 v119, s27, 10
	s_add_u32 s26, s22, s4
	s_addc_u32 s27, s23, s5
	s_movk_i32 s4, 0x1080
	s_cmp_lt_i32 s6, s33
	v_mad_u32_u24 v0, v108, s4, 0
	s_cselect_b64 s[4:5], -1, 0
	s_ashr_i32 s7, s6, 31
	s_lshl_b64 s[22:23], s[6:7], 2
	s_add_u32 s34, s26, s22
	s_addc_u32 s35, s27, s23
	s_add_i32 s7, s6, 1
	s_cmp_lt_i32 s7, s33
	s_cselect_b64 s[36:37], -1, 0
	s_add_i32 s7, s6, 2
	s_cmp_lt_i32 s7, s33
	s_cselect_b64 s[38:39], -1, 0
	;; [unrolled: 3-line block ×3, first 2 shown]
	s_add_i32 s7, s6, 4
	s_cmp_lt_i32 s7, s33
	v_lshrrev_b32_e32 v3, 1, v109
	s_cselect_b64 s[42:43], -1, 0
	s_add_i32 s7, s6, 5
	v_lshlrev_b32_e32 v1, 2, v109
	v_mul_u32_u24_e32 v2, 0x108, v111
	v_and_b32_e32 v3, 0x1f8, v3
	s_cmp_lt_i32 s7, s33
	v_add_u32_e32 v113, v0, v1
	v_add3_u32 v114, v0, v2, v3
	s_cselect_b64 s[44:45], -1, 0
	s_add_i32 s7, s6, 6
	v_lshlrev_b32_e32 v0, 8, v108
	s_cmp_lt_i32 s7, s33
	v_add_co_u32_e32 v0, vcc, s3, v0
	s_mul_i32 s3, s15, 3
	s_cselect_b64 s[46:47], -1, 0
	s_add_i32 s7, s6, 7
	v_writelane_b32 v119, s3, 11
	s_mul_i32 s3, s15, 5
	s_cmp_lt_i32 s7, s33
	v_writelane_b32 v119, s3, 12
	s_mul_i32 s3, s15, 6
	s_cselect_b64 s[48:49], -1, 0
	s_add_i32 s7, s6, 8
	v_writelane_b32 v119, s3, 13
	s_mul_i32 s3, s15, 7
	s_cmp_lt_i32 s7, s33
	v_writelane_b32 v119, s3, 14
	;; [unrolled: 7-line block ×4, first 2 shown]
	s_mul_i32 s3, s15, 13
	s_cselect_b64 s[54:55], -1, 0
	s_add_i32 s7, s6, 11
	v_writelane_b32 v119, s3, 19
	s_mul_i32 s3, s15, 14
	s_cmp_lt_i32 s7, s33
	v_mov_b32_e32 v2, s24
	v_writelane_b32 v119, s3, 20
	s_mul_i32 s3, s15, 15
	s_cselect_b64 s[56:57], -1, 0
	s_add_i32 s7, s6, 12
	v_addc_co_u32_e32 v2, vcc, 0, v2, vcc
	v_writelane_b32 v119, s3, 21
	s_mul_i32 s3, s15, 17
	s_cmp_lt_i32 s7, s33
	v_add_co_u32_e32 v0, vcc, v0, v1
	v_writelane_b32 v119, s3, 22
	s_mul_i32 s3, s15, 18
	s_cselect_b64 s[58:59], -1, 0
	s_ashr_i32 s23, s15, 31
	s_mov_b32 s22, s15
	v_addc_co_u32_e32 v1, vcc, 0, v2, vcc
	v_writelane_b32 v119, s3, 23
	s_mul_i32 s3, s15, 19
	s_lshl_b64 s[60:61], s[22:23], 2
	v_mov_b32_e32 v2, s9
	v_add_co_u32_e32 v16, vcc, s8, v0
	v_writelane_b32 v119, s3, 24
	s_mul_i32 s3, s15, 20
	v_mov_b32_e32 v116, 0
	v_addc_co_u32_e32 v17, vcc, v2, v1, vcc
	s_lshl_b32 s7, s15, 1
	s_lshl_b32 s63, s15, 2
	;; [unrolled: 1-line block ×4, first 2 shown]
	v_writelane_b32 v119, s3, 25
	s_mul_i32 s80, s15, 21
	s_mul_i32 s81, s15, 22
	;; [unrolled: 1-line block ×11, first 2 shown]
	s_lshl_b32 s91, s15, 5
	s_mul_i32 s92, s15, 33
	s_mul_i32 s93, s15, 34
	;; [unrolled: 1-line block ×5, first 2 shown]
	v_mov_b32_e32 v115, s25
	s_mul_i32 s25, s15, 38
	v_mov_b32_e32 v117, s61
	v_mov_b32_e32 v8, 0
	;; [unrolled: 1-line block ×17, first 2 shown]
	s_mul_i32 s61, s15, 39
	s_mul_i32 s22, s15, 40
	;; [unrolled: 1-line block ×25, first 2 shown]
	s_mov_b64 s[8:9], 0
	s_branch .LBB117_6
.LBB117_5:                              ;   in Loop: Header=BB117_6 Depth=1
	s_waitcnt vmcnt(0)
	v_cvt_f16_f32_e32 v82, v82
	v_cvt_f16_f32_e32 v83, v83
	;; [unrolled: 1-line block ×4, first 2 shown]
	v_add_co_u32_e32 v16, vcc, 0x700, v16
	v_pack_b32_f16 v82, v82, v83
	v_cvt_f16_f32_e32 v83, v84
	v_cvt_f16_f32_e32 v84, v85
	;; [unrolled: 1-line block ×4, first 2 shown]
	v_pack_b32_f16 v86, v86, v87
	ds_write2_b32 v113, v82, v86 offset1:66
	v_pack_b32_f16 v82, v83, v84
	v_pack_b32_f16 v83, v85, v90
	v_cvt_f16_f32_e32 v84, v88
	v_cvt_f16_f32_e32 v85, v89
	ds_write2_b32 v113, v82, v83 offset0:132 offset1:198
	v_cvt_f16_f32_e32 v82, v94
	v_cvt_f16_f32_e32 v83, v95
	v_pack_b32_f16 v84, v84, v85
	v_cvt_f16_f32_e32 v85, v92
	v_cvt_f16_f32_e32 v86, v93
	v_pack_b32_f16 v82, v82, v83
	v_add_u32_e32 v83, 0x400, v113
	ds_write2_b32 v83, v84, v82 offset0:8 offset1:74
	v_pack_b32_f16 v82, v85, v86
	v_cvt_f16_f32_e32 v84, v98
	v_cvt_f16_f32_e32 v85, v99
	;; [unrolled: 1-line block ×6, first 2 shown]
	v_pack_b32_f16 v84, v84, v85
	ds_write2_b32 v83, v82, v84 offset0:140 offset1:206
	v_pack_b32_f16 v82, v86, v87
	v_pack_b32_f16 v83, v88, v89
	v_add_u32_e32 v84, 0x800, v113
	ds_write2_b32 v84, v82, v83 offset0:16 offset1:82
	v_cvt_f16_f32_e32 v82, v100
	v_cvt_f16_f32_e32 v83, v101
	;; [unrolled: 1-line block ×6, first 2 shown]
	v_pack_b32_f16 v82, v82, v83
	v_pack_b32_f16 v83, v85, v86
	ds_write2_b32 v84, v82, v83 offset0:148 offset1:214
	v_pack_b32_f16 v82, v87, v88
	v_add_u32_e32 v83, 0xc00, v113
	ds_write2_b32 v83, v82, v116 offset0:24 offset1:90
	ds_write2_b32 v83, v116, v116 offset0:156 offset1:222
	ds_read2_b64 v[82:85], v114 offset1:4
	s_waitcnt lgkmcnt(0)
	v_mfma_f32_16x16x16f16 v[8:11], v[34:35], v[82:83], v[8:11]
	v_add_u32_e32 v112, 0x1c0, v112
	v_addc_co_u32_e32 v17, vcc, 0, v17, vcc
	v_cmp_le_i32_e32 vcc, s12, v112
	s_or_b64 s[8:9], vcc, s[8:9]
	v_mfma_f32_16x16x16f16 v[4:7], v[50:51], v[82:83], v[4:7]
	v_mfma_f32_16x16x16f16 v[0:3], v[64:65], v[82:83], v[0:3]
	;; [unrolled: 1-line block ×6, first 2 shown]
	ds_read2_b64 v[62:65], v114 offset0:8 offset1:12
	v_mfma_f32_16x16x16f16 v[12:15], v[78:79], v[84:85], v[12:15]
	s_waitcnt lgkmcnt(0)
	v_mfma_f32_16x16x16f16 v[8:11], v[28:29], v[62:63], v[8:11]
	v_mfma_f32_16x16x16f16 v[4:7], v[44:45], v[62:63], v[4:7]
	;; [unrolled: 1-line block ×5, first 2 shown]
	ds_read2_b64 v[26:29], v114 offset0:16 offset1:20
	v_mfma_f32_16x16x16f16 v[4:7], v[42:43], v[64:65], v[4:7]
	v_mfma_f32_16x16x16f16 v[0:3], v[58:59], v[64:65], v[0:3]
	;; [unrolled: 1-line block ×3, first 2 shown]
	s_waitcnt lgkmcnt(0)
	v_mfma_f32_16x16x16f16 v[8:11], v[24:25], v[26:27], v[8:11]
	v_mfma_f32_16x16x16f16 v[4:7], v[40:41], v[26:27], v[4:7]
	;; [unrolled: 1-line block ×5, first 2 shown]
	ds_read2_b64 v[22:25], v114 offset0:24 offset1:28
	v_mfma_f32_16x16x16f16 v[4:7], v[38:39], v[28:29], v[4:7]
	v_mfma_f32_16x16x16f16 v[0:3], v[54:55], v[28:29], v[0:3]
	;; [unrolled: 1-line block ×3, first 2 shown]
	s_waitcnt lgkmcnt(0)
	v_mfma_f32_16x16x16f16 v[8:11], v[20:21], v[22:23], v[8:11]
	v_mfma_f32_16x16x16f16 v[4:7], v[36:37], v[22:23], v[4:7]
	;; [unrolled: 1-line block ×8, first 2 shown]
	s_andn2_b64 exec, exec, s[8:9]
	s_cbranch_execz .LBB117_45
.LBB117_6:                              ; =>This Inner Loop Header: Depth=1
	v_add_co_u32_e32 v18, vcc, s60, v16
	v_addc_co_u32_e32 v19, vcc, v17, v117, vcc
	global_load_dword v30, v[16:17], off
	global_load_dword v31, v[18:19], off
	v_add_u32_e32 v18, s7, v112
	v_ashrrev_i32_e32 v19, 31, v18
	v_readlane_b32 s79, v119, 11
	v_lshlrev_b64 v[18:19], 2, v[18:19]
	v_add_u32_e32 v20, s79, v112
	v_add_co_u32_e32 v18, vcc, s0, v18
	v_ashrrev_i32_e32 v21, 31, v20
	v_addc_co_u32_e32 v19, vcc, v115, v19, vcc
	v_lshlrev_b64 v[20:21], 2, v[20:21]
	v_add_u32_e32 v22, s63, v112
	v_add_co_u32_e32 v20, vcc, s0, v20
	v_ashrrev_i32_e32 v23, 31, v22
	v_readlane_b32 s79, v119, 12
	v_addc_co_u32_e32 v21, vcc, v115, v21, vcc
	v_lshlrev_b64 v[22:23], 2, v[22:23]
	v_add_u32_e32 v24, s79, v112
	v_add_co_u32_e32 v22, vcc, s0, v22
	v_ashrrev_i32_e32 v25, 31, v24
	v_readlane_b32 s79, v119, 13
	;; [unrolled: 6-line block ×3, first 2 shown]
	v_addc_co_u32_e32 v25, vcc, v115, v25, vcc
	v_lshlrev_b64 v[26:27], 2, v[26:27]
	v_add_u32_e32 v28, s79, v112
	v_add_co_u32_e32 v26, vcc, s0, v26
	v_ashrrev_i32_e32 v29, 31, v28
	v_addc_co_u32_e32 v27, vcc, v115, v27, vcc
	v_lshlrev_b64 v[28:29], 2, v[28:29]
	v_add_co_u32_e32 v28, vcc, s0, v28
	v_addc_co_u32_e32 v29, vcc, v115, v29, vcc
	global_load_dword v32, v[18:19], off
	global_load_dword v33, v[20:21], off
	;; [unrolled: 1-line block ×3, first 2 shown]
	s_nop 0
	global_load_dword v24, v[24:25], off
	s_nop 0
	global_load_dword v25, v[26:27], off
	;; [unrolled: 2-line block ×3, first 2 shown]
	v_add_u32_e32 v18, s67, v112
	v_readlane_b32 s79, v119, 15
	v_ashrrev_i32_e32 v19, 31, v18
	v_add_u32_e32 v20, s79, v112
	v_lshlrev_b64 v[18:19], 2, v[18:19]
	v_readlane_b32 s79, v119, 16
	v_ashrrev_i32_e32 v21, 31, v20
	v_add_co_u32_e32 v18, vcc, s0, v18
	v_add_u32_e32 v22, s79, v112
	v_lshlrev_b64 v[20:21], 2, v[20:21]
	v_addc_co_u32_e32 v19, vcc, v115, v19, vcc
	v_ashrrev_i32_e32 v23, 31, v22
	v_add_co_u32_e32 v20, vcc, s0, v20
	v_readlane_b32 s79, v119, 17
	v_lshlrev_b64 v[22:23], 2, v[22:23]
	v_addc_co_u32_e32 v21, vcc, v115, v21, vcc
	global_load_dword v18, v[18:19], off
	s_nop 0
	global_load_dword v19, v[20:21], off
	v_add_u32_e32 v20, s79, v112
	v_add_co_u32_e32 v22, vcc, s0, v22
	v_ashrrev_i32_e32 v21, 31, v20
	v_addc_co_u32_e32 v23, vcc, v115, v23, vcc
	v_lshlrev_b64 v[20:21], 2, v[20:21]
	v_readlane_b32 s79, v119, 18
	v_add_u32_e32 v58, s23, v112
	v_ashrrev_i32_e32 v59, 31, v58
	v_lshlrev_b64 v[58:59], 2, v[58:59]
	s_waitcnt vmcnt(9)
	ds_write_b32 v113, v30
	s_waitcnt vmcnt(8)
	ds_write_b32 v113, v31 offset:264
	s_waitcnt vmcnt(7)
	ds_write_b32 v113, v32 offset:528
	;; [unrolled: 2-line block ×7, first 2 shown]
	v_add_co_u32_e32 v24, vcc, s0, v20
	v_add_u32_e32 v20, s79, v112
	v_addc_co_u32_e32 v25, vcc, v115, v21, vcc
	v_ashrrev_i32_e32 v21, 31, v20
	v_lshlrev_b64 v[20:21], 2, v[20:21]
	v_readlane_b32 s79, v119, 19
	v_add_co_u32_e32 v26, vcc, s0, v20
	v_add_u32_e32 v20, s79, v112
	v_addc_co_u32_e32 v27, vcc, v115, v21, vcc
	v_ashrrev_i32_e32 v21, 31, v20
	v_lshlrev_b64 v[20:21], 2, v[20:21]
	v_readlane_b32 s79, v119, 20
	;; [unrolled: 6-line block ×3, first 2 shown]
	v_add_co_u32_e32 v30, vcc, s0, v20
	v_add_u32_e32 v20, s79, v112
	v_addc_co_u32_e32 v31, vcc, v115, v21, vcc
	v_ashrrev_i32_e32 v21, 31, v20
	v_lshlrev_b64 v[20:21], 2, v[20:21]
	v_add_co_u32_e32 v32, vcc, s0, v20
	v_add_u32_e32 v20, s75, v112
	v_addc_co_u32_e32 v33, vcc, v115, v21, vcc
	v_ashrrev_i32_e32 v21, 31, v20
	v_lshlrev_b64 v[20:21], 2, v[20:21]
	v_readlane_b32 s79, v119, 22
	v_add_co_u32_e32 v34, vcc, s0, v20
	v_add_u32_e32 v20, s79, v112
	v_addc_co_u32_e32 v35, vcc, v115, v21, vcc
	v_ashrrev_i32_e32 v21, 31, v20
	v_lshlrev_b64 v[20:21], 2, v[20:21]
	v_add_co_u32_e32 v36, vcc, s0, v20
	v_readlane_b32 s79, v119, 23
	v_addc_co_u32_e32 v37, vcc, v115, v21, vcc
	global_load_dword v20, v[22:23], off
	global_load_dword v21, v[24:25], off
	s_nop 0
	global_load_dword v22, v[26:27], off
	global_load_dword v23, v[28:29], off
	global_load_dword v24, v[30:31], off
	global_load_dword v25, v[32:33], off
	s_nop 0
	global_load_dword v32, v[34:35], off
	global_load_dword v33, v[36:37], off
	v_add_u32_e32 v26, s79, v112
	v_ashrrev_i32_e32 v27, 31, v26
	v_readlane_b32 s79, v119, 24
	v_lshlrev_b64 v[26:27], 2, v[26:27]
	v_add_u32_e32 v28, s79, v112
	v_add_co_u32_e32 v26, vcc, s0, v26
	v_ashrrev_i32_e32 v29, 31, v28
	v_readlane_b32 s79, v119, 25
	v_addc_co_u32_e32 v27, vcc, v115, v27, vcc
	v_lshlrev_b64 v[28:29], 2, v[28:29]
	v_add_u32_e32 v30, s79, v112
	v_add_co_u32_e32 v28, vcc, s0, v28
	v_ashrrev_i32_e32 v31, 31, v30
	v_addc_co_u32_e32 v29, vcc, v115, v29, vcc
	v_lshlrev_b64 v[30:31], 2, v[30:31]
	v_add_u32_e32 v34, s80, v112
	v_add_co_u32_e32 v30, vcc, s0, v30
	v_ashrrev_i32_e32 v35, 31, v34
	;; [unrolled: 5-line block ×3, first 2 shown]
	v_addc_co_u32_e32 v35, vcc, v115, v35, vcc
	v_lshlrev_b64 v[36:37], 2, v[36:37]
	v_add_co_u32_e32 v40, vcc, s0, v36
	v_add_u32_e32 v36, s82, v112
	v_addc_co_u32_e32 v41, vcc, v115, v37, vcc
	v_ashrrev_i32_e32 v37, 31, v36
	v_lshlrev_b64 v[36:37], 2, v[36:37]
	v_add_co_u32_e32 v42, vcc, s0, v36
	v_add_u32_e32 v36, s83, v112
	v_addc_co_u32_e32 v43, vcc, v115, v37, vcc
	v_ashrrev_i32_e32 v37, 31, v36
	;; [unrolled: 5-line block ×3, first 2 shown]
	v_lshlrev_b64 v[36:37], 2, v[36:37]
	v_add_co_u32_e32 v46, vcc, s0, v36
	v_addc_co_u32_e32 v47, vcc, v115, v37, vcc
	global_load_dword v36, v[26:27], off
	global_load_dword v37, v[28:29], off
	;; [unrolled: 1-line block ×4, first 2 shown]
	s_nop 0
	global_load_dword v40, v[40:41], off
	s_nop 0
	global_load_dword v41, v[42:43], off
	;; [unrolled: 2-line block ×3, first 2 shown]
	global_load_dword v43, v[46:47], off
	v_add_u32_e32 v26, s85, v112
	v_ashrrev_i32_e32 v27, 31, v26
	v_lshlrev_b64 v[26:27], 2, v[26:27]
	v_add_u32_e32 v28, s86, v112
	v_add_co_u32_e32 v26, vcc, s0, v26
	v_ashrrev_i32_e32 v29, 31, v28
	v_addc_co_u32_e32 v27, vcc, v115, v27, vcc
	v_lshlrev_b64 v[28:29], 2, v[28:29]
	v_add_u32_e32 v30, s87, v112
	v_add_co_u32_e32 v28, vcc, s0, v28
	v_ashrrev_i32_e32 v31, 31, v30
	v_addc_co_u32_e32 v29, vcc, v115, v29, vcc
	;; [unrolled: 5-line block ×4, first 2 shown]
	v_lshlrev_b64 v[44:45], 2, v[44:45]
	v_add_co_u32_e32 v48, vcc, s0, v44
	v_add_u32_e32 v44, s90, v112
	v_addc_co_u32_e32 v49, vcc, v115, v45, vcc
	v_ashrrev_i32_e32 v45, 31, v44
	v_lshlrev_b64 v[44:45], 2, v[44:45]
	v_add_co_u32_e32 v52, vcc, s0, v44
	v_add_u32_e32 v44, s91, v112
	v_addc_co_u32_e32 v53, vcc, v115, v45, vcc
	v_ashrrev_i32_e32 v45, 31, v44
	;; [unrolled: 5-line block ×3, first 2 shown]
	v_lshlrev_b64 v[44:45], 2, v[44:45]
	v_add_co_u32_e32 v56, vcc, s0, v44
	v_addc_co_u32_e32 v57, vcc, v115, v45, vcc
	global_load_dword v44, v[26:27], off
	global_load_dword v45, v[28:29], off
	global_load_dword v46, v[30:31], off
	global_load_dword v47, v[34:35], off
	global_load_dword v50, v[48:49], off
	global_load_dword v51, v[52:53], off
	s_nop 0
	global_load_dword v48, v[54:55], off
	global_load_dword v49, v[56:57], off
	v_add_u32_e32 v26, s93, v112
	v_ashrrev_i32_e32 v27, 31, v26
	v_lshlrev_b64 v[26:27], 2, v[26:27]
	v_add_u32_e32 v28, s94, v112
	v_add_co_u32_e32 v26, vcc, s0, v26
	v_ashrrev_i32_e32 v29, 31, v28
	v_addc_co_u32_e32 v27, vcc, v115, v27, vcc
	v_lshlrev_b64 v[28:29], 2, v[28:29]
	v_add_u32_e32 v30, s95, v112
	v_add_co_u32_e32 v28, vcc, s0, v28
	v_ashrrev_i32_e32 v31, 31, v30
	v_addc_co_u32_e32 v29, vcc, v115, v29, vcc
	;; [unrolled: 5-line block ×6, first 2 shown]
	v_lshlrev_b64 v[56:57], 2, v[56:57]
	v_add_co_u32_e32 v56, vcc, s0, v56
	v_addc_co_u32_e32 v57, vcc, v115, v57, vcc
	v_add_co_u32_e32 v58, vcc, s0, v58
	v_addc_co_u32_e32 v59, vcc, v115, v59, vcc
	global_load_dword v60, v[26:27], off
	global_load_dword v61, v[28:29], off
	;; [unrolled: 1-line block ×8, first 2 shown]
	v_add_u32_e32 v26, s28, v112
	v_ashrrev_i32_e32 v27, 31, v26
	v_lshlrev_b64 v[26:27], 2, v[26:27]
	v_add_u32_e32 v28, s29, v112
	v_add_co_u32_e32 v26, vcc, s0, v26
	v_ashrrev_i32_e32 v29, 31, v28
	v_addc_co_u32_e32 v27, vcc, v115, v27, vcc
	v_lshlrev_b64 v[28:29], 2, v[28:29]
	v_add_u32_e32 v30, s3, v112
	v_add_co_u32_e32 v28, vcc, s0, v28
	v_ashrrev_i32_e32 v31, 31, v30
	v_addc_co_u32_e32 v29, vcc, v115, v29, vcc
	v_lshlrev_b64 v[30:31], 2, v[30:31]
	v_add_u32_e32 v34, s30, v112
	v_add_co_u32_e32 v30, vcc, s0, v30
	v_ashrrev_i32_e32 v35, 31, v34
	v_addc_co_u32_e32 v31, vcc, v115, v31, vcc
	v_lshlrev_b64 v[34:35], 2, v[34:35]
	v_add_u32_e32 v52, s31, v112
	v_add_co_u32_e32 v34, vcc, s0, v34
	v_ashrrev_i32_e32 v53, 31, v52
	v_addc_co_u32_e32 v35, vcc, v115, v35, vcc
	v_lshlrev_b64 v[52:53], 2, v[52:53]
	v_add_u32_e32 v54, s26, v112
	v_add_co_u32_e32 v52, vcc, s0, v52
	v_ashrrev_i32_e32 v55, 31, v54
	v_addc_co_u32_e32 v53, vcc, v115, v53, vcc
	v_lshlrev_b64 v[54:55], 2, v[54:55]
	v_add_u32_e32 v56, s27, v112
	v_add_co_u32_e32 v54, vcc, s0, v54
	v_ashrrev_i32_e32 v57, 31, v56
	v_addc_co_u32_e32 v55, vcc, v115, v55, vcc
	v_lshlrev_b64 v[56:57], 2, v[56:57]
	v_add_u32_e32 v58, s62, v112
	v_add_co_u32_e32 v56, vcc, s0, v56
	v_ashrrev_i32_e32 v59, 31, v58
	v_addc_co_u32_e32 v57, vcc, v115, v57, vcc
	v_lshlrev_b64 v[58:59], 2, v[58:59]
	v_add_co_u32_e32 v58, vcc, s0, v58
	v_addc_co_u32_e32 v59, vcc, v115, v59, vcc
	global_load_dword v68, v[26:27], off
	global_load_dword v69, v[28:29], off
	;; [unrolled: 1-line block ×8, first 2 shown]
	v_add_u32_e32 v26, s64, v112
	v_ashrrev_i32_e32 v27, 31, v26
	v_lshlrev_b64 v[26:27], 2, v[26:27]
	v_add_u32_e32 v28, s65, v112
	v_add_co_u32_e32 v26, vcc, s0, v26
	v_ashrrev_i32_e32 v29, 31, v28
	v_addc_co_u32_e32 v27, vcc, v115, v27, vcc
	v_lshlrev_b64 v[28:29], 2, v[28:29]
	v_add_u32_e32 v30, s66, v112
	v_add_co_u32_e32 v28, vcc, s0, v28
	v_ashrrev_i32_e32 v31, 31, v30
	v_addc_co_u32_e32 v29, vcc, v115, v29, vcc
	;; [unrolled: 5-line block ×7, first 2 shown]
	v_lshlrev_b64 v[58:59], 2, v[58:59]
	v_add_co_u32_e32 v58, vcc, s0, v58
	v_addc_co_u32_e32 v59, vcc, v115, v59, vcc
	global_load_dword v76, v[26:27], off
	global_load_dword v77, v[28:29], off
	;; [unrolled: 1-line block ×8, first 2 shown]
	v_add_u32_e32 v26, s73, v112
	v_ashrrev_i32_e32 v27, 31, v26
	v_lshlrev_b64 v[26:27], 2, v[26:27]
	v_add_u32_e32 v28, s74, v112
	v_add_co_u32_e32 v26, vcc, s0, v26
	v_ashrrev_i32_e32 v29, 31, v28
	v_addc_co_u32_e32 v27, vcc, v115, v27, vcc
	v_lshlrev_b64 v[28:29], 2, v[28:29]
	v_add_u32_e32 v30, s76, v112
	v_add_co_u32_e32 v28, vcc, s0, v28
	v_ashrrev_i32_e32 v31, 31, v30
	v_addc_co_u32_e32 v29, vcc, v115, v29, vcc
	;; [unrolled: 5-line block ×5, first 2 shown]
	v_lshlrev_b64 v[54:55], 2, v[54:55]
	v_add_co_u32_e32 v54, vcc, s0, v54
	v_addc_co_u32_e32 v55, vcc, v115, v55, vcc
	global_load_dword v84, v[26:27], off
	global_load_dword v85, v[28:29], off
	;; [unrolled: 1-line block ×6, first 2 shown]
	s_waitcnt vmcnt(55)
	ds_write_b32 v113, v18 offset:2112
	s_waitcnt vmcnt(54)
	ds_write_b32 v113, v19 offset:2376
	s_waitcnt vmcnt(53)
	ds_write_b32 v113, v20 offset:2640
	s_waitcnt vmcnt(52)
	ds_write_b32 v113, v21 offset:2904
	s_waitcnt vmcnt(51)
	ds_write_b32 v113, v22 offset:3168
	s_waitcnt vmcnt(50)
	ds_write_b32 v113, v23 offset:3432
	s_waitcnt vmcnt(49)
	ds_write_b32 v113, v24 offset:3696
	s_waitcnt vmcnt(48)
	ds_write_b32 v113, v25 offset:3960
	ds_read_b64 v[34:35], v114
	ds_read_b64 v[30:31], v114 offset:32
	ds_read_b64 v[28:29], v114 offset:64
	ds_read_b64 v[26:27], v114 offset:96
	ds_read_b64 v[24:25], v114 offset:128
	ds_read_b64 v[22:23], v114 offset:160
	ds_read_b64 v[20:21], v114 offset:192
	ds_read_b64 v[18:19], v114 offset:224
	s_waitcnt vmcnt(47)
	ds_write_b32 v113, v32
	s_waitcnt vmcnt(46)
	ds_write_b32 v113, v33 offset:264
	s_waitcnt vmcnt(45)
	ds_write_b32 v113, v36 offset:528
	s_waitcnt vmcnt(44)
	ds_write_b32 v113, v37 offset:792
	s_waitcnt vmcnt(43)
	ds_write_b32 v113, v38 offset:1056
	s_waitcnt vmcnt(42)
	ds_write_b32 v113, v39 offset:1320
	s_waitcnt vmcnt(41)
	ds_write_b32 v113, v40 offset:1584
	s_waitcnt vmcnt(40)
	ds_write_b32 v113, v41 offset:1848
	s_waitcnt vmcnt(39)
	ds_write_b32 v113, v42 offset:2112
	s_waitcnt vmcnt(38)
	ds_write_b32 v113, v43 offset:2376
	s_waitcnt vmcnt(37)
	ds_write_b32 v113, v44 offset:2640
	s_waitcnt vmcnt(36)
	ds_write_b32 v113, v45 offset:2904
	s_waitcnt vmcnt(35)
	ds_write_b32 v113, v46 offset:3168
	s_waitcnt vmcnt(34)
	ds_write_b32 v113, v47 offset:3432
	s_waitcnt vmcnt(33)
	ds_write_b32 v113, v50 offset:3696
	s_waitcnt vmcnt(32)
	ds_write_b32 v113, v51 offset:3960
	ds_read_b64 v[50:51], v114
	ds_read_b64 v[46:47], v114 offset:32
	ds_read_b64 v[44:45], v114 offset:64
	ds_read_b64 v[42:43], v114 offset:96
	ds_read_b64 v[40:41], v114 offset:128
	ds_read_b64 v[38:39], v114 offset:160
	ds_read_b64 v[36:37], v114 offset:192
	ds_read_b64 v[32:33], v114 offset:224
	s_waitcnt vmcnt(31)
	ds_write_b32 v113, v48
	s_waitcnt vmcnt(30)
	ds_write_b32 v113, v49 offset:264
	s_waitcnt vmcnt(29)
	ds_write_b32 v113, v60 offset:528
	s_waitcnt vmcnt(28)
	ds_write_b32 v113, v61 offset:792
	s_waitcnt vmcnt(27)
	ds_write_b32 v113, v62 offset:1056
	s_waitcnt vmcnt(26)
	ds_write_b32 v113, v63 offset:1320
	s_waitcnt vmcnt(25)
	ds_write_b32 v113, v64 offset:1584
	s_waitcnt vmcnt(24)
	ds_write_b32 v113, v65 offset:1848
	s_waitcnt vmcnt(23)
	ds_write_b32 v113, v66 offset:2112
	s_waitcnt vmcnt(22)
	ds_write_b32 v113, v67 offset:2376
	s_waitcnt vmcnt(21)
	ds_write_b32 v113, v68 offset:2640
	s_waitcnt vmcnt(20)
	ds_write_b32 v113, v69 offset:2904
	s_waitcnt vmcnt(19)
	ds_write_b32 v113, v70 offset:3168
	s_waitcnt vmcnt(18)
	ds_write_b32 v113, v71 offset:3432
	s_waitcnt vmcnt(17)
	ds_write_b32 v113, v72 offset:3696
	s_waitcnt vmcnt(16)
	ds_write_b32 v113, v73 offset:3960
	ds_read_b64 v[64:65], v114
	ds_read_b64 v[62:63], v114 offset:32
	ds_read_b64 v[60:61], v114 offset:64
	ds_read_b64 v[58:59], v114 offset:96
	ds_read_b64 v[56:57], v114 offset:128
	ds_read_b64 v[54:55], v114 offset:160
	ds_read_b64 v[52:53], v114 offset:192
	ds_read_b64 v[48:49], v114 offset:224
	s_waitcnt vmcnt(15)
	ds_write_b32 v113, v74
	s_waitcnt vmcnt(14)
	ds_write_b32 v113, v75 offset:264
	s_waitcnt vmcnt(13)
	ds_write_b32 v113, v76 offset:528
	s_waitcnt vmcnt(12)
	ds_write_b32 v113, v77 offset:792
	s_waitcnt vmcnt(11)
	ds_write_b32 v113, v78 offset:1056
	s_waitcnt vmcnt(10)
	ds_write_b32 v113, v79 offset:1320
	s_waitcnt vmcnt(9)
	ds_write_b32 v113, v80 offset:1584
	s_waitcnt vmcnt(8)
	ds_write_b32 v113, v81 offset:1848
	s_waitcnt vmcnt(7)
	ds_write_b32 v113, v82 offset:2112
	s_waitcnt vmcnt(6)
	ds_write_b32 v113, v83 offset:2376
	;; [unrolled: 2-line block ×8, first 2 shown]
	ds_read_b64 v[80:81], v114
	ds_read_b64 v[78:79], v114 offset:32
	ds_read_b64 v[76:77], v114 offset:64
	;; [unrolled: 1-line block ×7, first 2 shown]
	s_andn2_b64 vcc, exec, s[4:5]
	v_mov_b32_e32 v82, 0
	v_mov_b32_e32 v83, 0
	s_cbranch_vccnz .LBB117_9
; %bb.7:                                ;   in Loop: Header=BB117_6 Depth=1
	s_load_dword vcc_lo, s[34:35], 0x0
	v_mov_b32_e32 v83, 0
	v_mov_b32_e32 v82, 0
	s_waitcnt lgkmcnt(0)
	s_mul_hi_u32 vcc_hi, vcc_lo, s16
	s_add_i32 vcc_hi, vcc_lo, vcc_hi
	s_lshr_b32 s79, vcc_hi, s17
	s_cmp_ge_i32 s79, s13
	s_cbranch_scc1 .LBB117_9
; %bb.8:                                ;   in Loop: Header=BB117_6 Depth=1
	s_mul_i32 vcc_hi, s79, s18
	s_sub_i32 vcc_lo, vcc_lo, vcc_hi
	s_mul_i32 s79, s79, s20
	s_mul_i32 vcc_lo, vcc_lo, s1
	v_add_u32_e32 v82, s79, v112
	v_lshl_add_u32 v82, v82, 1, vcc_lo
	v_ashrrev_i32_e32 v83, 31, v82
	v_lshlrev_b64 v[82:83], 2, v[82:83]
	v_mov_b32_e32 v84, s11
	v_add_co_u32_e32 v82, vcc, s10, v82
	v_addc_co_u32_e32 v83, vcc, v84, v83, vcc
	global_load_dwordx2 v[82:83], v[82:83], off
.LBB117_9:                              ;   in Loop: Header=BB117_6 Depth=1
	s_andn2_b64 vcc, exec, s[36:37]
	v_mov_b32_e32 v84, 0
	v_mov_b32_e32 v86, 0
	v_mov_b32_e32 v87, 0
	s_cbranch_vccnz .LBB117_12
; %bb.10:                               ;   in Loop: Header=BB117_6 Depth=1
	s_load_dword vcc_lo, s[34:35], 0x4
	v_mov_b32_e32 v87, 0
	v_mov_b32_e32 v86, 0
	s_waitcnt lgkmcnt(0)
	s_mul_hi_u32 s79, vcc_lo, s16
	s_add_i32 s79, vcc_lo, s79
	s_lshr_b32 vcc_hi, s79, s17
	s_cmp_ge_i32 vcc_hi, s13
	s_cbranch_scc1 .LBB117_12
; %bb.11:                               ;   in Loop: Header=BB117_6 Depth=1
	s_mul_i32 s79, vcc_hi, s18
	s_sub_i32 s79, vcc_lo, s79
	s_mul_i32 vcc_hi, vcc_hi, s20
	s_mul_i32 s79, s79, s1
	v_add_u32_e32 v85, vcc_hi, v112
	v_lshl_add_u32 v86, v85, 1, s79
	v_ashrrev_i32_e32 v87, 31, v86
	v_lshlrev_b64 v[86:87], 2, v[86:87]
	v_mov_b32_e32 v85, s11
	v_add_co_u32_e32 v86, vcc, s10, v86
	v_addc_co_u32_e32 v87, vcc, v85, v87, vcc
	global_load_dwordx2 v[86:87], v[86:87], off
.LBB117_12:                             ;   in Loop: Header=BB117_6 Depth=1
	s_andn2_b64 vcc, exec, s[38:39]
	v_mov_b32_e32 v85, 0
	s_cbranch_vccnz .LBB117_15
; %bb.13:                               ;   in Loop: Header=BB117_6 Depth=1
	s_load_dword vcc_lo, s[34:35], 0x8
	v_mov_b32_e32 v85, 0
	v_mov_b32_e32 v84, 0
	s_waitcnt lgkmcnt(0)
	s_mul_hi_u32 s79, vcc_lo, s16
	s_add_i32 s79, vcc_lo, s79
	s_lshr_b32 vcc_hi, s79, s17
	s_cmp_ge_i32 vcc_hi, s13
	s_cbranch_scc1 .LBB117_15
; %bb.14:                               ;   in Loop: Header=BB117_6 Depth=1
	s_mul_i32 s79, vcc_hi, s18
	s_sub_i32 s79, vcc_lo, s79
	s_mul_i32 vcc_hi, vcc_hi, s20
	s_mul_i32 s79, s79, s1
	v_add_u32_e32 v84, vcc_hi, v112
	v_lshl_add_u32 v84, v84, 1, s79
	v_ashrrev_i32_e32 v85, 31, v84
	v_lshlrev_b64 v[84:85], 2, v[84:85]
	v_mov_b32_e32 v88, s11
	v_add_co_u32_e32 v84, vcc, s10, v84
	v_addc_co_u32_e32 v85, vcc, v88, v85, vcc
	global_load_dwordx2 v[84:85], v[84:85], off
.LBB117_15:                             ;   in Loop: Header=BB117_6 Depth=1
	s_andn2_b64 vcc, exec, s[40:41]
	v_mov_b32_e32 v88, 0
	v_mov_b32_e32 v90, 0
	v_mov_b32_e32 v91, 0
	s_cbranch_vccnz .LBB117_18
; %bb.16:                               ;   in Loop: Header=BB117_6 Depth=1
	s_load_dword vcc_lo, s[34:35], 0xc
	v_mov_b32_e32 v91, 0
	v_mov_b32_e32 v90, 0
	s_waitcnt lgkmcnt(0)
	s_mul_hi_u32 s79, vcc_lo, s16
	s_add_i32 s79, vcc_lo, s79
	s_lshr_b32 vcc_hi, s79, s17
	s_cmp_ge_i32 vcc_hi, s13
	s_cbranch_scc1 .LBB117_18
; %bb.17:                               ;   in Loop: Header=BB117_6 Depth=1
	s_mul_i32 s79, vcc_hi, s18
	s_sub_i32 s79, vcc_lo, s79
	s_mul_i32 vcc_hi, vcc_hi, s20
	s_mul_i32 s79, s79, s1
	v_add_u32_e32 v89, vcc_hi, v112
	v_lshl_add_u32 v90, v89, 1, s79
	v_ashrrev_i32_e32 v91, 31, v90
	v_lshlrev_b64 v[90:91], 2, v[90:91]
	v_mov_b32_e32 v89, s11
	v_add_co_u32_e32 v90, vcc, s10, v90
	v_addc_co_u32_e32 v91, vcc, v89, v91, vcc
	global_load_dwordx2 v[90:91], v[90:91], off
.LBB117_18:                             ;   in Loop: Header=BB117_6 Depth=1
	s_andn2_b64 vcc, exec, s[42:43]
	v_mov_b32_e32 v89, 0
	s_cbranch_vccnz .LBB117_21
; %bb.19:                               ;   in Loop: Header=BB117_6 Depth=1
	s_load_dword vcc_lo, s[34:35], 0x10
	v_mov_b32_e32 v89, 0
	v_mov_b32_e32 v88, 0
	s_waitcnt lgkmcnt(0)
	s_mul_hi_u32 s79, vcc_lo, s16
	s_add_i32 s79, vcc_lo, s79
	s_lshr_b32 vcc_hi, s79, s17
	s_cmp_ge_i32 vcc_hi, s13
	s_cbranch_scc1 .LBB117_21
; %bb.20:                               ;   in Loop: Header=BB117_6 Depth=1
	s_mul_i32 s79, vcc_hi, s18
	s_sub_i32 s79, vcc_lo, s79
	s_mul_i32 vcc_hi, vcc_hi, s20
	s_mul_i32 s79, s79, s1
	v_add_u32_e32 v88, vcc_hi, v112
	v_lshl_add_u32 v88, v88, 1, s79
	v_ashrrev_i32_e32 v89, 31, v88
	v_lshlrev_b64 v[88:89], 2, v[88:89]
	v_mov_b32_e32 v92, s11
	v_add_co_u32_e32 v88, vcc, s10, v88
	v_addc_co_u32_e32 v89, vcc, v92, v89, vcc
	global_load_dwordx2 v[88:89], v[88:89], off
.LBB117_21:                             ;   in Loop: Header=BB117_6 Depth=1
	;; [unrolled: 56-line block ×5, first 2 shown]
	s_andn2_b64 vcc, exec, s[56:57]
	v_mov_b32_e32 v104, 0
	v_mov_b32_e32 v106, 0
	;; [unrolled: 1-line block ×3, first 2 shown]
	s_cbranch_vccnz .LBB117_42
; %bb.40:                               ;   in Loop: Header=BB117_6 Depth=1
	s_load_dword vcc_lo, s[34:35], 0x2c
	v_mov_b32_e32 v107, 0
	v_mov_b32_e32 v106, 0
	s_waitcnt lgkmcnt(0)
	s_mul_hi_u32 s79, vcc_lo, s16
	s_add_i32 s79, vcc_lo, s79
	s_lshr_b32 vcc_hi, s79, s17
	s_cmp_ge_i32 vcc_hi, s13
	s_cbranch_scc1 .LBB117_42
; %bb.41:                               ;   in Loop: Header=BB117_6 Depth=1
	s_mul_i32 s79, vcc_hi, s18
	s_sub_i32 s79, vcc_lo, s79
	s_mul_i32 vcc_hi, vcc_hi, s20
	s_mul_i32 s79, s79, s1
	v_add_u32_e32 v105, vcc_hi, v112
	v_lshl_add_u32 v106, v105, 1, s79
	v_ashrrev_i32_e32 v107, 31, v106
	v_lshlrev_b64 v[106:107], 2, v[106:107]
	v_mov_b32_e32 v105, s11
	v_add_co_u32_e32 v106, vcc, s10, v106
	v_addc_co_u32_e32 v107, vcc, v105, v107, vcc
	global_load_dwordx2 v[106:107], v[106:107], off
.LBB117_42:                             ;   in Loop: Header=BB117_6 Depth=1
	s_andn2_b64 vcc, exec, s[58:59]
	v_mov_b32_e32 v105, 0
	s_cbranch_vccnz .LBB117_5
; %bb.43:                               ;   in Loop: Header=BB117_6 Depth=1
	s_load_dword vcc_lo, s[34:35], 0x30
	v_mov_b32_e32 v105, 0
	v_mov_b32_e32 v104, 0
	s_waitcnt lgkmcnt(0)
	s_mul_hi_u32 s79, vcc_lo, s16
	s_add_i32 s79, vcc_lo, s79
	s_lshr_b32 vcc_hi, s79, s17
	s_cmp_ge_i32 vcc_hi, s13
	s_cbranch_scc1 .LBB117_5
; %bb.44:                               ;   in Loop: Header=BB117_6 Depth=1
	s_mul_i32 s79, vcc_hi, s18
	s_sub_i32 s79, vcc_lo, s79
	s_mul_i32 vcc_hi, vcc_hi, s20
	s_mul_i32 s79, s79, s1
	v_add_u32_e32 v104, vcc_hi, v112
	v_lshl_add_u32 v104, v104, 1, s79
	v_ashrrev_i32_e32 v105, 31, v104
	v_lshlrev_b64 v[104:105], 2, v[104:105]
	v_mov_b32_e32 v118, s11
	v_add_co_u32_e32 v104, vcc, s10, v104
	v_addc_co_u32_e32 v105, vcc, v118, v105, vcc
	global_load_dwordx2 v[104:105], v[104:105], off
	s_branch .LBB117_5
.LBB117_45:
	s_or_b64 exec, exec, s[8:9]
	v_readlane_b32 s24, v119, 6
	v_readlane_b32 s26, v119, 9
	;; [unrolled: 1-line block ×5, first 2 shown]
.LBB117_46:
	v_readlane_b32 s0, v119, 4
	v_readlane_b32 s1, v119, 5
	s_or_b64 exec, exec, s[0:1]
	v_mul_u32_u24_e32 v16, 0x708, v111
	v_lshlrev_b32_e32 v17, 2, v110
	v_add3_u32 v16, 0, v16, v17
	v_and_b32_e32 v17, 0x3f0, v109
	v_add_u32_e32 v17, v16, v17
	s_lshl_b64 s[0:1], s[26:27], 2
	v_readlane_b32 s4, v119, 0
	s_barrier
	ds_write2_b32 v17, v8, v9 offset1:1
	ds_write_b32 v17, v10 offset:8
	v_or_b32_e32 v8, 12, v109
	v_readlane_b32 s5, v119, 1
	s_add_u32 s3, s4, s0
	v_and_b32_e32 v8, 0x3fc, v8
	s_addc_u32 s7, s5, s1
	v_add_u32_e32 v8, v16, v8
	ds_write_b32 v8, v11
	ds_write2_b32 v17, v4, v5 offset0:16 offset1:17
	ds_write_b32 v17, v6 offset:72
	ds_write_b32 v8, v7 offset:64
	ds_write2_b32 v17, v0, v1 offset0:32 offset1:33
	ds_write_b32 v17, v2 offset:136
	ds_write_b32 v8, v3 offset:128
	;; [unrolled: 3-line block ×3, first 2 shown]
	s_cmp_gt_i32 s14, 0
	v_add_u32_e32 v0, s6, v108
	s_cselect_b64 s[4:5], -1, 0
	v_cmp_gt_i32_e64 s[0:1], s33, v0
	v_cmp_gt_u32_e32 vcc, 13, v108
	s_and_b64 s[0:1], s[4:5], s[0:1]
	v_lshl_add_u32 v3, v109, 2, 0
	v_add_u32_e32 v2, s28, v109
	v_mul_u32_u24_e32 v4, 0x708, v108
	s_and_b64 s[8:9], vcc, s[0:1]
	s_waitcnt lgkmcnt(0)
	s_barrier
	s_and_saveexec_b64 s[0:1], s[8:9]
	s_cbranch_execz .LBB117_49
; %bb.47:
	v_ashrrev_i32_e32 v1, 31, v0
	v_lshlrev_b64 v[6:7], 2, v[0:1]
	v_mov_b32_e32 v1, s7
	v_add_co_u32_e32 v6, vcc, s3, v6
	v_addc_co_u32_e32 v7, vcc, v1, v7, vcc
	global_load_dword v1, v[6:7], off
	s_waitcnt vmcnt(0)
	v_mul_hi_u32 v5, v1, s19
	v_add_u32_e32 v5, v1, v5
	v_lshrrev_b32_e32 v5, s24, v5
	v_cmp_gt_i32_e32 vcc, s13, v5
	s_and_b64 exec, exec, vcc
	s_cbranch_execz .LBB117_49
; %bb.48:
	v_add_u32_e32 v12, v3, v4
	ds_read2st64_b32 v[6:7], v12 offset1:1
	ds_read2st64_b32 v[8:9], v12 offset0:2 offset1:3
	ds_read2st64_b32 v[10:11], v12 offset0:4 offset1:5
	ds_read_b32 v12, v12 offset:1536
	v_mul_lo_u32 v13, v5, s25
	v_sub_u32_e32 v1, v1, v13
	v_mul_lo_u32 v1, v1, s2
	s_waitcnt lgkmcnt(3)
	v_add_f32_e32 v6, 0, v6
	v_add_f32_e32 v6, v6, v7
	s_waitcnt lgkmcnt(2)
	v_add_f32_e32 v6, v6, v8
	v_add_f32_e32 v6, v6, v9
	;; [unrolled: 3-line block ×3, first 2 shown]
	v_mul_lo_u32 v5, v5, s21
	s_waitcnt lgkmcnt(0)
	v_add_f32_e32 v8, v6, v12
	v_add3_u32 v6, v2, v5, v1
	v_mov_b32_e32 v7, 0
	v_readlane_b32 s8, v119, 2
	v_lshlrev_b64 v[6:7], 2, v[6:7]
	v_readlane_b32 s9, v119, 3
	v_mov_b32_e32 v1, s9
	v_add_co_u32_e32 v6, vcc, s8, v6
	v_addc_co_u32_e32 v7, vcc, v1, v7, vcc
	global_store_dword v[6:7], v8, off
.LBB117_49:
	s_or_b64 exec, exec, s[0:1]
	v_cmp_gt_u32_e32 vcc, 6, v108
	s_and_saveexec_b64 s[0:1], vcc
	s_cbranch_execz .LBB117_53
; %bb.50:
	v_add_u32_e32 v0, 7, v0
	v_cmp_gt_i32_e32 vcc, s33, v0
	s_and_b64 s[0:1], s[4:5], vcc
	s_and_b64 exec, exec, s[0:1]
	s_cbranch_execz .LBB117_53
; %bb.51:
	s_ashr_i32 s0, s6, 31
	v_mov_b32_e32 v1, s0
	v_add_co_u32_e32 v0, vcc, s6, v108
	v_addc_co_u32_e32 v1, vcc, 0, v1, vcc
	v_lshlrev_b64 v[0:1], 2, v[0:1]
	v_mov_b32_e32 v5, s7
	v_add_co_u32_e32 v0, vcc, s3, v0
	v_addc_co_u32_e32 v1, vcc, v5, v1, vcc
	global_load_dword v0, v[0:1], off offset:28
	v_mov_b32_e32 v1, 0
	s_waitcnt vmcnt(0)
	v_mul_hi_u32 v5, v0, s19
	v_add_u32_e32 v5, v0, v5
	v_lshrrev_b32_e32 v5, s24, v5
	v_cmp_gt_i32_e32 vcc, s13, v5
	s_and_b64 exec, exec, vcc
	s_cbranch_execz .LBB117_53
; %bb.52:
	v_add_u32_e32 v3, v4, v3
	v_add_u32_e32 v4, 56, v3
	ds_read2st64_b32 v[6:7], v4 offset0:49 offset1:50
	ds_read2st64_b32 v[8:9], v4 offset0:51 offset1:52
	ds_read_b32 v3, v3 offset:14136
	ds_read2st64_b32 v[10:11], v4 offset0:53 offset1:54
	v_mul_lo_u32 v12, v5, s25
	v_sub_u32_e32 v0, v0, v12
	v_mul_lo_u32 v0, v0, s2
	s_waitcnt lgkmcnt(3)
	v_add_f32_e32 v4, 0, v6
	v_add_f32_e32 v4, v4, v7
	s_waitcnt lgkmcnt(2)
	v_add_f32_e32 v4, v4, v8
	v_add_f32_e32 v4, v4, v9
	;; [unrolled: 3-line block ×3, first 2 shown]
	v_add_f32_e32 v3, v4, v3
	v_mul_lo_u32 v4, v5, s21
	v_add3_u32 v0, v2, v4, v0
	v_readlane_b32 s0, v119, 2
	v_lshlrev_b64 v[0:1], 2, v[0:1]
	v_readlane_b32 s1, v119, 3
	v_mov_b32_e32 v2, s1
	v_add_co_u32_e32 v0, vcc, s0, v0
	v_addc_co_u32_e32 v1, vcc, v2, v1, vcc
	global_store_dword v[0:1], v3, off
.LBB117_53:
	s_endpgm
	.section	.rodata,"a",@progbits
	.p2align	6, 0x0
	.amdhsa_kernel _ZL13mul_mat_f_idsI7__half2Li64ELi13ELi7EEvPKT_PKfPKiS7_S7_Pfiiiiiiiiiiiiii15HIP_vector_typeIjLj3EESA_
		.amdhsa_group_segment_fixed_size 0
		.amdhsa_private_segment_fixed_size 0
		.amdhsa_kernarg_size 128
		.amdhsa_user_sgpr_count 6
		.amdhsa_user_sgpr_private_segment_buffer 1
		.amdhsa_user_sgpr_dispatch_ptr 0
		.amdhsa_user_sgpr_queue_ptr 0
		.amdhsa_user_sgpr_kernarg_segment_ptr 1
		.amdhsa_user_sgpr_dispatch_id 0
		.amdhsa_user_sgpr_flat_scratch_init 0
		.amdhsa_user_sgpr_kernarg_preload_length 0
		.amdhsa_user_sgpr_kernarg_preload_offset 0
		.amdhsa_user_sgpr_private_segment_size 0
		.amdhsa_uses_dynamic_stack 0
		.amdhsa_system_sgpr_private_segment_wavefront_offset 0
		.amdhsa_system_sgpr_workgroup_id_x 1
		.amdhsa_system_sgpr_workgroup_id_y 1
		.amdhsa_system_sgpr_workgroup_id_z 1
		.amdhsa_system_sgpr_workgroup_info 0
		.amdhsa_system_vgpr_workitem_id 1
		.amdhsa_next_free_vgpr 120
		.amdhsa_next_free_sgpr 96
		.amdhsa_accum_offset 120
		.amdhsa_reserve_vcc 1
		.amdhsa_reserve_flat_scratch 0
		.amdhsa_float_round_mode_32 0
		.amdhsa_float_round_mode_16_64 0
		.amdhsa_float_denorm_mode_32 3
		.amdhsa_float_denorm_mode_16_64 3
		.amdhsa_dx10_clamp 1
		.amdhsa_ieee_mode 1
		.amdhsa_fp16_overflow 0
		.amdhsa_tg_split 0
		.amdhsa_exception_fp_ieee_invalid_op 0
		.amdhsa_exception_fp_denorm_src 0
		.amdhsa_exception_fp_ieee_div_zero 0
		.amdhsa_exception_fp_ieee_overflow 0
		.amdhsa_exception_fp_ieee_underflow 0
		.amdhsa_exception_fp_ieee_inexact 0
		.amdhsa_exception_int_div_zero 0
	.end_amdhsa_kernel
	.section	.text._ZL13mul_mat_f_idsI7__half2Li64ELi13ELi7EEvPKT_PKfPKiS7_S7_Pfiiiiiiiiiiiiii15HIP_vector_typeIjLj3EESA_,"axG",@progbits,_ZL13mul_mat_f_idsI7__half2Li64ELi13ELi7EEvPKT_PKfPKiS7_S7_Pfiiiiiiiiiiiiii15HIP_vector_typeIjLj3EESA_,comdat
.Lfunc_end117:
	.size	_ZL13mul_mat_f_idsI7__half2Li64ELi13ELi7EEvPKT_PKfPKiS7_S7_Pfiiiiiiiiiiiiii15HIP_vector_typeIjLj3EESA_, .Lfunc_end117-_ZL13mul_mat_f_idsI7__half2Li64ELi13ELi7EEvPKT_PKfPKiS7_S7_Pfiiiiiiiiiiiiii15HIP_vector_typeIjLj3EESA_
                                        ; -- End function
	.section	.AMDGPU.csdata,"",@progbits
; Kernel info:
; codeLenInByte = 7320
; NumSgprs: 100
; NumVgprs: 120
; NumAgprs: 0
; TotalNumVgprs: 120
; ScratchSize: 0
; MemoryBound: 0
; FloatMode: 240
; IeeeMode: 1
; LDSByteSize: 0 bytes/workgroup (compile time only)
; SGPRBlocks: 12
; VGPRBlocks: 14
; NumSGPRsForWavesPerEU: 100
; NumVGPRsForWavesPerEU: 120
; AccumOffset: 120
; Occupancy: 4
; WaveLimiterHint : 1
; COMPUTE_PGM_RSRC2:SCRATCH_EN: 0
; COMPUTE_PGM_RSRC2:USER_SGPR: 6
; COMPUTE_PGM_RSRC2:TRAP_HANDLER: 0
; COMPUTE_PGM_RSRC2:TGID_X_EN: 1
; COMPUTE_PGM_RSRC2:TGID_Y_EN: 1
; COMPUTE_PGM_RSRC2:TGID_Z_EN: 1
; COMPUTE_PGM_RSRC2:TIDIG_COMP_CNT: 1
; COMPUTE_PGM_RSRC3_GFX90A:ACCUM_OFFSET: 29
; COMPUTE_PGM_RSRC3_GFX90A:TG_SPLIT: 0
	.section	.text._ZL9mul_mat_fI7__half2Li64ELi13ELi7ELb1EEvPKT_PKfPKiPfiiiiiiiiiiiiiiii,"axG",@progbits,_ZL9mul_mat_fI7__half2Li64ELi13ELi7ELb1EEvPKT_PKfPKiPfiiiiiiiiiiiiiiii,comdat
	.globl	_ZL9mul_mat_fI7__half2Li64ELi13ELi7ELb1EEvPKT_PKfPKiPfiiiiiiiiiiiiiiii ; -- Begin function _ZL9mul_mat_fI7__half2Li64ELi13ELi7ELb1EEvPKT_PKfPKiPfiiiiiiiiiiiiiiii
	.p2align	8
	.type	_ZL9mul_mat_fI7__half2Li64ELi13ELi7ELb1EEvPKT_PKfPKiPfiiiiiiiiiiiiiiii,@function
_ZL9mul_mat_fI7__half2Li64ELi13ELi7ELb1EEvPKT_PKfPKiPfiiiiiiiiiiiiiiii: ; @_ZL9mul_mat_fI7__half2Li64ELi13ELi7ELb1EEvPKT_PKfPKiPfiiiiiiiiiiiiiiii
; %bb.0:
	s_load_dwordx8 s[16:23], s[4:5], 0x20
	v_and_b32_e32 v16, 0x3ff, v0
	v_bfe_u32 v17, v0, 10, 10
	v_cmp_eq_u32_e32 vcc, 0, v16
	s_waitcnt lgkmcnt(0)
	s_add_i32 s0, s17, 12
	s_mul_hi_i32 s0, s0, 0x4ec4ec4f
	s_lshr_b32 s1, s0, 31
	s_ashr_i32 s0, s0, 2
	s_add_i32 s0, s0, s1
	v_cvt_f32_u32_e32 v1, s0
	s_load_dwordx4 s[24:27], s[4:5], 0x44
	s_load_dword s1, s[4:5], 0x64
	s_add_u32 s34, s4, 0x60
	s_addc_u32 s35, s5, 0
	v_rcp_iflag_f32_e32 v1, v1
	s_sub_i32 s2, 0, s0
	v_mul_f32_e32 v1, 0x4f7ffffe, v1
	v_cvt_u32_f32_e32 v1, v1
	v_readfirstlane_b32 s3, v1
	s_mul_i32 s2, s2, s3
	s_mul_hi_u32 s2, s3, s2
	s_add_i32 s3, s3, s2
	s_waitcnt lgkmcnt(0)
	s_mul_hi_u32 s2, s1, s3
	s_mul_i32 s3, s2, s0
	s_sub_i32 s1, s1, s3
	s_add_i32 s9, s2, 1
	s_sub_i32 s3, s1, s0
	s_cmp_ge_u32 s1, s0
	s_cselect_b32 s2, s9, s2
	s_cselect_b32 s1, s3, s1
	s_add_i32 s3, s2, 1
	s_cmp_ge_u32 s1, s0
	s_cselect_b32 s10, s3, s2
	v_cvt_f32_u32_e32 v1, s10
	s_abs_i32 s39, s27
	v_cvt_f32_u32_e32 v2, s39
	s_load_dwordx2 s[0:1], s[4:5], 0x10
	v_rcp_iflag_f32_e32 v1, v1
	s_sub_i32 s2, 0, s10
	v_rcp_iflag_f32_e32 v2, v2
	s_sub_i32 s38, 0, s39
	v_mul_f32_e32 v1, 0x4f7ffffe, v1
	v_cvt_u32_f32_e32 v1, v1
	v_mul_f32_e32 v2, 0x4f7ffffe, v2
	v_cvt_u32_f32_e32 v2, v2
	v_readfirstlane_b32 s3, v1
	s_mul_i32 s2, s2, s3
	s_mul_hi_u32 s2, s3, s2
	s_add_i32 s3, s3, s2
	v_readfirstlane_b32 s9, v2
	s_mul_hi_u32 s11, s7, s3
	s_and_saveexec_b64 s[2:3], vcc
	s_cbranch_execz .LBB118_2
; %bb.1:
	v_mov_b32_e32 v1, 0x100
	v_lshl_add_u32 v1, v17, 2, v1
	v_mov_b32_e32 v2, -1
	ds_write_b32 v1, v2
.LBB118_2:
	s_or_b64 exec, exec, s[2:3]
	s_mul_i32 s2, s11, s10
	s_sub_i32 s2, s7, s2
	s_add_i32 s3, s11, 1
	s_sub_i32 s12, s2, s10
	s_cmp_ge_u32 s2, s10
	s_cselect_b32 s3, s3, s11
	s_cselect_b32 s2, s12, s2
	s_add_i32 s11, s3, 1
	s_cmp_ge_u32 s2, s10
	s_cselect_b32 s2, s11, s3
	s_mul_i32 s3, s2, s10
	s_mul_i32 s50, s2, 13
	s_sub_i32 s7, s7, s3
	s_mul_hi_i32 s3, s50, s23
	s_mul_i32 s2, s50, s23
	s_lshl_b64 s[2:3], s[2:3], 2
	s_waitcnt lgkmcnt(0)
	s_add_u32 s33, s0, s2
	v_add_u32_e32 v1, s50, v17
	s_mul_i32 s38, s38, s9
	s_addc_u32 s1, s1, s3
	v_cmp_gt_i32_e64 s[10:11], s18, v16
	v_cmp_gt_i32_e64 s[40:41], s17, v1
	v_mov_b32_e32 v1, 0
	s_and_saveexec_b64 s[14:15], s[40:41]
	s_cbranch_execz .LBB118_10
; %bb.3:
	v_mov_b32_e32 v1, 0
	s_and_saveexec_b64 s[28:29], s[10:11]
	s_cbranch_execz .LBB118_9
; %bb.4:
	v_mul_lo_u32 v2, v17, s23
	v_ashrrev_i32_e32 v3, 31, v2
	v_lshlrev_b64 v[2:3], 2, v[2:3]
	v_mov_b32_e32 v1, s1
	v_add_co_u32_e64 v4, s[2:3], s33, v2
	v_addc_co_u32_e64 v5, s[2:3], v1, v3, s[2:3]
	v_mov_b32_e32 v1, 0x100
	v_lshl_add_u32 v6, v17, 2, v1
	v_mul_lo_u32 v2, v16, s22
	s_lshl_b32 s0, s22, 6
	s_mov_b64 s[30:31], 0
	v_mov_b32_e32 v1, 0
	v_mov_b32_e32 v7, v16
	s_branch .LBB118_6
.LBB118_5:                              ;   in Loop: Header=BB118_6 Depth=1
	s_or_b64 exec, exec, s[36:37]
	v_add_u32_e32 v7, 64, v7
	v_cmp_le_i32_e64 s[12:13], s18, v7
	s_xor_b64 s[2:3], s[2:3], -1
	s_or_b64 s[2:3], s[2:3], s[12:13]
	s_and_b64 s[2:3], exec, s[2:3]
	s_or_b64 s[30:31], s[2:3], s[30:31]
	v_add_u32_e32 v2, s0, v2
	s_andn2_b64 exec, exec, s[30:31]
	s_cbranch_execz .LBB118_8
.LBB118_6:                              ; =>This Inner Loop Header: Depth=1
	v_ashrrev_i32_e32 v3, 31, v2
	v_lshlrev_b64 v[8:9], 2, v[2:3]
	v_add_co_u32_e64 v8, s[2:3], v4, v8
	v_addc_co_u32_e64 v9, s[2:3], v5, v9, s[2:3]
	global_load_dword v3, v[8:9], off
	s_waitcnt vmcnt(0)
	v_cmp_ne_u32_e64 s[2:3], s7, v3
	v_cmp_eq_u32_e64 s[12:13], s7, v3
	s_and_saveexec_b64 s[36:37], s[12:13]
	s_cbranch_execz .LBB118_5
; %bb.7:                                ;   in Loop: Header=BB118_6 Depth=1
	v_mov_b32_e32 v1, 1
	ds_write_b32 v6, v7
	s_branch .LBB118_5
.LBB118_8:
	s_or_b64 exec, exec, s[30:31]
.LBB118_9:
	s_or_b64 exec, exec, s[28:29]
.LBB118_10:
	s_or_b64 exec, exec, s[14:15]
	s_mul_hi_u32 s12, s9, s38
	s_and_saveexec_b64 s[2:3], vcc
	s_cbranch_execz .LBB118_12
; %bb.11:
	v_mov_b32_e32 v2, 0x100
	v_lshl_add_u32 v2, v17, 2, v2
	v_mov_b32_e32 v3, -1
	ds_write_b32 v2, v3 offset:28
.LBB118_12:
	s_or_b64 exec, exec, s[2:3]
	s_load_dwordx4 s[44:47], s[4:5], 0x54
	v_add_u32_e32 v88, 7, v17
	s_abs_i32 s0, s8
	s_add_i32 s9, s9, s12
	v_add_u32_e32 v2, s50, v88
	v_cmp_gt_i32_e64 s[2:3], s17, v2
	s_mov_b64 s[28:29], exec
                                        ; implicit-def: $vgpr103 : SGPR spill to VGPR lane
	v_writelane_b32 v103, s2, 0
	v_writelane_b32 v103, s3, 1
	s_and_b64 s[2:3], s[28:29], s[2:3]
	s_mov_b64 exec, s[2:3]
	s_cbranch_execz .LBB118_20
; %bb.13:
	s_and_saveexec_b64 s[30:31], s[10:11]
	s_cbranch_execz .LBB118_19
; %bb.14:
	v_mul_lo_u32 v2, v88, s23
	v_ashrrev_i32_e32 v3, 31, v2
	v_lshlrev_b64 v[2:3], 2, v[2:3]
	v_mov_b32_e32 v5, s1
	v_add_co_u32_e32 v4, vcc, s33, v2
	v_mov_b32_e32 v2, 0x100
	v_addc_co_u32_e32 v5, vcc, v5, v3, vcc
	v_lshl_add_u32 v6, v17, 2, v2
	v_mul_lo_u32 v2, v16, s22
	s_lshl_b32 s1, s22, 6
	s_mov_b64 s[22:23], 0
	v_mov_b32_e32 v7, v16
	s_branch .LBB118_16
.LBB118_15:                             ;   in Loop: Header=BB118_16 Depth=1
	s_or_b64 exec, exec, s[36:37]
	v_add_u32_e32 v7, 64, v7
	v_cmp_le_i32_e64 s[10:11], s18, v7
	s_xor_b64 s[2:3], vcc, -1
	s_or_b64 s[2:3], s[2:3], s[10:11]
	s_and_b64 s[2:3], exec, s[2:3]
	s_or_b64 s[22:23], s[2:3], s[22:23]
	v_add_u32_e32 v2, s1, v2
	s_andn2_b64 exec, exec, s[22:23]
	s_cbranch_execz .LBB118_18
.LBB118_16:                             ; =>This Inner Loop Header: Depth=1
	v_ashrrev_i32_e32 v3, 31, v2
	v_lshlrev_b64 v[8:9], 2, v[2:3]
	v_add_co_u32_e32 v8, vcc, v4, v8
	v_addc_co_u32_e32 v9, vcc, v5, v9, vcc
	global_load_dword v3, v[8:9], off
	s_waitcnt vmcnt(0)
	v_cmp_ne_u32_e32 vcc, s7, v3
	v_cmp_eq_u32_e64 s[10:11], s7, v3
	s_and_saveexec_b64 s[36:37], s[10:11]
	s_cbranch_execz .LBB118_15
; %bb.17:                               ;   in Loop: Header=BB118_16 Depth=1
	v_mov_b32_e32 v1, 1
	ds_write_b32 v6, v7 offset:28
	s_branch .LBB118_15
.LBB118_18:
	s_or_b64 exec, exec, s[22:23]
.LBB118_19:
	s_or_b64 exec, exec, s[30:31]
.LBB118_20:
	s_or_b64 exec, exec, s[28:29]
	s_load_dwordx2 s[2:3], s[34:35], 0xc
	s_load_dwordx4 s[28:31], s[4:5], 0x0
	s_load_dwordx2 s[10:11], s[4:5], 0x18
	v_cmp_ne_u32_e32 vcc, 0, v1
	v_cndmask_b32_e64 v1, 0, 1, vcc
                                        ; kill: killed $sgpr4 killed $sgpr5
	s_waitcnt lgkmcnt(0)
	s_and_b32 s5, s3, 0xffff
	s_lshr_b32 s4, s2, 16
	v_or_b32_dpp v1, v1, v1 row_shl:1 row_mask:0xf bank_mask:0xf bound_ctrl:1
	s_and_b32 s3, s2, 0xffff
	s_mul_i32 s2, s4, s3
	v_or_b32_dpp v1, v1, v1 row_shl:2 row_mask:0xf bank_mask:0xf bound_ctrl:1
	s_bfe_i32 s2, s2, 0x180000
	s_mul_i32 s2, s2, s5
	v_or_b32_dpp v1, v1, v1 row_shl:4 row_mask:0xf bank_mask:0xf bound_ctrl:1
	s_add_i32 s5, s2, 63
	s_bitcmp1_b32 exec_hi, 0
	v_or_b32_dpp v1, v1, v1 row_shl:8 row_mask:0xf bank_mask:0xf bound_ctrl:1
	s_mul_hi_u32 s1, s0, s9
	v_writelane_b32 v103, s10, 2
	v_mov_b32_dpp v2, v1 wave_shl:1 row_mask:0xf bank_mask:0xf bound_ctrl:1
	v_writelane_b32 v103, s11, 3
                                        ; kill: killed $sgpr34 killed $sgpr35
	s_nop 0
	v_or_b32_dpp v1, v2, v1 row_mirror row_mask:0xf bank_mask:0xf bound_ctrl:1
	v_readlane_b32 s2, v1, 32
	s_cselect_b32 s2, s2, 0
	v_readlane_b32 s9, v1, 0
	s_or_b32 s2, s2, s9
	s_andn2_b32 s5, s5, 63
	s_cmp_lg_u32 s5, 64
	v_mov_b32_e32 v1, s2
	s_cbranch_scc0 .LBB118_27
; %bb.21:
	v_bfe_u32 v0, v0, 20, 10
	v_mbcnt_lo_u32_b32 v1, -1, 0
	v_mad_u32_u24 v0, v0, s4, v17
	v_mbcnt_hi_u32_b32 v2, -1, v1
	v_mad_u64_u32 v[0:1], s[4:5], v0, s3, v[16:17]
	v_lshrrev_b32_e32 v1, 6, v0
	v_or_b32_e32 v1, v2, v1
	v_cmp_eq_u32_e32 vcc, 0, v1
	s_and_saveexec_b64 s[4:5], vcc
	s_cbranch_execz .LBB118_23
; %bb.22:
	v_mov_b32_e32 v1, 0
	v_mov_b32_e32 v3, s2
	ds_write_b32 v1, v3
.LBB118_23:
	s_or_b64 exec, exec, s[4:5]
	v_cmp_eq_u32_e32 vcc, 0, v2
	v_cmp_lt_u32_e64 s[4:5], 63, v0
	s_and_b64 s[10:11], s[4:5], vcc
	s_waitcnt lgkmcnt(0)
	s_barrier
	s_and_saveexec_b64 s[4:5], s[10:11]
	s_cbranch_execz .LBB118_26
; %bb.24:
	v_mbcnt_lo_u32_b32 v0, exec_lo, 0
	v_mbcnt_hi_u32_b32 v0, exec_hi, v0
	v_cmp_eq_u32_e32 vcc, 0, v0
	s_and_b64 exec, exec, vcc
	s_cbranch_execz .LBB118_26
; %bb.25:
	v_mov_b32_e32 v0, 0
	v_mov_b32_e32 v1, s2
	ds_or_b32 v0, v1
.LBB118_26:
	s_or_b64 exec, exec, s[4:5]
	v_mov_b32_e32 v0, 0
	s_waitcnt lgkmcnt(0)
	s_barrier
	ds_read_b32 v1, v0
	s_waitcnt lgkmcnt(0)
	s_barrier
.LBB118_27:
	v_cmp_ne_u32_e32 vcc, 0, v1
	s_ashr_i32 s2, s8, 31
	s_ashr_i32 s3, s27, 31
	s_cbranch_vccz .LBB118_80
; %bb.28:
	v_lshlrev_b32_e32 v89, 6, v17
	v_add_u32_e32 v91, v89, v16
	v_cmp_le_i32_e32 vcc, s16, v91
	v_and_b32_e32 v90, 15, v16
                                        ; implicit-def: $sgpr9
	s_and_saveexec_b64 s[4:5], vcc
	s_xor_b64 s[4:5], exec, s[4:5]
; %bb.29:
	v_and_b32_e32 v90, 15, v16
	s_mov_b32 s9, 0
                                        ; implicit-def: $vgpr91
; %bb.30:
	s_or_saveexec_b64 s[4:5], s[4:5]
	s_lshl_b32 s6, s6, 6
	v_mov_b32_e32 v11, s9
	v_mov_b32_e32 v10, s9
	;; [unrolled: 1-line block ×16, first 2 shown]
	v_writelane_b32 v103, s4, 4
	v_writelane_b32 v103, s5, 5
	s_xor_b64 exec, exec, s[4:5]
	s_cbranch_execz .LBB118_73
; %bb.31:
	s_xor_b32 s2, s2, s3
	s_mul_i32 s3, s1, s39
	s_sub_i32 s0, s0, s3
	s_add_i32 s3, s1, 1
	s_sub_i32 s4, s0, s39
	s_cmp_ge_u32 s0, s39
	s_cselect_b32 s1, s3, s1
	s_cselect_b32 s0, s4, s0
	s_add_i32 s3, s1, 1
	s_cmp_ge_u32 s0, s39
	s_cselect_b32 s0, s3, s1
	s_xor_b32 s0, s0, s2
	s_sub_i32 s0, s0, s2
	s_mul_hi_i32 s1, s0, s44
	s_mul_i32 s0, s0, s44
	s_mul_i32 s2, s7, s24
	v_writelane_b32 v103, s40, 6
	s_ashr_i32 s3, s2, 31
	s_lshl_b64 s[0:1], s[0:1], 2
	v_writelane_b32 v103, s41, 7
	s_add_u32 s5, s28, s0
	v_writelane_b32 v103, s6, 8
	s_mul_i32 s4, s6, s19
	s_addc_u32 s6, s29, s1
	s_lshl_b64 s[2:3], s[2:3], 2
	s_add_u32 s7, s5, s2
	s_addc_u32 s6, s6, s3
	s_ashr_i32 s5, s4, 31
	s_lshl_b64 s[4:5], s[4:5], 2
	s_add_u32 s24, s7, s4
	s_addc_u32 s10, s6, s5
	s_movk_i32 s6, 0x1080
	v_mov_b32_e32 v92, 0x100
	v_writelane_b32 v103, s8, 9
	v_mad_u32_u24 v0, v17, s6, v92
	s_mul_hi_i32 s7, s45, s8
	v_writelane_b32 v103, s44, 10
	s_mul_i32 s6, s45, s8
	s_mul_hi_i32 s9, s20, s50
	s_mul_i32 s8, s20, s50
	s_lshl_b64 s[8:9], s[8:9], 3
	s_lshl_b64 s[6:7], s[6:7], 2
	s_add_u32 s6, s30, s6
	s_addc_u32 s7, s31, s7
	s_add_u32 s27, s6, s8
	s_addc_u32 s33, s7, s9
	s_cmp_lt_i32 s50, s17
	s_cselect_b64 s[6:7], -1, 0
	s_add_i32 s8, s50, 1
	s_cmp_lt_i32 s8, s17
	v_writelane_b32 v103, s45, 11
	s_cselect_b64 s[12:13], -1, 0
	s_add_i32 s8, s50, 2
	v_writelane_b32 v103, s46, 12
	s_cmp_lt_i32 s8, s17
	v_writelane_b32 v103, s47, 13
	s_cselect_b64 s[22:23], -1, 0
	s_lshl_b32 s8, s20, 2
	v_writelane_b32 v103, s8, 14
	s_add_i32 s8, s50, 3
	s_cmp_lt_i32 s8, s17
	s_cselect_b64 s[30:31], -1, 0
	s_add_i32 s8, s50, 4
	s_cmp_lt_i32 s8, s17
	s_cselect_b64 s[34:35], -1, 0
	s_lshl_b32 s8, s20, 3
	v_writelane_b32 v103, s8, 15
	s_add_i32 s8, s50, 5
	s_cmp_lt_i32 s8, s17
	s_cselect_b64 s[36:37], -1, 0
	s_add_i32 s8, s50, 6
	s_cmp_lt_i32 s8, s17
	s_mul_i32 s8, s20, 6
	s_cselect_b64 s[38:39], -1, 0
	v_writelane_b32 v103, s8, 16
	s_add_i32 s8, s50, 7
	s_cmp_lt_i32 s8, s17
	s_cselect_b64 s[40:41], -1, 0
	s_add_i32 s8, s50, 8
	s_cmp_lt_i32 s8, s17
	s_cselect_b64 s[42:43], -1, 0
	s_lshl_b32 s8, s20, 4
	v_writelane_b32 v103, s8, 17
	s_add_i32 s8, s50, 9
	s_cmp_lt_i32 s8, s17
	s_cselect_b64 s[44:45], -1, 0
	s_add_i32 s8, s50, 10
	s_cmp_lt_i32 s8, s17
	s_mul_i32 s8, s20, 10
	s_cselect_b64 s[46:47], -1, 0
	v_writelane_b32 v103, s8, 18
	s_add_i32 s8, s50, 11
	s_cmp_lt_i32 s8, s17
	s_cselect_b64 s[48:49], -1, 0
	s_add_i32 s8, s50, 12
	v_writelane_b32 v103, s50, 19
	s_cmp_lt_i32 s8, s17
	s_mul_i32 s8, s20, 12
	s_cselect_b64 s[50:51], -1, 0
	v_writelane_b32 v103, s8, 20
	s_ashr_i32 s9, s19, 31
	s_mov_b32 s8, s19
	s_lshl_b64 s[52:53], s[8:9], 2
	s_add_u32 s0, s0, s4
	v_lshrrev_b32_e32 v2, 1, v16
	s_addc_u32 s1, s1, s5
	v_mul_u32_u24_e32 v1, 0x108, v90
	v_and_b32_e32 v2, 0x1f8, v2
	s_add_u32 s0, s0, s2
	v_lshl_add_u32 v93, v16, 2, v0
	v_add3_u32 v94, v0, v1, v2
	v_lshlrev_b32_e32 v0, 1, v16
	s_addc_u32 s1, s1, s3
	v_lshl_add_u32 v95, v17, 7, v0
	v_lshlrev_b32_e32 v0, 2, v91
	s_add_u32 s0, s28, s0
	v_add_co_u32_e32 v18, vcc, s0, v0
	s_mul_i32 s0, s20, 24
	v_writelane_b32 v103, s0, 21
	s_mul_i32 s0, s20, 22
	v_writelane_b32 v103, s0, 22
	;; [unrolled: 2-line block ×4, first 2 shown]
	s_mul_i32 s0, s20, 14
	s_addc_u32 s1, s29, s1
	v_writelane_b32 v103, s0, 25
	s_lshl_b32 s0, s20, 1
	v_writelane_b32 v103, s0, 26
	s_mul_i32 s0, s19, 3
	v_writelane_b32 v103, s0, 27
	s_mul_i32 s0, s19, 5
	v_mov_b32_e32 v1, s1
	v_writelane_b32 v103, s0, 28
	s_mul_i32 s0, s19, 6
	v_mov_b32_e32 v97, 0
	v_addc_co_u32_e32 v19, vcc, 0, v1, vcc
	s_lshl_b32 s62, s19, 1
	s_lshl_b32 s64, s19, 2
	v_writelane_b32 v103, s0, 29
	s_mul_i32 s67, s19, 7
	s_lshl_b32 s68, s19, 3
	s_mul_i32 s69, s19, 9
	s_mul_i32 s70, s19, 10
	;; [unrolled: 1-line block ×7, first 2 shown]
	s_lshl_b32 s76, s19, 4
	s_mul_i32 s77, s19, 17
	s_mul_i32 s78, s19, 18
	;; [unrolled: 1-line block ×8, first 2 shown]
	v_mov_b32_e32 v96, s10
	s_mul_i32 s85, s19, 25
	v_mov_b32_e32 v98, s53
	v_mov_b32_e32 v12, 0
	v_mov_b32_e32 v13, v97
	v_mov_b32_e32 v14, v97
	v_mov_b32_e32 v15, v97
	v_mov_b32_e32 v0, 0
	v_mov_b32_e32 v1, v97
	v_mov_b32_e32 v2, v97
	v_mov_b32_e32 v3, v97
	v_mov_b32_e32 v4, 0
	v_mov_b32_e32 v5, v97
	v_mov_b32_e32 v6, v97
	v_mov_b32_e32 v7, v97
	v_mov_b32_e32 v8, 0
	v_mov_b32_e32 v9, v97
	v_mov_b32_e32 v10, v97
	v_mov_b32_e32 v11, v97
	s_mul_i32 s53, s19, 26
	s_mul_i32 s86, s19, 27
	;; [unrolled: 1-line block ×6, first 2 shown]
	s_lshl_b32 s91, s19, 5
	s_mul_i32 s92, s19, 33
	s_mul_i32 s93, s19, 34
	;; [unrolled: 1-line block ×31, first 2 shown]
	s_mov_b64 s[18:19], 0
	s_branch .LBB118_33
.LBB118_32:                             ;   in Loop: Header=BB118_33 Depth=1
	s_waitcnt vmcnt(0)
	v_cvt_f16_f32_e32 v84, v84
	v_cvt_f16_f32_e32 v85, v85
	v_add_u32_e32 v86, 0xc00, v93
	ds_write2_b32 v86, v97, v97 offset0:172 offset1:238
	v_add_co_u32_e32 v18, vcc, 0x700, v18
	v_pack_b32_f16 v84, v84, v85
	ds_write2_b32 v86, v84, v97 offset0:40 offset1:106
	ds_read2_b64 v[84:87], v94 offset0:8 offset1:12
	v_add_u32_e32 v91, 0x1c0, v91
	v_addc_co_u32_e32 v19, vcc, 0, v19, vcc
	s_waitcnt lgkmcnt(0)
	v_mfma_f32_16x16x16f16 v[8:11], v[36:37], v[84:85], v[8:11]
	v_cmp_le_i32_e32 vcc, s16, v91
	v_add_u32_e32 v95, 0x380, v95
	s_or_b64 s[18:19], vcc, s[18:19]
	v_mfma_f32_16x16x16f16 v[4:7], v[52:53], v[84:85], v[4:7]
	v_mfma_f32_16x16x16f16 v[0:3], v[66:67], v[84:85], v[0:3]
	;; [unrolled: 1-line block ×5, first 2 shown]
	ds_read2_b64 v[50:53], v94 offset0:16 offset1:20
	v_mfma_f32_16x16x16f16 v[0:3], v[64:65], v[86:87], v[0:3]
	v_mfma_f32_16x16x16f16 v[12:15], v[80:81], v[86:87], v[12:15]
	s_waitcnt lgkmcnt(0)
	v_mfma_f32_16x16x16f16 v[8:11], v[30:31], v[50:51], v[8:11]
	v_mfma_f32_16x16x16f16 v[4:7], v[46:47], v[50:51], v[4:7]
	;; [unrolled: 1-line block ×5, first 2 shown]
	ds_read2_b64 v[28:31], v94 offset0:24 offset1:28
	v_mfma_f32_16x16x16f16 v[4:7], v[44:45], v[52:53], v[4:7]
	v_mfma_f32_16x16x16f16 v[0:3], v[60:61], v[52:53], v[0:3]
	;; [unrolled: 1-line block ×3, first 2 shown]
	s_waitcnt lgkmcnt(0)
	v_mfma_f32_16x16x16f16 v[8:11], v[26:27], v[28:29], v[8:11]
	v_mfma_f32_16x16x16f16 v[4:7], v[42:43], v[28:29], v[4:7]
	;; [unrolled: 1-line block ×5, first 2 shown]
	ds_read2_b64 v[24:27], v94 offset0:32 offset1:36
	v_mfma_f32_16x16x16f16 v[4:7], v[40:41], v[30:31], v[4:7]
	v_mfma_f32_16x16x16f16 v[0:3], v[56:57], v[30:31], v[0:3]
	;; [unrolled: 1-line block ×3, first 2 shown]
	s_waitcnt lgkmcnt(0)
	v_mfma_f32_16x16x16f16 v[8:11], v[22:23], v[24:25], v[8:11]
	v_mfma_f32_16x16x16f16 v[4:7], v[38:39], v[24:25], v[4:7]
	;; [unrolled: 1-line block ×8, first 2 shown]
	s_andn2_b64 exec, exec, s[18:19]
	s_cbranch_execz .LBB118_72
.LBB118_33:                             ; =>This Inner Loop Header: Depth=1
	v_add_co_u32_e32 v20, vcc, s52, v18
	v_addc_co_u32_e32 v21, vcc, v19, v98, vcc
	global_load_dword v32, v[18:19], off
	global_load_dword v33, v[20:21], off
	v_add_u32_e32 v20, s62, v91
	v_ashrrev_i32_e32 v21, 31, v20
	v_lshlrev_b64 v[20:21], 2, v[20:21]
	v_add_co_u32_e32 v20, vcc, s24, v20
	v_addc_co_u32_e32 v21, vcc, v96, v21, vcc
	v_readlane_b32 vcc_lo, v103, 27
	v_add_u32_e32 v22, vcc_lo, v91
	v_ashrrev_i32_e32 v23, 31, v22
	v_lshlrev_b64 v[22:23], 2, v[22:23]
	v_add_u32_e32 v24, s64, v91
	v_add_co_u32_e32 v22, vcc, s24, v22
	v_ashrrev_i32_e32 v25, 31, v24
	v_addc_co_u32_e32 v23, vcc, v96, v23, vcc
	v_lshlrev_b64 v[24:25], 2, v[24:25]
	v_add_co_u32_e32 v24, vcc, s24, v24
	v_addc_co_u32_e32 v25, vcc, v96, v25, vcc
	v_readlane_b32 vcc_lo, v103, 28
	v_add_u32_e32 v26, vcc_lo, v91
	v_ashrrev_i32_e32 v27, 31, v26
	v_lshlrev_b64 v[26:27], 2, v[26:27]
	v_add_co_u32_e32 v26, vcc, s24, v26
	v_addc_co_u32_e32 v27, vcc, v96, v27, vcc
	v_readlane_b32 vcc_lo, v103, 29
	v_add_u32_e32 v28, vcc_lo, v91
	v_ashrrev_i32_e32 v29, 31, v28
	v_lshlrev_b64 v[28:29], 2, v[28:29]
	v_add_u32_e32 v30, s67, v91
	v_add_co_u32_e32 v28, vcc, s24, v28
	v_ashrrev_i32_e32 v31, 31, v30
	v_addc_co_u32_e32 v29, vcc, v96, v29, vcc
	v_lshlrev_b64 v[30:31], 2, v[30:31]
	v_add_co_u32_e32 v30, vcc, s24, v30
	v_addc_co_u32_e32 v31, vcc, v96, v31, vcc
	global_load_dword v34, v[20:21], off
	global_load_dword v35, v[22:23], off
	;; [unrolled: 1-line block ×3, first 2 shown]
	s_nop 0
	global_load_dword v26, v[26:27], off
	s_nop 0
	global_load_dword v27, v[28:29], off
	;; [unrolled: 2-line block ×3, first 2 shown]
	v_add_u32_e32 v20, s68, v91
	v_ashrrev_i32_e32 v21, 31, v20
	v_add_u32_e32 v22, s69, v91
	v_lshlrev_b64 v[20:21], 2, v[20:21]
	v_ashrrev_i32_e32 v23, 31, v22
	v_add_co_u32_e32 v20, vcc, s24, v20
	v_add_u32_e32 v24, s70, v91
	v_lshlrev_b64 v[22:23], 2, v[22:23]
	v_addc_co_u32_e32 v21, vcc, v96, v21, vcc
	v_ashrrev_i32_e32 v25, 31, v24
	v_add_co_u32_e32 v22, vcc, s24, v22
	v_lshlrev_b64 v[24:25], 2, v[24:25]
	v_addc_co_u32_e32 v23, vcc, v96, v23, vcc
	global_load_dword v20, v[20:21], off
	s_nop 0
	global_load_dword v21, v[22:23], off
	v_add_u32_e32 v22, s71, v91
	v_add_co_u32_e32 v24, vcc, s24, v24
	v_ashrrev_i32_e32 v23, 31, v22
	v_addc_co_u32_e32 v25, vcc, v96, v25, vcc
	v_lshlrev_b64 v[22:23], 2, v[22:23]
	v_add_u32_e32 v60, s56, v91
	v_ashrrev_i32_e32 v61, 31, v60
	v_lshlrev_b64 v[60:61], 2, v[60:61]
	s_waitcnt vmcnt(9)
	ds_write_b32 v93, v32 offset:64
	s_waitcnt vmcnt(8)
	ds_write_b32 v93, v33 offset:328
	;; [unrolled: 2-line block ×8, first 2 shown]
	v_add_co_u32_e32 v26, vcc, s24, v22
	v_add_u32_e32 v22, s72, v91
	v_addc_co_u32_e32 v27, vcc, v96, v23, vcc
	v_ashrrev_i32_e32 v23, 31, v22
	v_lshlrev_b64 v[22:23], 2, v[22:23]
	v_add_co_u32_e32 v28, vcc, s24, v22
	v_add_u32_e32 v22, s73, v91
	v_addc_co_u32_e32 v29, vcc, v96, v23, vcc
	v_ashrrev_i32_e32 v23, 31, v22
	v_lshlrev_b64 v[22:23], 2, v[22:23]
	v_add_co_u32_e32 v30, vcc, s24, v22
	v_add_u32_e32 v22, s74, v91
	v_addc_co_u32_e32 v31, vcc, v96, v23, vcc
	v_ashrrev_i32_e32 v23, 31, v22
	v_lshlrev_b64 v[22:23], 2, v[22:23]
	v_add_co_u32_e32 v32, vcc, s24, v22
	v_add_u32_e32 v22, s75, v91
	v_addc_co_u32_e32 v33, vcc, v96, v23, vcc
	v_ashrrev_i32_e32 v23, 31, v22
	v_lshlrev_b64 v[22:23], 2, v[22:23]
	v_add_co_u32_e32 v34, vcc, s24, v22
	v_add_u32_e32 v22, s76, v91
	v_addc_co_u32_e32 v35, vcc, v96, v23, vcc
	v_ashrrev_i32_e32 v23, 31, v22
	v_lshlrev_b64 v[22:23], 2, v[22:23]
	v_add_co_u32_e32 v36, vcc, s24, v22
	v_add_u32_e32 v22, s77, v91
	v_addc_co_u32_e32 v37, vcc, v96, v23, vcc
	v_ashrrev_i32_e32 v23, 31, v22
	v_lshlrev_b64 v[22:23], 2, v[22:23]
	v_add_co_u32_e32 v38, vcc, s24, v22
	v_addc_co_u32_e32 v39, vcc, v96, v23, vcc
	global_load_dword v22, v[24:25], off
	global_load_dword v23, v[26:27], off
	s_nop 0
	global_load_dword v24, v[28:29], off
	global_load_dword v25, v[30:31], off
	;; [unrolled: 1-line block ×4, first 2 shown]
	s_nop 0
	global_load_dword v34, v[36:37], off
	global_load_dword v35, v[38:39], off
	v_add_u32_e32 v28, s78, v91
	v_ashrrev_i32_e32 v29, 31, v28
	v_lshlrev_b64 v[28:29], 2, v[28:29]
	v_add_u32_e32 v30, s79, v91
	v_add_co_u32_e32 v28, vcc, s24, v28
	v_ashrrev_i32_e32 v31, 31, v30
	v_addc_co_u32_e32 v29, vcc, v96, v29, vcc
	v_lshlrev_b64 v[30:31], 2, v[30:31]
	v_add_u32_e32 v32, s80, v91
	v_add_co_u32_e32 v30, vcc, s24, v30
	v_ashrrev_i32_e32 v33, 31, v32
	v_addc_co_u32_e32 v31, vcc, v96, v31, vcc
	;; [unrolled: 5-line block ×4, first 2 shown]
	v_lshlrev_b64 v[38:39], 2, v[38:39]
	v_add_co_u32_e32 v42, vcc, s24, v38
	v_add_u32_e32 v38, s83, v91
	v_addc_co_u32_e32 v43, vcc, v96, v39, vcc
	v_ashrrev_i32_e32 v39, 31, v38
	v_lshlrev_b64 v[38:39], 2, v[38:39]
	v_add_co_u32_e32 v44, vcc, s24, v38
	v_add_u32_e32 v38, s84, v91
	v_addc_co_u32_e32 v45, vcc, v96, v39, vcc
	v_ashrrev_i32_e32 v39, 31, v38
	;; [unrolled: 5-line block ×3, first 2 shown]
	v_lshlrev_b64 v[38:39], 2, v[38:39]
	v_add_co_u32_e32 v48, vcc, s24, v38
	v_addc_co_u32_e32 v49, vcc, v96, v39, vcc
	global_load_dword v38, v[28:29], off
	global_load_dword v39, v[30:31], off
	;; [unrolled: 1-line block ×4, first 2 shown]
	s_nop 0
	global_load_dword v42, v[42:43], off
	s_nop 0
	global_load_dword v43, v[44:45], off
	;; [unrolled: 2-line block ×3, first 2 shown]
	global_load_dword v45, v[48:49], off
	v_add_u32_e32 v28, s53, v91
	v_ashrrev_i32_e32 v29, 31, v28
	v_lshlrev_b64 v[28:29], 2, v[28:29]
	v_add_u32_e32 v30, s86, v91
	v_add_co_u32_e32 v28, vcc, s24, v28
	v_ashrrev_i32_e32 v31, 31, v30
	v_addc_co_u32_e32 v29, vcc, v96, v29, vcc
	v_lshlrev_b64 v[30:31], 2, v[30:31]
	v_add_u32_e32 v32, s87, v91
	v_add_co_u32_e32 v30, vcc, s24, v30
	v_ashrrev_i32_e32 v33, 31, v32
	v_addc_co_u32_e32 v31, vcc, v96, v31, vcc
	;; [unrolled: 5-line block ×4, first 2 shown]
	v_lshlrev_b64 v[46:47], 2, v[46:47]
	v_add_co_u32_e32 v48, vcc, s24, v46
	v_add_u32_e32 v46, s90, v91
	v_addc_co_u32_e32 v49, vcc, v96, v47, vcc
	v_ashrrev_i32_e32 v47, 31, v46
	v_lshlrev_b64 v[46:47], 2, v[46:47]
	v_add_co_u32_e32 v54, vcc, s24, v46
	v_add_u32_e32 v46, s91, v91
	v_addc_co_u32_e32 v55, vcc, v96, v47, vcc
	v_ashrrev_i32_e32 v47, 31, v46
	;; [unrolled: 5-line block ×3, first 2 shown]
	v_lshlrev_b64 v[46:47], 2, v[46:47]
	v_add_co_u32_e32 v58, vcc, s24, v46
	v_addc_co_u32_e32 v59, vcc, v96, v47, vcc
	global_load_dword v46, v[28:29], off
	global_load_dword v47, v[30:31], off
	;; [unrolled: 1-line block ×6, first 2 shown]
	s_nop 0
	global_load_dword v48, v[56:57], off
	global_load_dword v49, v[58:59], off
	v_add_u32_e32 v28, s93, v91
	v_ashrrev_i32_e32 v29, 31, v28
	v_lshlrev_b64 v[28:29], 2, v[28:29]
	v_add_u32_e32 v30, s94, v91
	v_add_co_u32_e32 v28, vcc, s24, v28
	v_ashrrev_i32_e32 v31, 31, v30
	v_addc_co_u32_e32 v29, vcc, v96, v29, vcc
	v_lshlrev_b64 v[30:31], 2, v[30:31]
	v_add_u32_e32 v32, s95, v91
	v_add_co_u32_e32 v30, vcc, s24, v30
	v_ashrrev_i32_e32 v33, 31, v32
	v_addc_co_u32_e32 v31, vcc, v96, v31, vcc
	;; [unrolled: 5-line block ×6, first 2 shown]
	v_lshlrev_b64 v[58:59], 2, v[58:59]
	v_add_co_u32_e32 v58, vcc, s24, v58
	v_addc_co_u32_e32 v59, vcc, v96, v59, vcc
	v_add_co_u32_e32 v60, vcc, s24, v60
	v_addc_co_u32_e32 v61, vcc, v96, v61, vcc
	global_load_dword v62, v[28:29], off
	global_load_dword v63, v[30:31], off
	;; [unrolled: 1-line block ×8, first 2 shown]
	v_add_u32_e32 v28, s58, v91
	v_ashrrev_i32_e32 v29, 31, v28
	v_lshlrev_b64 v[28:29], 2, v[28:29]
	v_add_u32_e32 v30, s17, v91
	v_add_co_u32_e32 v28, vcc, s24, v28
	v_ashrrev_i32_e32 v31, 31, v30
	v_addc_co_u32_e32 v29, vcc, v96, v29, vcc
	v_lshlrev_b64 v[30:31], 2, v[30:31]
	v_add_u32_e32 v32, s28, v91
	v_add_co_u32_e32 v30, vcc, s24, v30
	v_ashrrev_i32_e32 v33, 31, v32
	v_addc_co_u32_e32 v31, vcc, v96, v31, vcc
	;; [unrolled: 5-line block ×7, first 2 shown]
	v_lshlrev_b64 v[60:61], 2, v[60:61]
	v_add_co_u32_e32 v60, vcc, s24, v60
	v_addc_co_u32_e32 v61, vcc, v96, v61, vcc
	global_load_dword v70, v[28:29], off
	global_load_dword v71, v[30:31], off
	;; [unrolled: 1-line block ×8, first 2 shown]
	v_add_u32_e32 v28, s5, v91
	v_ashrrev_i32_e32 v29, 31, v28
	v_lshlrev_b64 v[28:29], 2, v[28:29]
	v_add_u32_e32 v30, s2, v91
	v_add_co_u32_e32 v28, vcc, s24, v28
	v_ashrrev_i32_e32 v31, 31, v30
	v_addc_co_u32_e32 v29, vcc, v96, v29, vcc
	v_lshlrev_b64 v[30:31], 2, v[30:31]
	v_add_u32_e32 v32, s3, v91
	v_add_co_u32_e32 v30, vcc, s24, v30
	v_ashrrev_i32_e32 v33, 31, v32
	v_addc_co_u32_e32 v31, vcc, v96, v31, vcc
	;; [unrolled: 5-line block ×7, first 2 shown]
	v_lshlrev_b64 v[60:61], 2, v[60:61]
	v_add_co_u32_e32 v60, vcc, s24, v60
	v_addc_co_u32_e32 v61, vcc, v96, v61, vcc
	global_load_dword v78, v[28:29], off
	global_load_dword v79, v[30:31], off
	global_load_dword v80, v[32:33], off
	global_load_dword v81, v[36:37], off
	global_load_dword v82, v[54:55], off
	global_load_dword v83, v[56:57], off
	global_load_dword v84, v[58:59], off
	global_load_dword v85, v[60:61], off
	v_add_u32_e32 v28, s20, v91
	v_ashrrev_i32_e32 v29, 31, v28
	v_lshlrev_b64 v[28:29], 2, v[28:29]
	v_add_u32_e32 v30, s9, v91
	v_add_co_u32_e32 v28, vcc, s24, v28
	v_ashrrev_i32_e32 v31, 31, v30
	v_addc_co_u32_e32 v29, vcc, v96, v29, vcc
	v_lshlrev_b64 v[30:31], 2, v[30:31]
	v_add_u32_e32 v32, s8, v91
	v_add_co_u32_e32 v30, vcc, s24, v30
	v_ashrrev_i32_e32 v33, 31, v32
	v_addc_co_u32_e32 v31, vcc, v96, v31, vcc
	;; [unrolled: 5-line block ×5, first 2 shown]
	v_lshlrev_b64 v[56:57], 2, v[56:57]
	v_add_co_u32_e32 v56, vcc, s24, v56
	v_addc_co_u32_e32 v57, vcc, v96, v57, vcc
	global_load_dword v86, v[28:29], off
	global_load_dword v87, v[30:31], off
	;; [unrolled: 1-line block ×6, first 2 shown]
	s_waitcnt vmcnt(55)
	ds_write_b32 v93, v20 offset:2176
	s_waitcnt vmcnt(54)
	ds_write_b32 v93, v21 offset:2440
	s_waitcnt vmcnt(53)
	ds_write_b32 v93, v22 offset:2704
	s_waitcnt vmcnt(52)
	ds_write_b32 v93, v23 offset:2968
	s_waitcnt vmcnt(51)
	ds_write_b32 v93, v24 offset:3232
	s_waitcnt vmcnt(50)
	ds_write_b32 v93, v25 offset:3496
	s_waitcnt vmcnt(49)
	ds_write_b32 v93, v26 offset:3760
	s_waitcnt vmcnt(48)
	ds_write_b32 v93, v27 offset:4024
	ds_read_b64 v[36:37], v94 offset:64
	ds_read_b64 v[32:33], v94 offset:96
	ds_read_b64 v[30:31], v94 offset:128
	ds_read_b64 v[28:29], v94 offset:160
	ds_read_b64 v[26:27], v94 offset:192
	ds_read_b64 v[24:25], v94 offset:224
	ds_read_b64 v[22:23], v94 offset:256
	ds_read_b64 v[20:21], v94 offset:288
	s_waitcnt vmcnt(47)
	ds_write_b32 v93, v34 offset:64
	s_waitcnt vmcnt(46)
	ds_write_b32 v93, v35 offset:328
	s_waitcnt vmcnt(45)
	ds_write_b32 v93, v38 offset:592
	s_waitcnt vmcnt(44)
	ds_write_b32 v93, v39 offset:856
	s_waitcnt vmcnt(43)
	ds_write_b32 v93, v40 offset:1120
	s_waitcnt vmcnt(42)
	ds_write_b32 v93, v41 offset:1384
	s_waitcnt vmcnt(41)
	ds_write_b32 v93, v42 offset:1648
	s_waitcnt vmcnt(40)
	ds_write_b32 v93, v43 offset:1912
	s_waitcnt vmcnt(39)
	ds_write_b32 v93, v44 offset:2176
	s_waitcnt vmcnt(38)
	ds_write_b32 v93, v45 offset:2440
	s_waitcnt vmcnt(37)
	ds_write_b32 v93, v46 offset:2704
	s_waitcnt vmcnt(36)
	ds_write_b32 v93, v47 offset:2968
	s_waitcnt vmcnt(35)
	ds_write_b32 v93, v50 offset:3232
	s_waitcnt vmcnt(34)
	ds_write_b32 v93, v51 offset:3496
	s_waitcnt vmcnt(33)
	ds_write_b32 v93, v52 offset:3760
	s_waitcnt vmcnt(32)
	ds_write_b32 v93, v53 offset:4024
	ds_read_b64 v[52:53], v94 offset:64
	ds_read_b64 v[50:51], v94 offset:96
	ds_read_b64 v[46:47], v94 offset:128
	ds_read_b64 v[44:45], v94 offset:160
	ds_read_b64 v[42:43], v94 offset:192
	ds_read_b64 v[40:41], v94 offset:224
	ds_read_b64 v[38:39], v94 offset:256
	ds_read_b64 v[34:35], v94 offset:288
	s_waitcnt vmcnt(31)
	ds_write_b32 v93, v48 offset:64
	s_waitcnt vmcnt(30)
	ds_write_b32 v93, v49 offset:328
	s_waitcnt vmcnt(29)
	ds_write_b32 v93, v62 offset:592
	s_waitcnt vmcnt(28)
	ds_write_b32 v93, v63 offset:856
	s_waitcnt vmcnt(27)
	ds_write_b32 v93, v64 offset:1120
	s_waitcnt vmcnt(26)
	ds_write_b32 v93, v65 offset:1384
	s_waitcnt vmcnt(25)
	ds_write_b32 v93, v66 offset:1648
	s_waitcnt vmcnt(24)
	ds_write_b32 v93, v67 offset:1912
	;; [unrolled: 40-line block ×3, first 2 shown]
	s_waitcnt vmcnt(7)
	ds_write_b32 v93, v84 offset:2176
	s_waitcnt vmcnt(6)
	ds_write_b32 v93, v85 offset:2440
	s_waitcnt vmcnt(5)
	ds_write_b32 v93, v86 offset:2704
	s_waitcnt vmcnt(4)
	ds_write_b32 v93, v87 offset:2968
	s_waitcnt vmcnt(3)
	ds_write_b32 v93, v99 offset:3232
	s_waitcnt vmcnt(2)
	ds_write_b32 v93, v100 offset:3496
	s_waitcnt vmcnt(1)
	ds_write_b32 v93, v101 offset:3760
	s_waitcnt vmcnt(0)
	ds_write_b32 v93, v102 offset:4024
	ds_read_b64 v[82:83], v94 offset:64
	ds_read_b64 v[80:81], v94 offset:96
	;; [unrolled: 1-line block ×8, first 2 shown]
	s_andn2_b64 vcc, exec, s[6:7]
	v_mov_b32_e32 v84, 0
	v_mov_b32_e32 v85, 0
	s_cbranch_vccnz .LBB118_36
; %bb.34:                               ;   in Loop: Header=BB118_33 Depth=1
	ds_read_b32 v86, v92
	v_mov_b32_e32 v85, 0
	v_mov_b32_e32 v84, 0
	s_waitcnt lgkmcnt(0)
	v_cmp_gt_i32_e32 vcc, 0, v86
	s_cbranch_vccnz .LBB118_36
; %bb.35:                               ;   in Loop: Header=BB118_33 Depth=1
	v_mul_lo_u32 v84, v86, s25
	v_add_u32_e32 v84, v95, v84
	v_ashrrev_i32_e32 v85, 31, v84
	v_lshlrev_b64 v[84:85], 2, v[84:85]
	v_mov_b32_e32 v86, s33
	v_add_co_u32_e32 v84, vcc, s27, v84
	v_addc_co_u32_e32 v85, vcc, v86, v85, vcc
	global_load_dwordx2 v[84:85], v[84:85], off
.LBB118_36:                             ;   in Loop: Header=BB118_33 Depth=1
	s_waitcnt vmcnt(0)
	v_cvt_f16_f32_e32 v84, v84
	v_cvt_f16_f32_e32 v85, v85
	s_andn2_b64 vcc, exec, s[12:13]
	v_mov_b32_e32 v86, 0
	v_mov_b32_e32 v87, 0
	v_pack_b32_f16 v84, v84, v85
	ds_write_b32 v93, v84 offset:64
	v_mov_b32_e32 v84, 0
	s_cbranch_vccnz .LBB118_39
; %bb.37:                               ;   in Loop: Header=BB118_33 Depth=1
	ds_read_b32 v85, v92 offset:4
	v_mov_b32_e32 v87, 0
	v_mov_b32_e32 v86, 0
	s_waitcnt lgkmcnt(0)
	v_cmp_gt_i32_e32 vcc, 0, v85
	s_cbranch_vccnz .LBB118_39
; %bb.38:                               ;   in Loop: Header=BB118_33 Depth=1
	v_mul_lo_u32 v85, v85, s25
	v_readlane_b32 vcc_lo, v103, 26
	v_add_u32_e32 v85, vcc_lo, v85
	v_add_u32_e32 v86, v85, v95
	v_ashrrev_i32_e32 v87, 31, v86
	v_lshlrev_b64 v[86:87], 2, v[86:87]
	v_mov_b32_e32 v85, s33
	v_add_co_u32_e32 v86, vcc, s27, v86
	v_addc_co_u32_e32 v87, vcc, v85, v87, vcc
	global_load_dwordx2 v[86:87], v[86:87], off
.LBB118_39:                             ;   in Loop: Header=BB118_33 Depth=1
	s_waitcnt vmcnt(0)
	v_cvt_f16_f32_e32 v85, v86
	v_cvt_f16_f32_e32 v86, v87
	s_andn2_b64 vcc, exec, s[22:23]
	v_pack_b32_f16 v85, v85, v86
	ds_write_b32 v93, v85 offset:328
	v_mov_b32_e32 v85, 0
	s_cbranch_vccnz .LBB118_42
; %bb.40:                               ;   in Loop: Header=BB118_33 Depth=1
	ds_read_b32 v86, v92 offset:8
	v_mov_b32_e32 v85, 0
	v_mov_b32_e32 v84, 0
	s_waitcnt lgkmcnt(0)
	v_cmp_gt_i32_e32 vcc, 0, v86
	s_cbranch_vccnz .LBB118_42
; %bb.41:                               ;   in Loop: Header=BB118_33 Depth=1
	v_mul_lo_u32 v84, v86, s25
	v_readlane_b32 vcc_lo, v103, 14
	v_add_u32_e32 v84, vcc_lo, v84
	v_add_u32_e32 v84, v84, v95
	v_ashrrev_i32_e32 v85, 31, v84
	v_lshlrev_b64 v[84:85], 2, v[84:85]
	v_mov_b32_e32 v86, s33
	v_add_co_u32_e32 v84, vcc, s27, v84
	v_addc_co_u32_e32 v85, vcc, v86, v85, vcc
	global_load_dwordx2 v[84:85], v[84:85], off
.LBB118_42:                             ;   in Loop: Header=BB118_33 Depth=1
	s_waitcnt vmcnt(0)
	v_cvt_f16_f32_e32 v84, v84
	v_cvt_f16_f32_e32 v85, v85
	s_andn2_b64 vcc, exec, s[30:31]
	v_mov_b32_e32 v86, 0
	v_mov_b32_e32 v87, 0
	v_pack_b32_f16 v84, v84, v85
	ds_write_b32 v93, v84 offset:592
	v_mov_b32_e32 v84, 0
	s_cbranch_vccnz .LBB118_45
; %bb.43:                               ;   in Loop: Header=BB118_33 Depth=1
	ds_read_b32 v85, v92 offset:12
	v_mov_b32_e32 v87, 0
	v_mov_b32_e32 v86, 0
	s_waitcnt lgkmcnt(0)
	v_cmp_gt_i32_e32 vcc, 0, v85
	s_cbranch_vccnz .LBB118_45
; %bb.44:                               ;   in Loop: Header=BB118_33 Depth=1
	v_mul_lo_u32 v85, v85, s25
	v_readlane_b32 vcc_lo, v103, 16
	v_add_u32_e32 v85, vcc_lo, v85
	v_add_u32_e32 v86, v85, v95
	v_ashrrev_i32_e32 v87, 31, v86
	v_lshlrev_b64 v[86:87], 2, v[86:87]
	v_mov_b32_e32 v85, s33
	v_add_co_u32_e32 v86, vcc, s27, v86
	v_addc_co_u32_e32 v87, vcc, v85, v87, vcc
	global_load_dwordx2 v[86:87], v[86:87], off
.LBB118_45:                             ;   in Loop: Header=BB118_33 Depth=1
	s_waitcnt vmcnt(0)
	v_cvt_f16_f32_e32 v85, v86
	v_cvt_f16_f32_e32 v86, v87
	s_andn2_b64 vcc, exec, s[34:35]
	v_pack_b32_f16 v85, v85, v86
	ds_write_b32 v93, v85 offset:856
	v_mov_b32_e32 v85, 0
	s_cbranch_vccnz .LBB118_48
; %bb.46:                               ;   in Loop: Header=BB118_33 Depth=1
	ds_read_b32 v86, v92 offset:16
	v_mov_b32_e32 v85, 0
	v_mov_b32_e32 v84, 0
	s_waitcnt lgkmcnt(0)
	v_cmp_gt_i32_e32 vcc, 0, v86
	s_cbranch_vccnz .LBB118_48
; %bb.47:                               ;   in Loop: Header=BB118_33 Depth=1
	v_mul_lo_u32 v84, v86, s25
	v_readlane_b32 vcc_lo, v103, 15
	v_add_u32_e32 v84, vcc_lo, v84
	v_add_u32_e32 v84, v84, v95
	v_ashrrev_i32_e32 v85, 31, v84
	v_lshlrev_b64 v[84:85], 2, v[84:85]
	v_mov_b32_e32 v86, s33
	v_add_co_u32_e32 v84, vcc, s27, v84
	v_addc_co_u32_e32 v85, vcc, v86, v85, vcc
	global_load_dwordx2 v[84:85], v[84:85], off
.LBB118_48:                             ;   in Loop: Header=BB118_33 Depth=1
	;; [unrolled: 56-line block ×5, first 2 shown]
	s_waitcnt vmcnt(0)
	v_cvt_f16_f32_e32 v84, v84
	v_cvt_f16_f32_e32 v85, v85
	s_andn2_b64 vcc, exec, s[48:49]
	v_mov_b32_e32 v86, 0
	v_mov_b32_e32 v87, 0
	v_pack_b32_f16 v84, v84, v85
	ds_write_b32 v93, v84 offset:2704
	v_mov_b32_e32 v84, 0
	s_cbranch_vccnz .LBB118_69
; %bb.67:                               ;   in Loop: Header=BB118_33 Depth=1
	ds_read_b32 v85, v92 offset:44
	v_mov_b32_e32 v87, 0
	v_mov_b32_e32 v86, 0
	s_waitcnt lgkmcnt(0)
	v_cmp_gt_i32_e32 vcc, 0, v85
	s_cbranch_vccnz .LBB118_69
; %bb.68:                               ;   in Loop: Header=BB118_33 Depth=1
	v_mul_lo_u32 v85, v85, s25
	v_readlane_b32 vcc_lo, v103, 22
	v_add_u32_e32 v85, vcc_lo, v85
	v_add_u32_e32 v86, v85, v95
	v_ashrrev_i32_e32 v87, 31, v86
	v_lshlrev_b64 v[86:87], 2, v[86:87]
	v_mov_b32_e32 v85, s33
	v_add_co_u32_e32 v86, vcc, s27, v86
	v_addc_co_u32_e32 v87, vcc, v85, v87, vcc
	global_load_dwordx2 v[86:87], v[86:87], off
.LBB118_69:                             ;   in Loop: Header=BB118_33 Depth=1
	s_waitcnt vmcnt(0)
	v_cvt_f16_f32_e32 v85, v86
	v_cvt_f16_f32_e32 v86, v87
	s_andn2_b64 vcc, exec, s[50:51]
	v_pack_b32_f16 v85, v85, v86
	ds_write_b32 v93, v85 offset:2968
	v_mov_b32_e32 v85, 0
	s_cbranch_vccnz .LBB118_32
; %bb.70:                               ;   in Loop: Header=BB118_33 Depth=1
	ds_read_b32 v86, v92 offset:48
	v_mov_b32_e32 v85, 0
	v_mov_b32_e32 v84, 0
	s_waitcnt lgkmcnt(0)
	v_cmp_gt_i32_e32 vcc, 0, v86
	s_cbranch_vccnz .LBB118_32
; %bb.71:                               ;   in Loop: Header=BB118_33 Depth=1
	v_mul_lo_u32 v84, v86, s25
	v_readlane_b32 vcc_lo, v103, 21
	v_add_u32_e32 v84, vcc_lo, v84
	v_add_u32_e32 v84, v84, v95
	v_ashrrev_i32_e32 v85, 31, v84
	v_lshlrev_b64 v[84:85], 2, v[84:85]
	v_mov_b32_e32 v86, s33
	v_add_co_u32_e32 v84, vcc, s27, v84
	v_addc_co_u32_e32 v85, vcc, v86, v85, vcc
	global_load_dwordx2 v[84:85], v[84:85], off
	s_branch .LBB118_32
.LBB118_72:
	s_or_b64 exec, exec, s[18:19]
	v_readlane_b32 s40, v103, 6
	v_readlane_b32 s44, v103, 10
	;; [unrolled: 1-line block ×9, first 2 shown]
.LBB118_73:
	v_readlane_b32 s0, v103, 4
	v_readlane_b32 s1, v103, 5
	s_or_b64 exec, exec, s[0:1]
	v_mul_u32_u24_e32 v18, 0x708, v90
	s_movk_i32 s1, 0x100
	v_lshlrev_b32_e32 v19, 2, v89
	v_add3_u32 v18, s1, v18, v19
	v_and_b32_e32 v20, 0x3f0, v16
	v_add_u32_e32 v21, v18, v20
	s_barrier
	v_add_u32_e32 v19, 64, v18
	ds_write2_b32 v21, v8, v9 offset0:16 offset1:17
	v_or_b32_e32 v9, 12, v16
	v_add_u32_e32 v8, v19, v20
	v_and_b32_e32 v9, 0x3fc, v9
	ds_write_b32 v8, v10 offset:8
	v_add_u32_e32 v10, v18, v9
	ds_write_b32 v10, v11 offset:64
	ds_write2_b32 v8, v4, v5 offset0:16 offset1:17
	ds_write_b32 v8, v6 offset:72
	v_add_u32_e32 v4, v19, v9
	v_mov_b32_e32 v6, 0x100
	s_movk_i32 s0, 0x708
	ds_write_b32 v4, v7 offset:64
	ds_write2_b32 v8, v0, v1 offset0:32 offset1:33
	ds_write_b32 v8, v2 offset:136
	ds_write_b32 v4, v3 offset:128
	ds_write2_b32 v8, v12, v13 offset0:48 offset1:49
	ds_write_b32 v8, v14 offset:200
	ds_write_b32 v4, v15 offset:192
	v_lshl_add_u32 v7, v16, 2, v6
	v_mad_u32_u24 v8, v17, s0, v7
	v_add_u32_e32 v2, 64, v8
	s_waitcnt lgkmcnt(0)
	s_barrier
	ds_read2_b32 v[4:5], v8 offset0:16 offset1:80
	ds_read2_b32 v[0:1], v8 offset0:144 offset1:208
	ds_read2st64_b32 v[2:3], v2 offset0:4 offset1:5
	ds_read_b32 v8, v8 offset:1600
	v_cmp_gt_u32_e32 vcc, 13, v17
	v_mov_b32_e32 v9, -1
	s_and_saveexec_b64 s[4:5], vcc
	s_cbranch_execz .LBB118_75
; %bb.74:
	v_lshl_add_u32 v6, v17, 2, v6
	ds_read_b32 v9, v6
.LBB118_75:
	s_or_b64 exec, exec, s[4:5]
	s_mul_hi_i32 s1, s46, s8
	s_mul_i32 s0, s46, s8
	s_lshl_b64 s[0:1], s[0:1], 2
	v_readlane_b32 s4, v103, 2
	s_mul_hi_i32 s3, s50, s21
	s_mul_i32 s2, s50, s21
	v_readlane_b32 s5, v103, 3
	s_add_u32 s4, s4, s0
	s_addc_u32 s5, s5, s1
	s_lshl_b64 s[0:1], s[2:3], 2
	s_add_u32 s2, s4, s0
	s_waitcnt lgkmcnt(0)
	v_cmp_lt_i32_e32 vcc, -1, v9
	v_add_u32_e32 v6, s6, v16
	s_addc_u32 s3, s5, s1
	s_and_b64 s[4:5], vcc, s[40:41]
	s_and_saveexec_b64 s[0:1], s[4:5]
	s_cbranch_execz .LBB118_77
; %bb.76:
	v_add_f32_e32 v4, 0, v4
	v_add_f32_e32 v4, v4, v5
	;; [unrolled: 1-line block ×7, first 2 shown]
	v_mul_lo_u32 v0, v9, s26
	v_mul_lo_u32 v1, v17, s21
	v_add3_u32 v0, v6, v1, v0
	v_mov_b32_e32 v1, 0
	v_lshlrev_b64 v[0:1], 2, v[0:1]
	v_mov_b32_e32 v3, s3
	v_add_co_u32_e32 v0, vcc, s2, v0
	v_addc_co_u32_e32 v1, vcc, v3, v1, vcc
	global_store_dword v[0:1], v2, off
.LBB118_77:
	s_or_b64 exec, exec, s[0:1]
	v_cmp_gt_u32_e32 vcc, 6, v17
	s_and_saveexec_b64 s[0:1], vcc
	s_cbranch_execz .LBB118_80
; %bb.78:
	v_mov_b32_e32 v0, 0x100
	v_lshl_add_u32 v0, v17, 2, v0
	ds_read_b32 v0, v0 offset:28
	v_readlane_b32 s0, v103, 0
	v_readlane_b32 s1, v103, 1
	s_waitcnt lgkmcnt(0)
	v_cmp_lt_i32_e32 vcc, -1, v0
	s_and_b64 s[0:1], vcc, s[0:1]
	s_and_b64 exec, exec, s[0:1]
	s_cbranch_execz .LBB118_80
; %bb.79:
	v_mul_u32_u24_e32 v1, 0x708, v17
	v_add_u32_e32 v4, v1, v7
	v_add_u32_e32 v5, 0x78, v4
	ds_read2st64_b32 v[2:3], v5 offset0:49 offset1:50
	v_mul_lo_u32 v7, v0, s26
	ds_read2st64_b32 v[0:1], v5 offset0:51 offset1:52
	ds_read_b32 v8, v4 offset:14200
	ds_read2st64_b32 v[4:5], v5 offset0:53 offset1:54
	s_waitcnt lgkmcnt(3)
	v_add_f32_e32 v2, 0, v2
	v_add_f32_e32 v2, v2, v3
	s_waitcnt lgkmcnt(2)
	v_add_f32_e32 v0, v2, v0
	v_add_f32_e32 v0, v0, v1
	;; [unrolled: 3-line block ×3, first 2 shown]
	v_add_f32_e32 v2, v0, v8
	v_mul_lo_u32 v0, v88, s21
	v_add3_u32 v0, v6, v0, v7
	v_mov_b32_e32 v1, 0
	v_lshlrev_b64 v[0:1], 2, v[0:1]
	v_mov_b32_e32 v3, s3
	v_add_co_u32_e32 v0, vcc, s2, v0
	v_addc_co_u32_e32 v1, vcc, v3, v1, vcc
	global_store_dword v[0:1], v2, off
.LBB118_80:
	s_endpgm
	.section	.rodata,"a",@progbits
	.p2align	6, 0x0
	.amdhsa_kernel _ZL9mul_mat_fI7__half2Li64ELi13ELi7ELb1EEvPKT_PKfPKiPfiiiiiiiiiiiiiiii
		.amdhsa_group_segment_fixed_size 256
		.amdhsa_private_segment_fixed_size 0
		.amdhsa_kernarg_size 352
		.amdhsa_user_sgpr_count 6
		.amdhsa_user_sgpr_private_segment_buffer 1
		.amdhsa_user_sgpr_dispatch_ptr 0
		.amdhsa_user_sgpr_queue_ptr 0
		.amdhsa_user_sgpr_kernarg_segment_ptr 1
		.amdhsa_user_sgpr_dispatch_id 0
		.amdhsa_user_sgpr_flat_scratch_init 0
		.amdhsa_user_sgpr_kernarg_preload_length 0
		.amdhsa_user_sgpr_kernarg_preload_offset 0
		.amdhsa_user_sgpr_private_segment_size 0
		.amdhsa_uses_dynamic_stack 0
		.amdhsa_system_sgpr_private_segment_wavefront_offset 0
		.amdhsa_system_sgpr_workgroup_id_x 1
		.amdhsa_system_sgpr_workgroup_id_y 1
		.amdhsa_system_sgpr_workgroup_id_z 1
		.amdhsa_system_sgpr_workgroup_info 0
		.amdhsa_system_vgpr_workitem_id 2
		.amdhsa_next_free_vgpr 104
		.amdhsa_next_free_sgpr 96
		.amdhsa_accum_offset 104
		.amdhsa_reserve_vcc 1
		.amdhsa_reserve_flat_scratch 0
		.amdhsa_float_round_mode_32 0
		.amdhsa_float_round_mode_16_64 0
		.amdhsa_float_denorm_mode_32 3
		.amdhsa_float_denorm_mode_16_64 3
		.amdhsa_dx10_clamp 1
		.amdhsa_ieee_mode 1
		.amdhsa_fp16_overflow 0
		.amdhsa_tg_split 0
		.amdhsa_exception_fp_ieee_invalid_op 0
		.amdhsa_exception_fp_denorm_src 0
		.amdhsa_exception_fp_ieee_div_zero 0
		.amdhsa_exception_fp_ieee_overflow 0
		.amdhsa_exception_fp_ieee_underflow 0
		.amdhsa_exception_fp_ieee_inexact 0
		.amdhsa_exception_int_div_zero 0
	.end_amdhsa_kernel
	.section	.text._ZL9mul_mat_fI7__half2Li64ELi13ELi7ELb1EEvPKT_PKfPKiPfiiiiiiiiiiiiiiii,"axG",@progbits,_ZL9mul_mat_fI7__half2Li64ELi13ELi7ELb1EEvPKT_PKfPKiPfiiiiiiiiiiiiiiii,comdat
.Lfunc_end118:
	.size	_ZL9mul_mat_fI7__half2Li64ELi13ELi7ELb1EEvPKT_PKfPKiPfiiiiiiiiiiiiiiii, .Lfunc_end118-_ZL9mul_mat_fI7__half2Li64ELi13ELi7ELb1EEvPKT_PKfPKiPfiiiiiiiiiiiiiiii
                                        ; -- End function
	.section	.AMDGPU.csdata,"",@progbits
; Kernel info:
; codeLenInByte = 8352
; NumSgprs: 100
; NumVgprs: 104
; NumAgprs: 0
; TotalNumVgprs: 104
; ScratchSize: 0
; MemoryBound: 0
; FloatMode: 240
; IeeeMode: 1
; LDSByteSize: 256 bytes/workgroup (compile time only)
; SGPRBlocks: 12
; VGPRBlocks: 12
; NumSGPRsForWavesPerEU: 100
; NumVGPRsForWavesPerEU: 104
; AccumOffset: 104
; Occupancy: 4
; WaveLimiterHint : 0
; COMPUTE_PGM_RSRC2:SCRATCH_EN: 0
; COMPUTE_PGM_RSRC2:USER_SGPR: 6
; COMPUTE_PGM_RSRC2:TRAP_HANDLER: 0
; COMPUTE_PGM_RSRC2:TGID_X_EN: 1
; COMPUTE_PGM_RSRC2:TGID_Y_EN: 1
; COMPUTE_PGM_RSRC2:TGID_Z_EN: 1
; COMPUTE_PGM_RSRC2:TIDIG_COMP_CNT: 2
; COMPUTE_PGM_RSRC3_GFX90A:ACCUM_OFFSET: 25
; COMPUTE_PGM_RSRC3_GFX90A:TG_SPLIT: 0
	.section	.text._ZL9mul_mat_fI7__half2Li64ELi13ELi7ELb0EEvPKT_PKfPKiPfiiiiiiiiiiiiiiii,"axG",@progbits,_ZL9mul_mat_fI7__half2Li64ELi13ELi7ELb0EEvPKT_PKfPKiPfiiiiiiiiiiiiiiii,comdat
	.globl	_ZL9mul_mat_fI7__half2Li64ELi13ELi7ELb0EEvPKT_PKfPKiPfiiiiiiiiiiiiiiii ; -- Begin function _ZL9mul_mat_fI7__half2Li64ELi13ELi7ELb0EEvPKT_PKfPKiPfiiiiiiiiiiiiiiii
	.p2align	8
	.type	_ZL9mul_mat_fI7__half2Li64ELi13ELi7ELb0EEvPKT_PKfPKiPfiiiiiiiiiiiiiiii,@function
_ZL9mul_mat_fI7__half2Li64ELi13ELi7ELb0EEvPKT_PKfPKiPfiiiiiiiiiiiiiiii: ; @_ZL9mul_mat_fI7__half2Li64ELi13ELi7ELb0EEvPKT_PKfPKiPfiiiiiiiiiiiiiiii
; %bb.0:
	s_load_dwordx8 s[12:19], s[4:5], 0x40
	s_load_dword s9, s[4:5], 0x20
	s_load_dwordx4 s[0:3], s[4:5], 0x2c
	v_bfe_u32 v86, v0, 10, 10
	v_lshlrev_b32_e32 v88, 6, v86
	v_and_b32_e32 v87, 0x3ff, v0
	s_waitcnt lgkmcnt(0)
	s_abs_i32 s27, s12
	s_abs_i32 s26, s16
	v_cvt_f32_u32_e32 v1, s27
	v_cvt_f32_u32_e32 v2, s26
	v_add_u32_e32 v90, v88, v87
	s_mov_b32 s22, 0
	v_rcp_iflag_f32_e32 v1, v1
	v_rcp_iflag_f32_e32 v2, v2
	s_ashr_i32 s28, s8, 31
	v_cmp_le_i32_e32 vcc, s9, v90
	v_mul_f32_e32 v1, 0x4f7ffffe, v1
	v_mul_f32_e32 v2, 0x4f7ffffe, v2
	v_cvt_u32_f32_e32 v1, v1
	v_cvt_u32_f32_e32 v2, v2
	v_and_b32_e32 v89, 15, v87
	v_readfirstlane_b32 s21, v1
	v_readfirstlane_b32 s20, v2
	s_and_saveexec_b64 s[10:11], vcc
	s_xor_b64 s[10:11], exec, s[10:11]
; %bb.1:
	v_and_b32_e32 v89, 15, v87
                                        ; implicit-def: $vgpr90
; %bb.2:
	s_or_saveexec_b64 s[24:25], s[10:11]
	s_load_dwordx2 s[10:11], s[4:5], 0x18
	s_lshl_b32 s3, s6, 6
	v_mov_b32_e32 v15, s22
	v_mov_b32_e32 v14, s22
	;; [unrolled: 1-line block ×16, first 2 shown]
	s_xor_b64 exec, exec, s[24:25]
	s_cbranch_execz .LBB119_6
; %bb.3:
	s_sub_i32 s6, 0, s27
	s_sub_i32 s22, 0, s26
	s_mul_i32 s6, s6, s21
	s_mul_i32 s22, s22, s20
	s_mul_hi_u32 s6, s21, s6
	s_mul_hi_u32 s22, s20, s22
	s_abs_i32 s29, s7
	s_add_i32 s6, s21, s6
	s_add_i32 s31, s20, s22
	s_load_dwordx4 s[20:23], s[4:5], 0x0
	s_mul_hi_u32 s4, s29, s6
	s_ashr_i32 s6, s7, 31
	s_ashr_i32 s12, s12, 31
	s_xor_b32 s6, s6, s12
	s_mul_i32 s12, s4, s27
	s_abs_i32 s30, s8
	s_sub_i32 s12, s29, s12
	s_mul_hi_u32 s5, s30, s31
	s_ashr_i32 s16, s16, 31
	s_add_i32 s29, s4, 1
	s_sub_i32 s31, s12, s27
	s_cmp_ge_u32 s12, s27
	s_cselect_b32 s4, s29, s4
	s_cselect_b32 s12, s31, s12
	s_add_i32 s29, s4, 1
	s_cmp_ge_u32 s12, s27
	s_cselect_b32 s4, s29, s4
	s_mul_i32 s12, s5, s26
	s_xor_b32 s4, s4, s6
	s_sub_i32 s12, s30, s12
	s_sub_i32 s6, s4, s6
	s_xor_b32 s4, s28, s16
	s_add_i32 s16, s5, 1
	s_sub_i32 s27, s12, s26
	s_cmp_ge_u32 s12, s26
	s_cselect_b32 s5, s16, s5
	s_cselect_b32 s12, s27, s12
	s_add_i32 s16, s5, 1
	s_cmp_ge_u32 s12, s26
	s_cselect_b32 s5, s16, s5
	s_xor_b32 s5, s5, s4
	s_sub_i32 s4, s5, s4
	s_mul_hi_i32 s5, s4, s17
	s_mul_i32 s4, s4, s17
	s_mul_i32 s12, s6, s13
	s_ashr_i32 s13, s12, 31
	s_lshl_b64 s[26:27], s[4:5], 2
	s_mul_i32 s16, s3, s0
	s_waitcnt lgkmcnt(0)
	s_add_u32 s6, s20, s26
	s_addc_u32 s29, s21, s27
	s_ashr_i32 s17, s16, 31
	s_lshl_b64 s[16:17], s[16:17], 2
	s_lshl_b64 s[12:13], s[12:13], 2
	s_mul_hi_i32 s5, s18, s8
	s_mul_i32 s4, s18, s8
	s_add_u32 s18, s12, s16
	s_addc_u32 s30, s13, s17
	s_mul_i32 s28, s7, s14
	s_add_u32 s6, s18, s6
	s_addc_u32 s88, s30, s29
	s_ashr_i32 s29, s28, 31
	s_lshl_b64 s[16:17], s[4:5], 2
	s_lshl_b64 s[4:5], s[28:29], 2
	s_add_u32 s22, s22, s4
	s_addc_u32 s23, s23, s5
	s_add_u32 s14, s22, s16
	s_movk_i32 s4, 0x1080
	s_addc_u32 s89, s23, s17
	v_mad_u32_u24 v0, v86, s4, 0
	s_ashr_i32 s5, s0, 31
	s_mov_b32 s4, s0
	v_lshrrev_b32_e32 v3, 1, v87
	s_ashr_i32 s13, s1, 31
	s_lshl_b64 s[4:5], s[4:5], 2
	v_lshlrev_b32_e32 v1, 2, v87
	v_mul_u32_u24_e32 v2, 0x108, v89
	v_and_b32_e32 v3, 0x1f8, v3
	s_add_u32 s18, s18, s26
	v_add_u32_e32 v91, v0, v1
	v_add3_u32 v92, v0, v2, v3
	v_lshlrev_b32_e32 v0, 8, v86
	s_addc_u32 s26, s30, s27
	v_mov_b32_e32 v2, s26
	v_add_co_u32_e32 v0, vcc, s18, v0
	v_addc_co_u32_e32 v2, vcc, 0, v2, vcc
	v_add_co_u32_e32 v0, vcc, v0, v1
	v_addc_co_u32_e32 v1, vcc, 0, v2, vcc
	v_mov_b32_e32 v2, s21
	v_add_co_u32_e32 v16, vcc, s20, v0
	v_addc_co_u32_e32 v17, vcc, v2, v1, vcc
	v_lshlrev_b32_e32 v0, 9, v86
	v_mov_b32_e32 v1, s17
	v_add_co_u32_e32 v0, vcc, s16, v0
	v_addc_co_u32_e32 v1, vcc, 0, v1, vcc
	v_lshlrev_b32_e32 v2, 3, v87
	v_add_co_u32_e32 v0, vcc, v0, v2
	s_mov_b32 s12, s1
	v_addc_co_u32_e32 v1, vcc, 0, v1, vcc
	s_lshl_b64 s[12:13], s[12:13], 3
	v_mov_b32_e32 v2, s23
	v_add_co_u32_e32 v18, vcc, s22, v0
	v_mov_b32_e32 v95, 0
	v_addc_co_u32_e32 v19, vcc, v2, v1, vcc
	s_mul_i32 s16, s0, 63
	s_lshl_b32 s17, s1, 1
	s_mul_i32 s18, s1, 3
	s_lshl_b32 s20, s1, 2
	s_mul_i32 s21, s1, 5
	s_mul_i32 s22, s1, 6
	;; [unrolled: 1-line block ×3, first 2 shown]
	s_lshl_b32 s26, s1, 3
	s_mul_i32 s27, s1, 9
	s_mul_i32 s28, s1, 10
	;; [unrolled: 1-line block ×4, first 2 shown]
	s_lshl_b32 s31, s0, 1
	s_mul_i32 s33, s0, 3
	s_lshl_b32 s34, s0, 2
	s_mul_i32 s35, s0, 5
	s_mul_i32 s36, s0, 6
	s_mul_i32 s37, s0, 7
	s_lshl_b32 s38, s0, 3
	s_mul_i32 s39, s0, 9
	s_mul_i32 s40, s0, 10
	;; [unrolled: 1-line block ×7, first 2 shown]
	s_lshl_b32 s46, s0, 4
	s_mul_i32 s47, s0, 17
	s_mul_i32 s48, s0, 18
	;; [unrolled: 1-line block ×15, first 2 shown]
	s_lshl_b32 s62, s0, 5
	s_mul_i32 s63, s0, 33
	s_mul_i32 s64, s0, 34
	;; [unrolled: 1-line block ×25, first 2 shown]
	v_mov_b32_e32 v93, s88
	s_mul_i32 s88, s0, 58
	v_mov_b32_e32 v94, s89
	s_mul_i32 s89, s0, 59
	v_mov_b32_e32 v96, s5
	v_mov_b32_e32 v97, s13
	;; [unrolled: 1-line block ×18, first 2 shown]
	s_mul_i32 s5, s0, 60
	s_mul_i32 s13, s0, 61
	;; [unrolled: 1-line block ×3, first 2 shown]
	s_mov_b64 s[0:1], 0
.LBB119_4:                              ; =>This Inner Loop Header: Depth=1
	global_load_dword v20, v[16:17], off
	v_add_u32_e32 v36, s46, v90
	v_ashrrev_i32_e32 v37, 31, v36
	v_lshlrev_b64 v[36:37], 2, v[36:37]
	v_add_u32_e32 v52, s62, v90
	v_ashrrev_i32_e32 v53, 31, v52
	v_lshlrev_b64 v[52:53], 2, v[52:53]
	;; [unrolled: 3-line block ×3, first 2 shown]
	s_waitcnt vmcnt(0)
	ds_write_b32 v91, v20
	v_add_co_u32_e32 v20, vcc, s4, v16
	v_addc_co_u32_e32 v21, vcc, v17, v96, vcc
	global_load_dword v20, v[20:21], off
	s_waitcnt vmcnt(0)
	ds_write_b32 v91, v20 offset:264
	v_add_u32_e32 v20, s31, v90
	v_ashrrev_i32_e32 v21, 31, v20
	v_lshlrev_b64 v[20:21], 2, v[20:21]
	v_add_co_u32_e32 v20, vcc, s6, v20
	v_addc_co_u32_e32 v21, vcc, v93, v21, vcc
	global_load_dword v20, v[20:21], off
	s_waitcnt vmcnt(0)
	ds_write_b32 v91, v20 offset:528
	v_add_u32_e32 v20, s33, v90
	v_ashrrev_i32_e32 v21, 31, v20
	v_lshlrev_b64 v[20:21], 2, v[20:21]
	;; [unrolled: 8-line block ×14, first 2 shown]
	v_add_co_u32_e32 v20, vcc, s6, v20
	v_addc_co_u32_e32 v21, vcc, v93, v21, vcc
	global_load_dword v20, v[20:21], off
	v_add_co_u32_e32 v36, vcc, s6, v36
	v_addc_co_u32_e32 v37, vcc, v93, v37, vcc
	s_waitcnt vmcnt(0)
	ds_write_b32 v91, v20 offset:3960
	ds_read_b64 v[34:35], v92
	ds_read_b64 v[32:33], v92 offset:32
	ds_read_b64 v[30:31], v92 offset:64
	;; [unrolled: 1-line block ×7, first 2 shown]
	global_load_dword v36, v[36:37], off
	s_waitcnt vmcnt(0)
	ds_write_b32 v91, v36
	v_add_u32_e32 v36, s47, v90
	v_ashrrev_i32_e32 v37, 31, v36
	v_lshlrev_b64 v[36:37], 2, v[36:37]
	v_add_co_u32_e32 v36, vcc, s6, v36
	v_addc_co_u32_e32 v37, vcc, v93, v37, vcc
	global_load_dword v36, v[36:37], off
	s_waitcnt vmcnt(0)
	ds_write_b32 v91, v36 offset:264
	v_add_u32_e32 v36, s48, v90
	v_ashrrev_i32_e32 v37, 31, v36
	v_lshlrev_b64 v[36:37], 2, v[36:37]
	v_add_co_u32_e32 v36, vcc, s6, v36
	v_addc_co_u32_e32 v37, vcc, v93, v37, vcc
	global_load_dword v36, v[36:37], off
	s_waitcnt vmcnt(0)
	ds_write_b32 v91, v36 offset:528
	;; [unrolled: 8-line block ×14, first 2 shown]
	v_add_u32_e32 v36, s61, v90
	v_ashrrev_i32_e32 v37, 31, v36
	v_lshlrev_b64 v[36:37], 2, v[36:37]
	v_add_co_u32_e32 v36, vcc, s6, v36
	v_addc_co_u32_e32 v37, vcc, v93, v37, vcc
	global_load_dword v36, v[36:37], off
	v_add_co_u32_e32 v52, vcc, s6, v52
	v_addc_co_u32_e32 v53, vcc, v93, v53, vcc
	s_waitcnt vmcnt(0)
	ds_write_b32 v91, v36 offset:3960
	ds_read_b64 v[50:51], v92
	ds_read_b64 v[48:49], v92 offset:32
	ds_read_b64 v[46:47], v92 offset:64
	;; [unrolled: 1-line block ×7, first 2 shown]
	global_load_dword v52, v[52:53], off
	s_waitcnt vmcnt(0)
	ds_write_b32 v91, v52
	v_add_u32_e32 v52, s63, v90
	v_ashrrev_i32_e32 v53, 31, v52
	v_lshlrev_b64 v[52:53], 2, v[52:53]
	v_add_co_u32_e32 v52, vcc, s6, v52
	v_addc_co_u32_e32 v53, vcc, v93, v53, vcc
	global_load_dword v52, v[52:53], off
	s_waitcnt vmcnt(0)
	ds_write_b32 v91, v52 offset:264
	v_add_u32_e32 v52, s64, v90
	v_ashrrev_i32_e32 v53, 31, v52
	v_lshlrev_b64 v[52:53], 2, v[52:53]
	v_add_co_u32_e32 v52, vcc, s6, v52
	v_addc_co_u32_e32 v53, vcc, v93, v53, vcc
	global_load_dword v52, v[52:53], off
	s_waitcnt vmcnt(0)
	ds_write_b32 v91, v52 offset:528
	;; [unrolled: 8-line block ×14, first 2 shown]
	v_add_u32_e32 v52, s77, v90
	v_ashrrev_i32_e32 v53, 31, v52
	v_lshlrev_b64 v[52:53], 2, v[52:53]
	v_add_co_u32_e32 v52, vcc, s6, v52
	v_addc_co_u32_e32 v53, vcc, v93, v53, vcc
	global_load_dword v52, v[52:53], off
	v_add_co_u32_e32 v68, vcc, s6, v68
	v_addc_co_u32_e32 v69, vcc, v93, v69, vcc
	s_waitcnt vmcnt(0)
	ds_write_b32 v91, v52 offset:3960
	ds_read_b64 v[66:67], v92
	ds_read_b64 v[64:65], v92 offset:32
	ds_read_b64 v[62:63], v92 offset:64
	;; [unrolled: 1-line block ×7, first 2 shown]
	global_load_dword v68, v[68:69], off
	s_waitcnt vmcnt(0)
	ds_write_b32 v91, v68
	v_add_u32_e32 v68, s79, v90
	v_ashrrev_i32_e32 v69, 31, v68
	v_lshlrev_b64 v[68:69], 2, v[68:69]
	v_add_co_u32_e32 v68, vcc, s6, v68
	v_addc_co_u32_e32 v69, vcc, v93, v69, vcc
	global_load_dword v68, v[68:69], off
	s_waitcnt vmcnt(0)
	ds_write_b32 v91, v68 offset:264
	v_add_u32_e32 v68, s80, v90
	v_ashrrev_i32_e32 v69, 31, v68
	v_lshlrev_b64 v[68:69], 2, v[68:69]
	v_add_co_u32_e32 v68, vcc, s6, v68
	v_addc_co_u32_e32 v69, vcc, v93, v69, vcc
	global_load_dword v68, v[68:69], off
	s_waitcnt vmcnt(0)
	ds_write_b32 v91, v68 offset:528
	;; [unrolled: 8-line block ×15, first 2 shown]
	ds_read_b64 v[82:83], v92
	ds_read_b64 v[80:81], v92 offset:32
	ds_read_b64 v[78:79], v92 offset:64
	;; [unrolled: 1-line block ×7, first 2 shown]
	global_load_dwordx2 v[84:85], v[18:19], off
	s_waitcnt vmcnt(0)
	v_cvt_f16_f32_e32 v84, v84
	v_cvt_f16_f32_e32 v85, v85
	v_pack_b32_f16 v84, v84, v85
	ds_write_b32 v91, v84
	v_add_co_u32_e32 v84, vcc, s12, v18
	v_addc_co_u32_e32 v85, vcc, v19, v97, vcc
	global_load_dwordx2 v[84:85], v[84:85], off
	s_waitcnt vmcnt(0)
	v_cvt_f16_f32_e32 v84, v84
	v_cvt_f16_f32_e32 v85, v85
	v_pack_b32_f16 v84, v84, v85
	ds_write_b32 v91, v84 offset:264
	v_add_u32_e32 v84, s17, v90
	v_ashrrev_i32_e32 v85, 31, v84
	v_lshlrev_b64 v[84:85], 3, v[84:85]
	v_add_co_u32_e32 v84, vcc, s14, v84
	v_addc_co_u32_e32 v85, vcc, v94, v85, vcc
	global_load_dwordx2 v[84:85], v[84:85], off
	s_waitcnt vmcnt(0)
	v_cvt_f16_f32_e32 v84, v84
	v_cvt_f16_f32_e32 v85, v85
	v_pack_b32_f16 v84, v84, v85
	ds_write_b32 v91, v84 offset:528
	v_add_u32_e32 v84, s18, v90
	v_ashrrev_i32_e32 v85, 31, v84
	v_lshlrev_b64 v[84:85], 3, v[84:85]
	;; [unrolled: 11-line block ×11, first 2 shown]
	v_add_co_u32_e32 v84, vcc, s14, v84
	v_addc_co_u32_e32 v85, vcc, v94, v85, vcc
	global_load_dwordx2 v[84:85], v[84:85], off
	v_add_co_u32_e32 v16, vcc, 0x700, v16
	v_addc_co_u32_e32 v17, vcc, 0, v17, vcc
	v_add_co_u32_e32 v18, vcc, 0xe00, v18
	v_add_u32_e32 v90, 0x1c0, v90
	v_addc_co_u32_e32 v19, vcc, 0, v19, vcc
	v_cmp_le_i32_e32 vcc, s9, v90
	s_or_b64 s[0:1], vcc, s[0:1]
	s_waitcnt vmcnt(0)
	v_cvt_f16_f32_e32 v84, v84
	v_cvt_f16_f32_e32 v85, v85
	v_pack_b32_f16 v84, v84, v85
	ds_write_b32 v91, v84 offset:3168
	ds_write_b32 v91, v95 offset:3432
	;; [unrolled: 1-line block ×4, first 2 shown]
	ds_read_b64 v[84:85], v92
	ds_read_b64 v[98:99], v92 offset:32
	s_waitcnt lgkmcnt(1)
	v_mfma_f32_16x16x16f16 v[12:15], v[34:35], v[84:85], v[12:15]
	v_mfma_f32_16x16x16f16 v[8:11], v[50:51], v[84:85], v[8:11]
	;; [unrolled: 1-line block ×4, first 2 shown]
	s_waitcnt lgkmcnt(0)
	v_mfma_f32_16x16x16f16 v[12:15], v[32:33], v[98:99], v[12:15]
	ds_read_b64 v[32:33], v92 offset:64
	v_mfma_f32_16x16x16f16 v[8:11], v[48:49], v[98:99], v[8:11]
	v_mfma_f32_16x16x16f16 v[4:7], v[64:65], v[98:99], v[4:7]
	v_mfma_f32_16x16x16f16 v[0:3], v[80:81], v[98:99], v[0:3]
	s_waitcnt lgkmcnt(0)
	v_mfma_f32_16x16x16f16 v[12:15], v[30:31], v[32:33], v[12:15]
	ds_read_b64 v[30:31], v92 offset:96
	v_mfma_f32_16x16x16f16 v[8:11], v[46:47], v[32:33], v[8:11]
	v_mfma_f32_16x16x16f16 v[4:7], v[62:63], v[32:33], v[4:7]
	v_mfma_f32_16x16x16f16 v[0:3], v[78:79], v[32:33], v[0:3]
	;; [unrolled: 6-line block ×6, first 2 shown]
	s_waitcnt lgkmcnt(0)
	v_mfma_f32_16x16x16f16 v[12:15], v[20:21], v[22:23], v[12:15]
	v_mfma_f32_16x16x16f16 v[8:11], v[36:37], v[22:23], v[8:11]
	;; [unrolled: 1-line block ×4, first 2 shown]
	s_andn2_b64 exec, exec, s[0:1]
	s_cbranch_execnz .LBB119_4
; %bb.5:
	s_or_b64 exec, exec, s[0:1]
.LBB119_6:
	s_or_b64 exec, exec, s[24:25]
	v_mul_u32_u24_e32 v16, 0x708, v89
	v_lshlrev_b32_e32 v17, 2, v88
	v_add3_u32 v16, 0, v16, v17
	v_and_b32_e32 v17, 0x3f0, v87
	s_mul_hi_i32 s1, s19, s8
	s_mul_i32 s0, s19, s8
	v_add_u32_e32 v17, v16, v17
	s_lshl_b64 s[0:1], s[0:1], 2
	s_waitcnt lgkmcnt(0)
	s_barrier
	ds_write2_b32 v17, v12, v13 offset1:1
	ds_write_b32 v17, v14 offset:8
	v_or_b32_e32 v12, 12, v87
	s_mul_i32 s4, s7, s15
	s_add_u32 s6, s10, s0
	v_and_b32_e32 v12, 0x3fc, v12
	s_addc_u32 s7, s11, s1
	s_ashr_i32 s5, s4, 31
	v_add_u32_e32 v12, v16, v12
	s_lshl_b64 s[0:1], s[4:5], 2
	s_movk_i32 s4, 0x708
	ds_write_b32 v12, v15
	ds_write2_b32 v17, v8, v9 offset0:16 offset1:17
	ds_write_b32 v17, v10 offset:72
	ds_write_b32 v12, v11 offset:64
	ds_write2_b32 v17, v4, v5 offset0:32 offset1:33
	ds_write_b32 v17, v6 offset:136
	ds_write_b32 v12, v7 offset:128
	;; [unrolled: 3-line block ×3, first 2 shown]
	v_lshl_add_u32 v2, v87, 2, 0
	v_mad_u32_u24 v3, v86, s4, v2
	s_waitcnt lgkmcnt(0)
	s_barrier
	ds_read2st64_b32 v[0:1], v3 offset1:1
	ds_read2st64_b32 v[4:5], v3 offset0:2 offset1:3
	ds_read2st64_b32 v[6:7], v3 offset0:4 offset1:5
	ds_read_b32 v3, v3 offset:1536
	s_add_u32 s0, s6, s0
	s_addc_u32 s1, s7, s1
	s_waitcnt lgkmcnt(3)
	v_add_f32_e32 v0, 0, v0
	v_add_f32_e32 v0, v0, v1
	s_waitcnt lgkmcnt(2)
	v_add_f32_e32 v0, v0, v4
	v_add_f32_e32 v0, v0, v5
	;; [unrolled: 3-line block ×3, first 2 shown]
	s_waitcnt lgkmcnt(0)
	v_add_f32_e32 v3, v0, v3
	v_mul_lo_u32 v0, v86, s2
	v_add3_u32 v0, s3, v87, v0
	v_mov_b32_e32 v1, 0
	v_lshlrev_b64 v[4:5], 2, v[0:1]
	v_mov_b32_e32 v6, s1
	v_add_co_u32_e32 v4, vcc, s0, v4
	v_addc_co_u32_e32 v5, vcc, v6, v5, vcc
	v_cmp_gt_u32_e32 vcc, 6, v86
	global_store_dword v[4:5], v3, off
	s_and_saveexec_b64 s[4:5], vcc
	s_cbranch_execz .LBB119_8
; %bb.7:
	v_mul_u32_u24_e32 v3, 0x708, v86
	v_add_u32_e32 v6, v3, v2
	v_add_u32_e32 v7, 56, v6
	ds_read2st64_b32 v[2:3], v7 offset0:49 offset1:50
	ds_read2st64_b32 v[4:5], v7 offset0:51 offset1:52
	ds_read_b32 v8, v6 offset:14136
	ds_read2st64_b32 v[6:7], v7 offset0:53 offset1:54
	s_waitcnt lgkmcnt(3)
	v_add_f32_e32 v2, 0, v2
	v_add_f32_e32 v2, v2, v3
	s_waitcnt lgkmcnt(2)
	v_add_f32_e32 v2, v2, v4
	v_add_f32_e32 v2, v2, v5
	;; [unrolled: 3-line block ×3, first 2 shown]
	v_add_f32_e32 v4, v2, v8
	v_mad_u64_u32 v[2:3], s[2:3], s2, 7, v[0:1]
	v_mov_b32_e32 v3, v1
	v_lshlrev_b64 v[0:1], 2, v[2:3]
	v_mov_b32_e32 v2, s1
	v_add_co_u32_e32 v0, vcc, s0, v0
	v_addc_co_u32_e32 v1, vcc, v2, v1, vcc
	global_store_dword v[0:1], v4, off
.LBB119_8:
	s_endpgm
	.section	.rodata,"a",@progbits
	.p2align	6, 0x0
	.amdhsa_kernel _ZL9mul_mat_fI7__half2Li64ELi13ELi7ELb0EEvPKT_PKfPKiPfiiiiiiiiiiiiiiii
		.amdhsa_group_segment_fixed_size 0
		.amdhsa_private_segment_fixed_size 0
		.amdhsa_kernarg_size 96
		.amdhsa_user_sgpr_count 6
		.amdhsa_user_sgpr_private_segment_buffer 1
		.amdhsa_user_sgpr_dispatch_ptr 0
		.amdhsa_user_sgpr_queue_ptr 0
		.amdhsa_user_sgpr_kernarg_segment_ptr 1
		.amdhsa_user_sgpr_dispatch_id 0
		.amdhsa_user_sgpr_flat_scratch_init 0
		.amdhsa_user_sgpr_kernarg_preload_length 0
		.amdhsa_user_sgpr_kernarg_preload_offset 0
		.amdhsa_user_sgpr_private_segment_size 0
		.amdhsa_uses_dynamic_stack 0
		.amdhsa_system_sgpr_private_segment_wavefront_offset 0
		.amdhsa_system_sgpr_workgroup_id_x 1
		.amdhsa_system_sgpr_workgroup_id_y 1
		.amdhsa_system_sgpr_workgroup_id_z 1
		.amdhsa_system_sgpr_workgroup_info 0
		.amdhsa_system_vgpr_workitem_id 1
		.amdhsa_next_free_vgpr 100
		.amdhsa_next_free_sgpr 91
		.amdhsa_accum_offset 100
		.amdhsa_reserve_vcc 1
		.amdhsa_reserve_flat_scratch 0
		.amdhsa_float_round_mode_32 0
		.amdhsa_float_round_mode_16_64 0
		.amdhsa_float_denorm_mode_32 3
		.amdhsa_float_denorm_mode_16_64 3
		.amdhsa_dx10_clamp 1
		.amdhsa_ieee_mode 1
		.amdhsa_fp16_overflow 0
		.amdhsa_tg_split 0
		.amdhsa_exception_fp_ieee_invalid_op 0
		.amdhsa_exception_fp_denorm_src 0
		.amdhsa_exception_fp_ieee_div_zero 0
		.amdhsa_exception_fp_ieee_overflow 0
		.amdhsa_exception_fp_ieee_underflow 0
		.amdhsa_exception_fp_ieee_inexact 0
		.amdhsa_exception_int_div_zero 0
	.end_amdhsa_kernel
	.section	.text._ZL9mul_mat_fI7__half2Li64ELi13ELi7ELb0EEvPKT_PKfPKiPfiiiiiiiiiiiiiiii,"axG",@progbits,_ZL9mul_mat_fI7__half2Li64ELi13ELi7ELb0EEvPKT_PKfPKiPfiiiiiiiiiiiiiiii,comdat
.Lfunc_end119:
	.size	_ZL9mul_mat_fI7__half2Li64ELi13ELi7ELb0EEvPKT_PKfPKiPfiiiiiiiiiiiiiiii, .Lfunc_end119-_ZL9mul_mat_fI7__half2Li64ELi13ELi7ELb0EEvPKT_PKfPKiPfiiiiiiiiiiiiiiii
                                        ; -- End function
	.section	.AMDGPU.csdata,"",@progbits
; Kernel info:
; codeLenInByte = 5728
; NumSgprs: 95
; NumVgprs: 100
; NumAgprs: 0
; TotalNumVgprs: 100
; ScratchSize: 0
; MemoryBound: 0
; FloatMode: 240
; IeeeMode: 1
; LDSByteSize: 0 bytes/workgroup (compile time only)
; SGPRBlocks: 11
; VGPRBlocks: 12
; NumSGPRsForWavesPerEU: 95
; NumVGPRsForWavesPerEU: 100
; AccumOffset: 100
; Occupancy: 4
; WaveLimiterHint : 0
; COMPUTE_PGM_RSRC2:SCRATCH_EN: 0
; COMPUTE_PGM_RSRC2:USER_SGPR: 6
; COMPUTE_PGM_RSRC2:TRAP_HANDLER: 0
; COMPUTE_PGM_RSRC2:TGID_X_EN: 1
; COMPUTE_PGM_RSRC2:TGID_Y_EN: 1
; COMPUTE_PGM_RSRC2:TGID_Z_EN: 1
; COMPUTE_PGM_RSRC2:TIDIG_COMP_CNT: 1
; COMPUTE_PGM_RSRC3_GFX90A:ACCUM_OFFSET: 24
; COMPUTE_PGM_RSRC3_GFX90A:TG_SPLIT: 0
	.section	.text._ZL13mul_mat_f_idsI7__half2Li64ELi13ELi8EEvPKT_PKfPKiS7_S7_Pfiiiiiiiiiiiiii15HIP_vector_typeIjLj3EESA_,"axG",@progbits,_ZL13mul_mat_f_idsI7__half2Li64ELi13ELi8EEvPKT_PKfPKiS7_S7_Pfiiiiiiiiiiiiii15HIP_vector_typeIjLj3EESA_,comdat
	.globl	_ZL13mul_mat_f_idsI7__half2Li64ELi13ELi8EEvPKT_PKfPKiS7_S7_Pfiiiiiiiiiiiiii15HIP_vector_typeIjLj3EESA_ ; -- Begin function _ZL13mul_mat_f_idsI7__half2Li64ELi13ELi8EEvPKT_PKfPKiS7_S7_Pfiiiiiiiiiiiiii15HIP_vector_typeIjLj3EESA_
	.p2align	8
	.type	_ZL13mul_mat_f_idsI7__half2Li64ELi13ELi8EEvPKT_PKfPKiS7_S7_Pfiiiiiiiiiiiiii15HIP_vector_typeIjLj3EESA_,@function
_ZL13mul_mat_f_idsI7__half2Li64ELi13ELi8EEvPKT_PKfPKiS7_S7_Pfiiiiiiiiiiiiii15HIP_vector_typeIjLj3EESA_: ; @_ZL13mul_mat_f_idsI7__half2Li64ELi13ELi8EEvPKT_PKfPKiS7_S7_Pfiiiiiiiiiiiiii15HIP_vector_typeIjLj3EESA_
; %bb.0:
	s_load_dwordx2 s[0:1], s[4:5], 0x20
	s_mov_b32 s34, s7
	s_ashr_i32 s35, s7, 31
	s_lshl_b64 s[2:3], s[34:35], 2
	s_waitcnt lgkmcnt(0)
	s_add_u32 s0, s0, s2
	s_addc_u32 s1, s1, s3
	s_load_dwordx2 s[26:27], s[0:1], 0x0
	s_waitcnt lgkmcnt(0)
	s_sub_i32 s33, s27, s26
	s_add_i32 s0, s33, 12
	s_mul_hi_i32 s0, s0, 0x4ec4ec4f
	s_lshr_b32 s1, s0, 31
	s_ashr_i32 s0, s0, 2
	s_add_i32 s0, s0, s1
	s_cmp_ge_i32 s8, s0
	s_cbranch_scc1 .LBB120_53
; %bb.1:
	v_bfe_u32 v108, v0, 10, 10
	v_lshlrev_b32_e32 v110, 6, v108
	v_and_b32_e32 v109, 0x3ff, v0
	s_load_dwordx4 s[12:15], s[4:5], 0x30
	s_load_dwordx2 s[20:21], s[4:5], 0x40
	s_load_dwordx4 s[0:3], s[4:5], 0x4c
	s_load_dwordx4 s[16:19], s[4:5], 0x68
	s_load_dwordx2 s[24:25], s[4:5], 0x78
	v_add_u32_e32 v112, v110, v109
	s_ashr_i32 s27, s26, 31
	s_waitcnt lgkmcnt(0)
	v_cmp_le_i32_e32 vcc, s12, v112
	v_and_b32_e32 v111, 15, v109
                                        ; implicit-def: $sgpr3
	s_and_saveexec_b64 s[10:11], vcc
	s_xor_b64 s[10:11], exec, s[10:11]
; %bb.2:
	v_and_b32_e32 v111, 15, v109
	s_mov_b32 s3, 0
                                        ; implicit-def: $vgpr112
; %bb.3:
	s_or_saveexec_b64 s[22:23], s[10:11]
	s_load_dwordx2 s[10:11], s[4:5], 0x18
                                        ; implicit-def: $vgpr119 : SGPR spill to VGPR lane
	s_lshl_b32 s28, s6, 6
	s_mul_i32 s6, s8, 13
	v_mov_b32_e32 v15, s3
	v_mov_b32_e32 v14, s3
	s_waitcnt lgkmcnt(0)
	v_writelane_b32 v119, s10, 0
	v_writelane_b32 v119, s11, 1
	s_load_dwordx2 s[10:11], s[4:5], 0x28
	v_mov_b32_e32 v13, s3
	v_mov_b32_e32 v12, s3
	v_mov_b32_e32 v3, s3
	v_mov_b32_e32 v2, s3
	s_waitcnt lgkmcnt(0)
	v_writelane_b32 v119, s10, 2
	v_writelane_b32 v119, s11, 3
	v_mov_b32_e32 v1, s3
	v_mov_b32_e32 v0, s3
	;; [unrolled: 1-line block ×10, first 2 shown]
	v_writelane_b32 v119, s22, 4
	v_writelane_b32 v119, s23, 5
	s_xor_b64 exec, exec, s[22:23]
	s_cbranch_execz .LBB120_46
; %bb.4:
	v_writelane_b32 v119, s24, 6
	v_writelane_b32 v119, s25, 7
	s_load_dwordx4 s[8:11], s[4:5], 0x0
	s_load_dwordx2 s[22:23], s[4:5], 0x10
	s_mul_i32 s4, s34, s0
	s_mul_i32 s24, s28, s15
	s_ashr_i32 s5, s4, 31
	s_ashr_i32 s25, s24, 31
	s_lshl_b64 s[24:25], s[24:25], 2
	s_lshl_b64 s[4:5], s[4:5], 2
	s_add_u32 s3, s4, s24
	s_addc_u32 s24, s5, s25
	v_writelane_b32 v119, s28, 8
	s_waitcnt lgkmcnt(0)
	s_add_u32 s0, s3, s8
	s_addc_u32 s25, s24, s9
	v_writelane_b32 v119, s26, 9
	s_lshl_b64 s[4:5], s[26:27], 2
	v_writelane_b32 v119, s27, 10
	s_add_u32 s26, s22, s4
	s_addc_u32 s27, s23, s5
	s_movk_i32 s4, 0x1080
	s_cmp_lt_i32 s6, s33
	v_mad_u32_u24 v0, v108, s4, 0
	s_cselect_b64 s[4:5], -1, 0
	s_ashr_i32 s7, s6, 31
	s_lshl_b64 s[22:23], s[6:7], 2
	s_add_u32 s34, s26, s22
	s_addc_u32 s35, s27, s23
	s_add_i32 s7, s6, 1
	s_cmp_lt_i32 s7, s33
	s_cselect_b64 s[36:37], -1, 0
	s_add_i32 s7, s6, 2
	s_cmp_lt_i32 s7, s33
	s_cselect_b64 s[38:39], -1, 0
	;; [unrolled: 3-line block ×3, first 2 shown]
	s_add_i32 s7, s6, 4
	s_cmp_lt_i32 s7, s33
	v_lshrrev_b32_e32 v3, 1, v109
	s_cselect_b64 s[42:43], -1, 0
	s_add_i32 s7, s6, 5
	v_lshlrev_b32_e32 v1, 2, v109
	v_mul_u32_u24_e32 v2, 0x108, v111
	v_and_b32_e32 v3, 0x1f8, v3
	s_cmp_lt_i32 s7, s33
	v_add_u32_e32 v113, v0, v1
	v_add3_u32 v114, v0, v2, v3
	s_cselect_b64 s[44:45], -1, 0
	s_add_i32 s7, s6, 6
	v_lshlrev_b32_e32 v0, 8, v108
	s_cmp_lt_i32 s7, s33
	v_add_co_u32_e32 v0, vcc, s3, v0
	s_mul_i32 s3, s15, 3
	s_cselect_b64 s[46:47], -1, 0
	s_add_i32 s7, s6, 7
	v_writelane_b32 v119, s3, 11
	s_mul_i32 s3, s15, 5
	s_cmp_lt_i32 s7, s33
	v_writelane_b32 v119, s3, 12
	s_mul_i32 s3, s15, 6
	s_cselect_b64 s[48:49], -1, 0
	s_add_i32 s7, s6, 8
	v_writelane_b32 v119, s3, 13
	s_mul_i32 s3, s15, 7
	s_cmp_lt_i32 s7, s33
	v_writelane_b32 v119, s3, 14
	;; [unrolled: 7-line block ×4, first 2 shown]
	s_mul_i32 s3, s15, 13
	s_cselect_b64 s[54:55], -1, 0
	s_add_i32 s7, s6, 11
	v_writelane_b32 v119, s3, 19
	s_mul_i32 s3, s15, 14
	s_cmp_lt_i32 s7, s33
	v_mov_b32_e32 v2, s24
	v_writelane_b32 v119, s3, 20
	s_mul_i32 s3, s15, 15
	s_cselect_b64 s[56:57], -1, 0
	s_add_i32 s7, s6, 12
	v_addc_co_u32_e32 v2, vcc, 0, v2, vcc
	v_writelane_b32 v119, s3, 21
	s_mul_i32 s3, s15, 17
	s_cmp_lt_i32 s7, s33
	v_add_co_u32_e32 v0, vcc, v0, v1
	v_writelane_b32 v119, s3, 22
	s_mul_i32 s3, s15, 18
	s_cselect_b64 s[58:59], -1, 0
	s_ashr_i32 s23, s15, 31
	s_mov_b32 s22, s15
	v_addc_co_u32_e32 v1, vcc, 0, v2, vcc
	v_writelane_b32 v119, s3, 23
	s_mul_i32 s3, s15, 19
	s_lshl_b64 s[60:61], s[22:23], 2
	v_mov_b32_e32 v2, s9
	v_add_co_u32_e32 v16, vcc, s8, v0
	v_writelane_b32 v119, s3, 24
	s_mul_i32 s3, s15, 20
	v_mov_b32_e32 v116, 0
	v_addc_co_u32_e32 v17, vcc, v2, v1, vcc
	s_lshl_b32 s7, s15, 1
	s_lshl_b32 s63, s15, 2
	s_lshl_b32 s67, s15, 3
	s_lshl_b32 s75, s15, 4
	v_writelane_b32 v119, s3, 25
	s_mul_i32 s80, s15, 21
	s_mul_i32 s81, s15, 22
	;; [unrolled: 1-line block ×9, first 2 shown]
	v_mov_b32_e32 v115, s25
	s_mul_i32 s89, s15, 30
	v_mov_b32_e32 v117, s61
	v_mov_b32_e32 v8, 0
	;; [unrolled: 1-line block ×17, first 2 shown]
	s_mul_i32 s61, s15, 31
	s_lshl_b32 s90, s15, 5
	s_mul_i32 s91, s15, 33
	s_mul_i32 s92, s15, 34
	;; [unrolled: 1-line block ×31, first 2 shown]
	s_mov_b64 s[8:9], 0
	s_branch .LBB120_6
.LBB120_5:                              ;   in Loop: Header=BB120_6 Depth=1
	s_waitcnt vmcnt(0)
	v_cvt_f16_f32_e32 v82, v82
	v_cvt_f16_f32_e32 v83, v83
	;; [unrolled: 1-line block ×4, first 2 shown]
	v_add_co_u32_e32 v16, vcc, 0x800, v16
	v_pack_b32_f16 v82, v82, v83
	v_cvt_f16_f32_e32 v83, v84
	v_cvt_f16_f32_e32 v84, v85
	;; [unrolled: 1-line block ×4, first 2 shown]
	v_pack_b32_f16 v86, v86, v87
	ds_write2_b32 v113, v82, v86 offset1:66
	v_pack_b32_f16 v82, v83, v84
	v_pack_b32_f16 v83, v85, v90
	v_cvt_f16_f32_e32 v84, v88
	v_cvt_f16_f32_e32 v85, v89
	ds_write2_b32 v113, v82, v83 offset0:132 offset1:198
	v_cvt_f16_f32_e32 v82, v94
	v_cvt_f16_f32_e32 v83, v95
	v_pack_b32_f16 v84, v84, v85
	v_cvt_f16_f32_e32 v85, v92
	v_cvt_f16_f32_e32 v86, v93
	v_pack_b32_f16 v82, v82, v83
	v_add_u32_e32 v83, 0x400, v113
	ds_write2_b32 v83, v84, v82 offset0:8 offset1:74
	v_pack_b32_f16 v82, v85, v86
	v_cvt_f16_f32_e32 v84, v98
	v_cvt_f16_f32_e32 v85, v99
	;; [unrolled: 1-line block ×6, first 2 shown]
	v_pack_b32_f16 v84, v84, v85
	ds_write2_b32 v83, v82, v84 offset0:140 offset1:206
	v_pack_b32_f16 v82, v86, v87
	v_pack_b32_f16 v83, v88, v89
	v_add_u32_e32 v84, 0x800, v113
	ds_write2_b32 v84, v82, v83 offset0:16 offset1:82
	v_cvt_f16_f32_e32 v82, v100
	v_cvt_f16_f32_e32 v83, v101
	;; [unrolled: 1-line block ×6, first 2 shown]
	v_pack_b32_f16 v82, v82, v83
	v_pack_b32_f16 v83, v85, v86
	ds_write2_b32 v84, v82, v83 offset0:148 offset1:214
	v_pack_b32_f16 v82, v87, v88
	v_add_u32_e32 v83, 0xc00, v113
	ds_write2_b32 v83, v82, v116 offset0:24 offset1:90
	ds_write2_b32 v83, v116, v116 offset0:156 offset1:222
	ds_read2_b64 v[82:85], v114 offset1:4
	s_waitcnt lgkmcnt(0)
	v_mfma_f32_16x16x16f16 v[8:11], v[34:35], v[82:83], v[8:11]
	v_add_u32_e32 v112, 0x200, v112
	v_addc_co_u32_e32 v17, vcc, 0, v17, vcc
	v_cmp_le_i32_e32 vcc, s12, v112
	s_or_b64 s[8:9], vcc, s[8:9]
	v_mfma_f32_16x16x16f16 v[4:7], v[50:51], v[82:83], v[4:7]
	v_mfma_f32_16x16x16f16 v[0:3], v[64:65], v[82:83], v[0:3]
	;; [unrolled: 1-line block ×6, first 2 shown]
	ds_read2_b64 v[62:65], v114 offset0:8 offset1:12
	v_mfma_f32_16x16x16f16 v[12:15], v[78:79], v[84:85], v[12:15]
	s_waitcnt lgkmcnt(0)
	v_mfma_f32_16x16x16f16 v[8:11], v[28:29], v[62:63], v[8:11]
	v_mfma_f32_16x16x16f16 v[4:7], v[44:45], v[62:63], v[4:7]
	;; [unrolled: 1-line block ×5, first 2 shown]
	ds_read2_b64 v[26:29], v114 offset0:16 offset1:20
	v_mfma_f32_16x16x16f16 v[4:7], v[42:43], v[64:65], v[4:7]
	v_mfma_f32_16x16x16f16 v[0:3], v[58:59], v[64:65], v[0:3]
	;; [unrolled: 1-line block ×3, first 2 shown]
	s_waitcnt lgkmcnt(0)
	v_mfma_f32_16x16x16f16 v[8:11], v[24:25], v[26:27], v[8:11]
	v_mfma_f32_16x16x16f16 v[4:7], v[40:41], v[26:27], v[4:7]
	;; [unrolled: 1-line block ×5, first 2 shown]
	ds_read2_b64 v[22:25], v114 offset0:24 offset1:28
	v_mfma_f32_16x16x16f16 v[4:7], v[38:39], v[28:29], v[4:7]
	v_mfma_f32_16x16x16f16 v[0:3], v[54:55], v[28:29], v[0:3]
	;; [unrolled: 1-line block ×3, first 2 shown]
	s_waitcnt lgkmcnt(0)
	v_mfma_f32_16x16x16f16 v[8:11], v[20:21], v[22:23], v[8:11]
	v_mfma_f32_16x16x16f16 v[4:7], v[36:37], v[22:23], v[4:7]
	;; [unrolled: 1-line block ×8, first 2 shown]
	s_andn2_b64 exec, exec, s[8:9]
	s_cbranch_execz .LBB120_45
.LBB120_6:                              ; =>This Inner Loop Header: Depth=1
	v_add_co_u32_e32 v18, vcc, s60, v16
	v_addc_co_u32_e32 v19, vcc, v17, v117, vcc
	global_load_dword v30, v[16:17], off
	global_load_dword v31, v[18:19], off
	v_add_u32_e32 v18, s7, v112
	v_ashrrev_i32_e32 v19, 31, v18
	v_readlane_b32 s79, v119, 11
	v_lshlrev_b64 v[18:19], 2, v[18:19]
	v_add_u32_e32 v20, s79, v112
	v_add_co_u32_e32 v18, vcc, s0, v18
	v_ashrrev_i32_e32 v21, 31, v20
	v_addc_co_u32_e32 v19, vcc, v115, v19, vcc
	v_lshlrev_b64 v[20:21], 2, v[20:21]
	v_add_u32_e32 v22, s63, v112
	v_add_co_u32_e32 v20, vcc, s0, v20
	v_ashrrev_i32_e32 v23, 31, v22
	v_readlane_b32 s79, v119, 12
	v_addc_co_u32_e32 v21, vcc, v115, v21, vcc
	v_lshlrev_b64 v[22:23], 2, v[22:23]
	v_add_u32_e32 v24, s79, v112
	v_add_co_u32_e32 v22, vcc, s0, v22
	v_ashrrev_i32_e32 v25, 31, v24
	v_readlane_b32 s79, v119, 13
	;; [unrolled: 6-line block ×3, first 2 shown]
	v_addc_co_u32_e32 v25, vcc, v115, v25, vcc
	v_lshlrev_b64 v[26:27], 2, v[26:27]
	v_add_u32_e32 v28, s79, v112
	v_add_co_u32_e32 v26, vcc, s0, v26
	v_ashrrev_i32_e32 v29, 31, v28
	v_addc_co_u32_e32 v27, vcc, v115, v27, vcc
	v_lshlrev_b64 v[28:29], 2, v[28:29]
	v_add_co_u32_e32 v28, vcc, s0, v28
	v_addc_co_u32_e32 v29, vcc, v115, v29, vcc
	global_load_dword v32, v[18:19], off
	global_load_dword v33, v[20:21], off
	;; [unrolled: 1-line block ×3, first 2 shown]
	s_nop 0
	global_load_dword v24, v[24:25], off
	s_nop 0
	global_load_dword v25, v[26:27], off
	;; [unrolled: 2-line block ×3, first 2 shown]
	v_add_u32_e32 v18, s67, v112
	v_readlane_b32 s79, v119, 15
	v_ashrrev_i32_e32 v19, 31, v18
	v_add_u32_e32 v20, s79, v112
	v_lshlrev_b64 v[18:19], 2, v[18:19]
	v_readlane_b32 s79, v119, 16
	v_ashrrev_i32_e32 v21, 31, v20
	v_add_co_u32_e32 v18, vcc, s0, v18
	v_add_u32_e32 v22, s79, v112
	v_lshlrev_b64 v[20:21], 2, v[20:21]
	v_addc_co_u32_e32 v19, vcc, v115, v19, vcc
	v_ashrrev_i32_e32 v23, 31, v22
	v_add_co_u32_e32 v20, vcc, s0, v20
	v_readlane_b32 s79, v119, 17
	v_lshlrev_b64 v[22:23], 2, v[22:23]
	v_addc_co_u32_e32 v21, vcc, v115, v21, vcc
	global_load_dword v18, v[18:19], off
	s_nop 0
	global_load_dword v19, v[20:21], off
	v_add_u32_e32 v20, s79, v112
	v_add_co_u32_e32 v22, vcc, s0, v22
	v_ashrrev_i32_e32 v21, 31, v20
	v_addc_co_u32_e32 v23, vcc, v115, v23, vcc
	v_lshlrev_b64 v[20:21], 2, v[20:21]
	v_readlane_b32 s79, v119, 18
	v_add_u32_e32 v58, s23, v112
	v_ashrrev_i32_e32 v59, 31, v58
	v_lshlrev_b64 v[58:59], 2, v[58:59]
	s_waitcnt vmcnt(9)
	ds_write_b32 v113, v30
	s_waitcnt vmcnt(8)
	ds_write_b32 v113, v31 offset:264
	s_waitcnt vmcnt(7)
	ds_write_b32 v113, v32 offset:528
	;; [unrolled: 2-line block ×7, first 2 shown]
	v_add_co_u32_e32 v24, vcc, s0, v20
	v_add_u32_e32 v20, s79, v112
	v_addc_co_u32_e32 v25, vcc, v115, v21, vcc
	v_ashrrev_i32_e32 v21, 31, v20
	v_lshlrev_b64 v[20:21], 2, v[20:21]
	v_readlane_b32 s79, v119, 19
	v_add_co_u32_e32 v26, vcc, s0, v20
	v_add_u32_e32 v20, s79, v112
	v_addc_co_u32_e32 v27, vcc, v115, v21, vcc
	v_ashrrev_i32_e32 v21, 31, v20
	v_lshlrev_b64 v[20:21], 2, v[20:21]
	v_readlane_b32 s79, v119, 20
	;; [unrolled: 6-line block ×3, first 2 shown]
	v_add_co_u32_e32 v30, vcc, s0, v20
	v_add_u32_e32 v20, s79, v112
	v_addc_co_u32_e32 v31, vcc, v115, v21, vcc
	v_ashrrev_i32_e32 v21, 31, v20
	v_lshlrev_b64 v[20:21], 2, v[20:21]
	v_add_co_u32_e32 v32, vcc, s0, v20
	v_add_u32_e32 v20, s75, v112
	v_addc_co_u32_e32 v33, vcc, v115, v21, vcc
	v_ashrrev_i32_e32 v21, 31, v20
	v_lshlrev_b64 v[20:21], 2, v[20:21]
	v_readlane_b32 s79, v119, 22
	v_add_co_u32_e32 v34, vcc, s0, v20
	v_add_u32_e32 v20, s79, v112
	v_addc_co_u32_e32 v35, vcc, v115, v21, vcc
	v_ashrrev_i32_e32 v21, 31, v20
	v_lshlrev_b64 v[20:21], 2, v[20:21]
	v_add_co_u32_e32 v36, vcc, s0, v20
	v_readlane_b32 s79, v119, 23
	v_addc_co_u32_e32 v37, vcc, v115, v21, vcc
	global_load_dword v20, v[22:23], off
	global_load_dword v21, v[24:25], off
	s_nop 0
	global_load_dword v22, v[26:27], off
	global_load_dword v23, v[28:29], off
	;; [unrolled: 1-line block ×4, first 2 shown]
	s_nop 0
	global_load_dword v32, v[34:35], off
	global_load_dword v33, v[36:37], off
	v_add_u32_e32 v26, s79, v112
	v_ashrrev_i32_e32 v27, 31, v26
	v_readlane_b32 s79, v119, 24
	v_lshlrev_b64 v[26:27], 2, v[26:27]
	v_add_u32_e32 v28, s79, v112
	v_add_co_u32_e32 v26, vcc, s0, v26
	v_ashrrev_i32_e32 v29, 31, v28
	v_readlane_b32 s79, v119, 25
	v_addc_co_u32_e32 v27, vcc, v115, v27, vcc
	v_lshlrev_b64 v[28:29], 2, v[28:29]
	v_add_u32_e32 v30, s79, v112
	v_add_co_u32_e32 v28, vcc, s0, v28
	v_ashrrev_i32_e32 v31, 31, v30
	v_addc_co_u32_e32 v29, vcc, v115, v29, vcc
	v_lshlrev_b64 v[30:31], 2, v[30:31]
	v_add_u32_e32 v34, s80, v112
	v_add_co_u32_e32 v30, vcc, s0, v30
	v_ashrrev_i32_e32 v35, 31, v34
	;; [unrolled: 5-line block ×3, first 2 shown]
	v_addc_co_u32_e32 v35, vcc, v115, v35, vcc
	v_lshlrev_b64 v[36:37], 2, v[36:37]
	v_add_co_u32_e32 v40, vcc, s0, v36
	v_add_u32_e32 v36, s82, v112
	v_addc_co_u32_e32 v41, vcc, v115, v37, vcc
	v_ashrrev_i32_e32 v37, 31, v36
	v_lshlrev_b64 v[36:37], 2, v[36:37]
	v_add_co_u32_e32 v42, vcc, s0, v36
	v_add_u32_e32 v36, s83, v112
	v_addc_co_u32_e32 v43, vcc, v115, v37, vcc
	v_ashrrev_i32_e32 v37, 31, v36
	;; [unrolled: 5-line block ×3, first 2 shown]
	v_lshlrev_b64 v[36:37], 2, v[36:37]
	v_add_co_u32_e32 v46, vcc, s0, v36
	v_addc_co_u32_e32 v47, vcc, v115, v37, vcc
	global_load_dword v36, v[26:27], off
	global_load_dword v37, v[28:29], off
	global_load_dword v38, v[30:31], off
	global_load_dword v39, v[34:35], off
	s_nop 0
	global_load_dword v40, v[40:41], off
	s_nop 0
	global_load_dword v41, v[42:43], off
	;; [unrolled: 2-line block ×3, first 2 shown]
	global_load_dword v43, v[46:47], off
	v_add_u32_e32 v26, s85, v112
	v_ashrrev_i32_e32 v27, 31, v26
	v_lshlrev_b64 v[26:27], 2, v[26:27]
	v_add_u32_e32 v28, s86, v112
	v_add_co_u32_e32 v26, vcc, s0, v26
	v_ashrrev_i32_e32 v29, 31, v28
	v_addc_co_u32_e32 v27, vcc, v115, v27, vcc
	v_lshlrev_b64 v[28:29], 2, v[28:29]
	v_add_u32_e32 v30, s87, v112
	v_add_co_u32_e32 v28, vcc, s0, v28
	v_ashrrev_i32_e32 v31, 31, v30
	v_addc_co_u32_e32 v29, vcc, v115, v29, vcc
	;; [unrolled: 5-line block ×4, first 2 shown]
	v_lshlrev_b64 v[44:45], 2, v[44:45]
	v_add_co_u32_e32 v48, vcc, s0, v44
	v_add_u32_e32 v44, s61, v112
	v_addc_co_u32_e32 v49, vcc, v115, v45, vcc
	v_ashrrev_i32_e32 v45, 31, v44
	v_lshlrev_b64 v[44:45], 2, v[44:45]
	v_add_co_u32_e32 v52, vcc, s0, v44
	v_add_u32_e32 v44, s90, v112
	v_addc_co_u32_e32 v53, vcc, v115, v45, vcc
	v_ashrrev_i32_e32 v45, 31, v44
	;; [unrolled: 5-line block ×3, first 2 shown]
	v_lshlrev_b64 v[44:45], 2, v[44:45]
	v_add_co_u32_e32 v56, vcc, s0, v44
	v_addc_co_u32_e32 v57, vcc, v115, v45, vcc
	global_load_dword v44, v[26:27], off
	global_load_dword v45, v[28:29], off
	;; [unrolled: 1-line block ×6, first 2 shown]
	s_nop 0
	global_load_dword v48, v[54:55], off
	global_load_dword v49, v[56:57], off
	v_add_u32_e32 v26, s92, v112
	v_ashrrev_i32_e32 v27, 31, v26
	v_lshlrev_b64 v[26:27], 2, v[26:27]
	v_add_u32_e32 v28, s93, v112
	v_add_co_u32_e32 v26, vcc, s0, v26
	v_ashrrev_i32_e32 v29, 31, v28
	v_addc_co_u32_e32 v27, vcc, v115, v27, vcc
	v_lshlrev_b64 v[28:29], 2, v[28:29]
	v_add_u32_e32 v30, s94, v112
	v_add_co_u32_e32 v28, vcc, s0, v28
	v_ashrrev_i32_e32 v31, 31, v30
	v_addc_co_u32_e32 v29, vcc, v115, v29, vcc
	;; [unrolled: 5-line block ×6, first 2 shown]
	v_lshlrev_b64 v[56:57], 2, v[56:57]
	v_add_co_u32_e32 v56, vcc, s0, v56
	v_addc_co_u32_e32 v57, vcc, v115, v57, vcc
	v_add_co_u32_e32 v58, vcc, s0, v58
	v_addc_co_u32_e32 v59, vcc, v115, v59, vcc
	global_load_dword v60, v[26:27], off
	global_load_dword v61, v[28:29], off
	global_load_dword v62, v[30:31], off
	global_load_dword v63, v[34:35], off
	global_load_dword v64, v[52:53], off
	global_load_dword v65, v[54:55], off
	global_load_dword v66, v[56:57], off
	global_load_dword v67, v[58:59], off
	v_add_u32_e32 v26, s28, v112
	v_ashrrev_i32_e32 v27, 31, v26
	v_lshlrev_b64 v[26:27], 2, v[26:27]
	v_add_u32_e32 v28, s29, v112
	v_add_co_u32_e32 v26, vcc, s0, v26
	v_ashrrev_i32_e32 v29, 31, v28
	v_addc_co_u32_e32 v27, vcc, v115, v27, vcc
	v_lshlrev_b64 v[28:29], 2, v[28:29]
	v_add_u32_e32 v30, s3, v112
	v_add_co_u32_e32 v28, vcc, s0, v28
	v_ashrrev_i32_e32 v31, 31, v30
	v_addc_co_u32_e32 v29, vcc, v115, v29, vcc
	;; [unrolled: 5-line block ×7, first 2 shown]
	v_lshlrev_b64 v[58:59], 2, v[58:59]
	v_add_co_u32_e32 v58, vcc, s0, v58
	v_addc_co_u32_e32 v59, vcc, v115, v59, vcc
	global_load_dword v68, v[26:27], off
	global_load_dword v69, v[28:29], off
	;; [unrolled: 1-line block ×8, first 2 shown]
	v_add_u32_e32 v26, s64, v112
	v_ashrrev_i32_e32 v27, 31, v26
	v_lshlrev_b64 v[26:27], 2, v[26:27]
	v_add_u32_e32 v28, s65, v112
	v_add_co_u32_e32 v26, vcc, s0, v26
	v_ashrrev_i32_e32 v29, 31, v28
	v_addc_co_u32_e32 v27, vcc, v115, v27, vcc
	v_lshlrev_b64 v[28:29], 2, v[28:29]
	v_add_u32_e32 v30, s66, v112
	v_add_co_u32_e32 v28, vcc, s0, v28
	v_ashrrev_i32_e32 v31, 31, v30
	v_addc_co_u32_e32 v29, vcc, v115, v29, vcc
	;; [unrolled: 5-line block ×7, first 2 shown]
	v_lshlrev_b64 v[58:59], 2, v[58:59]
	v_add_co_u32_e32 v58, vcc, s0, v58
	v_addc_co_u32_e32 v59, vcc, v115, v59, vcc
	global_load_dword v76, v[26:27], off
	global_load_dword v77, v[28:29], off
	;; [unrolled: 1-line block ×8, first 2 shown]
	v_add_u32_e32 v26, s73, v112
	v_ashrrev_i32_e32 v27, 31, v26
	v_lshlrev_b64 v[26:27], 2, v[26:27]
	v_add_u32_e32 v28, s74, v112
	v_add_co_u32_e32 v26, vcc, s0, v26
	v_ashrrev_i32_e32 v29, 31, v28
	v_addc_co_u32_e32 v27, vcc, v115, v27, vcc
	v_lshlrev_b64 v[28:29], 2, v[28:29]
	v_add_u32_e32 v30, s76, v112
	v_add_co_u32_e32 v28, vcc, s0, v28
	v_ashrrev_i32_e32 v31, 31, v30
	v_addc_co_u32_e32 v29, vcc, v115, v29, vcc
	;; [unrolled: 5-line block ×5, first 2 shown]
	v_lshlrev_b64 v[54:55], 2, v[54:55]
	v_add_co_u32_e32 v54, vcc, s0, v54
	v_addc_co_u32_e32 v55, vcc, v115, v55, vcc
	global_load_dword v84, v[26:27], off
	global_load_dword v85, v[28:29], off
	;; [unrolled: 1-line block ×6, first 2 shown]
	s_waitcnt vmcnt(55)
	ds_write_b32 v113, v18 offset:2112
	s_waitcnt vmcnt(54)
	ds_write_b32 v113, v19 offset:2376
	s_waitcnt vmcnt(53)
	ds_write_b32 v113, v20 offset:2640
	s_waitcnt vmcnt(52)
	ds_write_b32 v113, v21 offset:2904
	s_waitcnt vmcnt(51)
	ds_write_b32 v113, v22 offset:3168
	s_waitcnt vmcnt(50)
	ds_write_b32 v113, v23 offset:3432
	s_waitcnt vmcnt(49)
	ds_write_b32 v113, v24 offset:3696
	s_waitcnt vmcnt(48)
	ds_write_b32 v113, v25 offset:3960
	ds_read_b64 v[34:35], v114
	ds_read_b64 v[30:31], v114 offset:32
	ds_read_b64 v[28:29], v114 offset:64
	ds_read_b64 v[26:27], v114 offset:96
	ds_read_b64 v[24:25], v114 offset:128
	ds_read_b64 v[22:23], v114 offset:160
	ds_read_b64 v[20:21], v114 offset:192
	ds_read_b64 v[18:19], v114 offset:224
	s_waitcnt vmcnt(47)
	ds_write_b32 v113, v32
	s_waitcnt vmcnt(46)
	ds_write_b32 v113, v33 offset:264
	s_waitcnt vmcnt(45)
	ds_write_b32 v113, v36 offset:528
	s_waitcnt vmcnt(44)
	ds_write_b32 v113, v37 offset:792
	s_waitcnt vmcnt(43)
	ds_write_b32 v113, v38 offset:1056
	s_waitcnt vmcnt(42)
	ds_write_b32 v113, v39 offset:1320
	s_waitcnt vmcnt(41)
	ds_write_b32 v113, v40 offset:1584
	s_waitcnt vmcnt(40)
	ds_write_b32 v113, v41 offset:1848
	s_waitcnt vmcnt(39)
	ds_write_b32 v113, v42 offset:2112
	s_waitcnt vmcnt(38)
	ds_write_b32 v113, v43 offset:2376
	s_waitcnt vmcnt(37)
	ds_write_b32 v113, v44 offset:2640
	s_waitcnt vmcnt(36)
	ds_write_b32 v113, v45 offset:2904
	s_waitcnt vmcnt(35)
	ds_write_b32 v113, v46 offset:3168
	s_waitcnt vmcnt(34)
	ds_write_b32 v113, v47 offset:3432
	s_waitcnt vmcnt(33)
	ds_write_b32 v113, v50 offset:3696
	s_waitcnt vmcnt(32)
	ds_write_b32 v113, v51 offset:3960
	ds_read_b64 v[50:51], v114
	ds_read_b64 v[46:47], v114 offset:32
	ds_read_b64 v[44:45], v114 offset:64
	ds_read_b64 v[42:43], v114 offset:96
	ds_read_b64 v[40:41], v114 offset:128
	ds_read_b64 v[38:39], v114 offset:160
	ds_read_b64 v[36:37], v114 offset:192
	ds_read_b64 v[32:33], v114 offset:224
	s_waitcnt vmcnt(31)
	ds_write_b32 v113, v48
	s_waitcnt vmcnt(30)
	ds_write_b32 v113, v49 offset:264
	s_waitcnt vmcnt(29)
	ds_write_b32 v113, v60 offset:528
	s_waitcnt vmcnt(28)
	ds_write_b32 v113, v61 offset:792
	s_waitcnt vmcnt(27)
	ds_write_b32 v113, v62 offset:1056
	s_waitcnt vmcnt(26)
	ds_write_b32 v113, v63 offset:1320
	s_waitcnt vmcnt(25)
	ds_write_b32 v113, v64 offset:1584
	s_waitcnt vmcnt(24)
	ds_write_b32 v113, v65 offset:1848
	;; [unrolled: 40-line block ×3, first 2 shown]
	s_waitcnt vmcnt(7)
	ds_write_b32 v113, v82 offset:2112
	s_waitcnt vmcnt(6)
	ds_write_b32 v113, v83 offset:2376
	s_waitcnt vmcnt(5)
	ds_write_b32 v113, v84 offset:2640
	s_waitcnt vmcnt(4)
	ds_write_b32 v113, v85 offset:2904
	s_waitcnt vmcnt(3)
	ds_write_b32 v113, v86 offset:3168
	s_waitcnt vmcnt(2)
	ds_write_b32 v113, v87 offset:3432
	s_waitcnt vmcnt(1)
	ds_write_b32 v113, v88 offset:3696
	s_waitcnt vmcnt(0)
	ds_write_b32 v113, v89 offset:3960
	ds_read_b64 v[80:81], v114
	ds_read_b64 v[78:79], v114 offset:32
	ds_read_b64 v[76:77], v114 offset:64
	;; [unrolled: 1-line block ×7, first 2 shown]
	s_andn2_b64 vcc, exec, s[4:5]
	v_mov_b32_e32 v82, 0
	v_mov_b32_e32 v83, 0
	s_cbranch_vccnz .LBB120_9
; %bb.7:                                ;   in Loop: Header=BB120_6 Depth=1
	s_load_dword vcc_lo, s[34:35], 0x0
	v_mov_b32_e32 v83, 0
	v_mov_b32_e32 v82, 0
	s_waitcnt lgkmcnt(0)
	s_mul_hi_u32 vcc_hi, vcc_lo, s16
	s_add_i32 vcc_hi, vcc_lo, vcc_hi
	s_lshr_b32 s79, vcc_hi, s17
	s_cmp_ge_i32 s79, s13
	s_cbranch_scc1 .LBB120_9
; %bb.8:                                ;   in Loop: Header=BB120_6 Depth=1
	s_mul_i32 vcc_hi, s79, s18
	s_sub_i32 vcc_lo, vcc_lo, vcc_hi
	s_mul_i32 s79, s79, s20
	s_mul_i32 vcc_lo, vcc_lo, s1
	v_add_u32_e32 v82, s79, v112
	v_lshl_add_u32 v82, v82, 1, vcc_lo
	v_ashrrev_i32_e32 v83, 31, v82
	v_lshlrev_b64 v[82:83], 2, v[82:83]
	v_mov_b32_e32 v84, s11
	v_add_co_u32_e32 v82, vcc, s10, v82
	v_addc_co_u32_e32 v83, vcc, v84, v83, vcc
	global_load_dwordx2 v[82:83], v[82:83], off
.LBB120_9:                              ;   in Loop: Header=BB120_6 Depth=1
	s_andn2_b64 vcc, exec, s[36:37]
	v_mov_b32_e32 v84, 0
	v_mov_b32_e32 v86, 0
	v_mov_b32_e32 v87, 0
	s_cbranch_vccnz .LBB120_12
; %bb.10:                               ;   in Loop: Header=BB120_6 Depth=1
	s_load_dword vcc_lo, s[34:35], 0x4
	v_mov_b32_e32 v87, 0
	v_mov_b32_e32 v86, 0
	s_waitcnt lgkmcnt(0)
	s_mul_hi_u32 s79, vcc_lo, s16
	s_add_i32 s79, vcc_lo, s79
	s_lshr_b32 vcc_hi, s79, s17
	s_cmp_ge_i32 vcc_hi, s13
	s_cbranch_scc1 .LBB120_12
; %bb.11:                               ;   in Loop: Header=BB120_6 Depth=1
	s_mul_i32 s79, vcc_hi, s18
	s_sub_i32 s79, vcc_lo, s79
	s_mul_i32 vcc_hi, vcc_hi, s20
	s_mul_i32 s79, s79, s1
	v_add_u32_e32 v85, vcc_hi, v112
	v_lshl_add_u32 v86, v85, 1, s79
	v_ashrrev_i32_e32 v87, 31, v86
	v_lshlrev_b64 v[86:87], 2, v[86:87]
	v_mov_b32_e32 v85, s11
	v_add_co_u32_e32 v86, vcc, s10, v86
	v_addc_co_u32_e32 v87, vcc, v85, v87, vcc
	global_load_dwordx2 v[86:87], v[86:87], off
.LBB120_12:                             ;   in Loop: Header=BB120_6 Depth=1
	s_andn2_b64 vcc, exec, s[38:39]
	v_mov_b32_e32 v85, 0
	s_cbranch_vccnz .LBB120_15
; %bb.13:                               ;   in Loop: Header=BB120_6 Depth=1
	s_load_dword vcc_lo, s[34:35], 0x8
	v_mov_b32_e32 v85, 0
	v_mov_b32_e32 v84, 0
	s_waitcnt lgkmcnt(0)
	s_mul_hi_u32 s79, vcc_lo, s16
	s_add_i32 s79, vcc_lo, s79
	s_lshr_b32 vcc_hi, s79, s17
	s_cmp_ge_i32 vcc_hi, s13
	s_cbranch_scc1 .LBB120_15
; %bb.14:                               ;   in Loop: Header=BB120_6 Depth=1
	s_mul_i32 s79, vcc_hi, s18
	s_sub_i32 s79, vcc_lo, s79
	s_mul_i32 vcc_hi, vcc_hi, s20
	s_mul_i32 s79, s79, s1
	v_add_u32_e32 v84, vcc_hi, v112
	v_lshl_add_u32 v84, v84, 1, s79
	v_ashrrev_i32_e32 v85, 31, v84
	v_lshlrev_b64 v[84:85], 2, v[84:85]
	v_mov_b32_e32 v88, s11
	v_add_co_u32_e32 v84, vcc, s10, v84
	v_addc_co_u32_e32 v85, vcc, v88, v85, vcc
	global_load_dwordx2 v[84:85], v[84:85], off
.LBB120_15:                             ;   in Loop: Header=BB120_6 Depth=1
	s_andn2_b64 vcc, exec, s[40:41]
	v_mov_b32_e32 v88, 0
	v_mov_b32_e32 v90, 0
	v_mov_b32_e32 v91, 0
	s_cbranch_vccnz .LBB120_18
; %bb.16:                               ;   in Loop: Header=BB120_6 Depth=1
	s_load_dword vcc_lo, s[34:35], 0xc
	v_mov_b32_e32 v91, 0
	v_mov_b32_e32 v90, 0
	s_waitcnt lgkmcnt(0)
	s_mul_hi_u32 s79, vcc_lo, s16
	s_add_i32 s79, vcc_lo, s79
	s_lshr_b32 vcc_hi, s79, s17
	s_cmp_ge_i32 vcc_hi, s13
	s_cbranch_scc1 .LBB120_18
; %bb.17:                               ;   in Loop: Header=BB120_6 Depth=1
	s_mul_i32 s79, vcc_hi, s18
	s_sub_i32 s79, vcc_lo, s79
	s_mul_i32 vcc_hi, vcc_hi, s20
	s_mul_i32 s79, s79, s1
	v_add_u32_e32 v89, vcc_hi, v112
	v_lshl_add_u32 v90, v89, 1, s79
	v_ashrrev_i32_e32 v91, 31, v90
	v_lshlrev_b64 v[90:91], 2, v[90:91]
	v_mov_b32_e32 v89, s11
	v_add_co_u32_e32 v90, vcc, s10, v90
	v_addc_co_u32_e32 v91, vcc, v89, v91, vcc
	global_load_dwordx2 v[90:91], v[90:91], off
.LBB120_18:                             ;   in Loop: Header=BB120_6 Depth=1
	s_andn2_b64 vcc, exec, s[42:43]
	v_mov_b32_e32 v89, 0
	s_cbranch_vccnz .LBB120_21
; %bb.19:                               ;   in Loop: Header=BB120_6 Depth=1
	s_load_dword vcc_lo, s[34:35], 0x10
	v_mov_b32_e32 v89, 0
	v_mov_b32_e32 v88, 0
	s_waitcnt lgkmcnt(0)
	s_mul_hi_u32 s79, vcc_lo, s16
	s_add_i32 s79, vcc_lo, s79
	s_lshr_b32 vcc_hi, s79, s17
	s_cmp_ge_i32 vcc_hi, s13
	s_cbranch_scc1 .LBB120_21
; %bb.20:                               ;   in Loop: Header=BB120_6 Depth=1
	s_mul_i32 s79, vcc_hi, s18
	s_sub_i32 s79, vcc_lo, s79
	s_mul_i32 vcc_hi, vcc_hi, s20
	s_mul_i32 s79, s79, s1
	v_add_u32_e32 v88, vcc_hi, v112
	v_lshl_add_u32 v88, v88, 1, s79
	v_ashrrev_i32_e32 v89, 31, v88
	v_lshlrev_b64 v[88:89], 2, v[88:89]
	v_mov_b32_e32 v92, s11
	v_add_co_u32_e32 v88, vcc, s10, v88
	v_addc_co_u32_e32 v89, vcc, v92, v89, vcc
	global_load_dwordx2 v[88:89], v[88:89], off
.LBB120_21:                             ;   in Loop: Header=BB120_6 Depth=1
	s_andn2_b64 vcc, exec, s[44:45]
	v_mov_b32_e32 v92, 0
	v_mov_b32_e32 v94, 0
	v_mov_b32_e32 v95, 0
	s_cbranch_vccnz .LBB120_24
; %bb.22:                               ;   in Loop: Header=BB120_6 Depth=1
	s_load_dword vcc_lo, s[34:35], 0x14
	v_mov_b32_e32 v95, 0
	v_mov_b32_e32 v94, 0
	s_waitcnt lgkmcnt(0)
	s_mul_hi_u32 s79, vcc_lo, s16
	s_add_i32 s79, vcc_lo, s79
	s_lshr_b32 vcc_hi, s79, s17
	s_cmp_ge_i32 vcc_hi, s13
	s_cbranch_scc1 .LBB120_24
; %bb.23:                               ;   in Loop: Header=BB120_6 Depth=1
	s_mul_i32 s79, vcc_hi, s18
	s_sub_i32 s79, vcc_lo, s79
	s_mul_i32 vcc_hi, vcc_hi, s20
	s_mul_i32 s79, s79, s1
	v_add_u32_e32 v93, vcc_hi, v112
	v_lshl_add_u32 v94, v93, 1, s79
	v_ashrrev_i32_e32 v95, 31, v94
	v_lshlrev_b64 v[94:95], 2, v[94:95]
	v_mov_b32_e32 v93, s11
	v_add_co_u32_e32 v94, vcc, s10, v94
	v_addc_co_u32_e32 v95, vcc, v93, v95, vcc
	global_load_dwordx2 v[94:95], v[94:95], off
.LBB120_24:                             ;   in Loop: Header=BB120_6 Depth=1
	s_andn2_b64 vcc, exec, s[46:47]
	v_mov_b32_e32 v93, 0
	s_cbranch_vccnz .LBB120_27
; %bb.25:                               ;   in Loop: Header=BB120_6 Depth=1
	s_load_dword vcc_lo, s[34:35], 0x18
	v_mov_b32_e32 v93, 0
	v_mov_b32_e32 v92, 0
	s_waitcnt lgkmcnt(0)
	s_mul_hi_u32 s79, vcc_lo, s16
	s_add_i32 s79, vcc_lo, s79
	s_lshr_b32 vcc_hi, s79, s17
	s_cmp_ge_i32 vcc_hi, s13
	s_cbranch_scc1 .LBB120_27
; %bb.26:                               ;   in Loop: Header=BB120_6 Depth=1
	s_mul_i32 s79, vcc_hi, s18
	s_sub_i32 s79, vcc_lo, s79
	s_mul_i32 vcc_hi, vcc_hi, s20
	s_mul_i32 s79, s79, s1
	v_add_u32_e32 v92, vcc_hi, v112
	v_lshl_add_u32 v92, v92, 1, s79
	v_ashrrev_i32_e32 v93, 31, v92
	v_lshlrev_b64 v[92:93], 2, v[92:93]
	v_mov_b32_e32 v96, s11
	v_add_co_u32_e32 v92, vcc, s10, v92
	v_addc_co_u32_e32 v93, vcc, v96, v93, vcc
	global_load_dwordx2 v[92:93], v[92:93], off
.LBB120_27:                             ;   in Loop: Header=BB120_6 Depth=1
	s_andn2_b64 vcc, exec, s[48:49]
	v_mov_b32_e32 v96, 0
	v_mov_b32_e32 v98, 0
	v_mov_b32_e32 v99, 0
	s_cbranch_vccnz .LBB120_30
; %bb.28:                               ;   in Loop: Header=BB120_6 Depth=1
	s_load_dword vcc_lo, s[34:35], 0x1c
	v_mov_b32_e32 v99, 0
	v_mov_b32_e32 v98, 0
	s_waitcnt lgkmcnt(0)
	s_mul_hi_u32 s79, vcc_lo, s16
	s_add_i32 s79, vcc_lo, s79
	s_lshr_b32 vcc_hi, s79, s17
	s_cmp_ge_i32 vcc_hi, s13
	s_cbranch_scc1 .LBB120_30
; %bb.29:                               ;   in Loop: Header=BB120_6 Depth=1
	s_mul_i32 s79, vcc_hi, s18
	s_sub_i32 s79, vcc_lo, s79
	s_mul_i32 vcc_hi, vcc_hi, s20
	s_mul_i32 s79, s79, s1
	v_add_u32_e32 v97, vcc_hi, v112
	v_lshl_add_u32 v98, v97, 1, s79
	v_ashrrev_i32_e32 v99, 31, v98
	v_lshlrev_b64 v[98:99], 2, v[98:99]
	v_mov_b32_e32 v97, s11
	v_add_co_u32_e32 v98, vcc, s10, v98
	v_addc_co_u32_e32 v99, vcc, v97, v99, vcc
	global_load_dwordx2 v[98:99], v[98:99], off
.LBB120_30:                             ;   in Loop: Header=BB120_6 Depth=1
	s_andn2_b64 vcc, exec, s[50:51]
	v_mov_b32_e32 v97, 0
	s_cbranch_vccnz .LBB120_33
; %bb.31:                               ;   in Loop: Header=BB120_6 Depth=1
	s_load_dword vcc_lo, s[34:35], 0x20
	v_mov_b32_e32 v97, 0
	v_mov_b32_e32 v96, 0
	s_waitcnt lgkmcnt(0)
	s_mul_hi_u32 s79, vcc_lo, s16
	s_add_i32 s79, vcc_lo, s79
	s_lshr_b32 vcc_hi, s79, s17
	s_cmp_ge_i32 vcc_hi, s13
	s_cbranch_scc1 .LBB120_33
; %bb.32:                               ;   in Loop: Header=BB120_6 Depth=1
	s_mul_i32 s79, vcc_hi, s18
	s_sub_i32 s79, vcc_lo, s79
	s_mul_i32 vcc_hi, vcc_hi, s20
	s_mul_i32 s79, s79, s1
	v_add_u32_e32 v96, vcc_hi, v112
	v_lshl_add_u32 v96, v96, 1, s79
	v_ashrrev_i32_e32 v97, 31, v96
	v_lshlrev_b64 v[96:97], 2, v[96:97]
	v_mov_b32_e32 v100, s11
	v_add_co_u32_e32 v96, vcc, s10, v96
	v_addc_co_u32_e32 v97, vcc, v100, v97, vcc
	global_load_dwordx2 v[96:97], v[96:97], off
.LBB120_33:                             ;   in Loop: Header=BB120_6 Depth=1
	s_andn2_b64 vcc, exec, s[52:53]
	v_mov_b32_e32 v100, 0
	v_mov_b32_e32 v102, 0
	v_mov_b32_e32 v103, 0
	s_cbranch_vccnz .LBB120_36
; %bb.34:                               ;   in Loop: Header=BB120_6 Depth=1
	s_load_dword vcc_lo, s[34:35], 0x24
	v_mov_b32_e32 v103, 0
	v_mov_b32_e32 v102, 0
	s_waitcnt lgkmcnt(0)
	s_mul_hi_u32 s79, vcc_lo, s16
	s_add_i32 s79, vcc_lo, s79
	s_lshr_b32 vcc_hi, s79, s17
	s_cmp_ge_i32 vcc_hi, s13
	s_cbranch_scc1 .LBB120_36
; %bb.35:                               ;   in Loop: Header=BB120_6 Depth=1
	s_mul_i32 s79, vcc_hi, s18
	s_sub_i32 s79, vcc_lo, s79
	s_mul_i32 vcc_hi, vcc_hi, s20
	s_mul_i32 s79, s79, s1
	v_add_u32_e32 v101, vcc_hi, v112
	v_lshl_add_u32 v102, v101, 1, s79
	v_ashrrev_i32_e32 v103, 31, v102
	v_lshlrev_b64 v[102:103], 2, v[102:103]
	v_mov_b32_e32 v101, s11
	v_add_co_u32_e32 v102, vcc, s10, v102
	v_addc_co_u32_e32 v103, vcc, v101, v103, vcc
	global_load_dwordx2 v[102:103], v[102:103], off
.LBB120_36:                             ;   in Loop: Header=BB120_6 Depth=1
	s_andn2_b64 vcc, exec, s[54:55]
	v_mov_b32_e32 v101, 0
	s_cbranch_vccnz .LBB120_39
; %bb.37:                               ;   in Loop: Header=BB120_6 Depth=1
	s_load_dword vcc_lo, s[34:35], 0x28
	v_mov_b32_e32 v101, 0
	v_mov_b32_e32 v100, 0
	s_waitcnt lgkmcnt(0)
	s_mul_hi_u32 s79, vcc_lo, s16
	s_add_i32 s79, vcc_lo, s79
	s_lshr_b32 vcc_hi, s79, s17
	s_cmp_ge_i32 vcc_hi, s13
	s_cbranch_scc1 .LBB120_39
; %bb.38:                               ;   in Loop: Header=BB120_6 Depth=1
	s_mul_i32 s79, vcc_hi, s18
	s_sub_i32 s79, vcc_lo, s79
	s_mul_i32 vcc_hi, vcc_hi, s20
	s_mul_i32 s79, s79, s1
	v_add_u32_e32 v100, vcc_hi, v112
	v_lshl_add_u32 v100, v100, 1, s79
	v_ashrrev_i32_e32 v101, 31, v100
	v_lshlrev_b64 v[100:101], 2, v[100:101]
	v_mov_b32_e32 v104, s11
	v_add_co_u32_e32 v100, vcc, s10, v100
	v_addc_co_u32_e32 v101, vcc, v104, v101, vcc
	global_load_dwordx2 v[100:101], v[100:101], off
.LBB120_39:                             ;   in Loop: Header=BB120_6 Depth=1
	s_andn2_b64 vcc, exec, s[56:57]
	v_mov_b32_e32 v104, 0
	v_mov_b32_e32 v106, 0
	v_mov_b32_e32 v107, 0
	s_cbranch_vccnz .LBB120_42
; %bb.40:                               ;   in Loop: Header=BB120_6 Depth=1
	s_load_dword vcc_lo, s[34:35], 0x2c
	v_mov_b32_e32 v107, 0
	v_mov_b32_e32 v106, 0
	s_waitcnt lgkmcnt(0)
	s_mul_hi_u32 s79, vcc_lo, s16
	s_add_i32 s79, vcc_lo, s79
	s_lshr_b32 vcc_hi, s79, s17
	s_cmp_ge_i32 vcc_hi, s13
	s_cbranch_scc1 .LBB120_42
; %bb.41:                               ;   in Loop: Header=BB120_6 Depth=1
	s_mul_i32 s79, vcc_hi, s18
	s_sub_i32 s79, vcc_lo, s79
	s_mul_i32 vcc_hi, vcc_hi, s20
	s_mul_i32 s79, s79, s1
	v_add_u32_e32 v105, vcc_hi, v112
	v_lshl_add_u32 v106, v105, 1, s79
	v_ashrrev_i32_e32 v107, 31, v106
	v_lshlrev_b64 v[106:107], 2, v[106:107]
	v_mov_b32_e32 v105, s11
	v_add_co_u32_e32 v106, vcc, s10, v106
	v_addc_co_u32_e32 v107, vcc, v105, v107, vcc
	global_load_dwordx2 v[106:107], v[106:107], off
.LBB120_42:                             ;   in Loop: Header=BB120_6 Depth=1
	s_andn2_b64 vcc, exec, s[58:59]
	v_mov_b32_e32 v105, 0
	s_cbranch_vccnz .LBB120_5
; %bb.43:                               ;   in Loop: Header=BB120_6 Depth=1
	s_load_dword vcc_lo, s[34:35], 0x30
	v_mov_b32_e32 v105, 0
	v_mov_b32_e32 v104, 0
	s_waitcnt lgkmcnt(0)
	s_mul_hi_u32 s79, vcc_lo, s16
	s_add_i32 s79, vcc_lo, s79
	s_lshr_b32 vcc_hi, s79, s17
	s_cmp_ge_i32 vcc_hi, s13
	s_cbranch_scc1 .LBB120_5
; %bb.44:                               ;   in Loop: Header=BB120_6 Depth=1
	s_mul_i32 s79, vcc_hi, s18
	s_sub_i32 s79, vcc_lo, s79
	s_mul_i32 vcc_hi, vcc_hi, s20
	s_mul_i32 s79, s79, s1
	v_add_u32_e32 v104, vcc_hi, v112
	v_lshl_add_u32 v104, v104, 1, s79
	v_ashrrev_i32_e32 v105, 31, v104
	v_lshlrev_b64 v[104:105], 2, v[104:105]
	v_mov_b32_e32 v118, s11
	v_add_co_u32_e32 v104, vcc, s10, v104
	v_addc_co_u32_e32 v105, vcc, v118, v105, vcc
	global_load_dwordx2 v[104:105], v[104:105], off
	s_branch .LBB120_5
.LBB120_45:
	s_or_b64 exec, exec, s[8:9]
	v_readlane_b32 s24, v119, 6
	v_readlane_b32 s26, v119, 9
	;; [unrolled: 1-line block ×5, first 2 shown]
.LBB120_46:
	v_readlane_b32 s0, v119, 4
	v_readlane_b32 s1, v119, 5
	s_or_b64 exec, exec, s[0:1]
	v_mul_u32_u24_e32 v16, 0x808, v111
	v_lshlrev_b32_e32 v17, 2, v110
	v_add3_u32 v16, 0, v16, v17
	v_and_b32_e32 v17, 0x3f0, v109
	v_add_u32_e32 v17, v16, v17
	s_lshl_b64 s[0:1], s[26:27], 2
	v_readlane_b32 s4, v119, 0
	s_barrier
	ds_write2_b32 v17, v8, v9 offset1:1
	ds_write_b32 v17, v10 offset:8
	v_or_b32_e32 v8, 12, v109
	v_readlane_b32 s5, v119, 1
	s_add_u32 s3, s4, s0
	v_and_b32_e32 v8, 0x3fc, v8
	s_addc_u32 s7, s5, s1
	v_add_u32_e32 v8, v16, v8
	ds_write_b32 v8, v11
	ds_write2_b32 v17, v4, v5 offset0:16 offset1:17
	ds_write_b32 v17, v6 offset:72
	ds_write_b32 v8, v7 offset:64
	ds_write2_b32 v17, v0, v1 offset0:32 offset1:33
	ds_write_b32 v17, v2 offset:136
	ds_write_b32 v8, v3 offset:128
	;; [unrolled: 3-line block ×3, first 2 shown]
	s_cmp_gt_i32 s14, 0
	v_add_u32_e32 v0, s6, v108
	s_cselect_b64 s[4:5], -1, 0
	v_cmp_gt_i32_e64 s[0:1], s33, v0
	v_cmp_gt_u32_e32 vcc, 13, v108
	s_and_b64 s[0:1], s[4:5], s[0:1]
	v_lshl_add_u32 v3, v109, 2, 0
	v_add_u32_e32 v2, s28, v109
	s_and_b64 s[8:9], vcc, s[0:1]
	s_waitcnt lgkmcnt(0)
	s_barrier
	s_and_saveexec_b64 s[0:1], s[8:9]
	s_cbranch_execz .LBB120_49
; %bb.47:
	v_ashrrev_i32_e32 v1, 31, v0
	v_lshlrev_b64 v[0:1], 2, v[0:1]
	v_mov_b32_e32 v4, s7
	v_add_co_u32_e32 v0, vcc, s3, v0
	v_addc_co_u32_e32 v1, vcc, v4, v1, vcc
	global_load_dword v0, v[0:1], off
	s_waitcnt vmcnt(0)
	v_mul_hi_u32 v1, v0, s19
	v_add_u32_e32 v1, v0, v1
	v_lshrrev_b32_e32 v1, s24, v1
	v_cmp_gt_i32_e32 vcc, s13, v1
	s_and_b64 exec, exec, vcc
	s_cbranch_execz .LBB120_49
; %bb.48:
	s_movk_i32 s8, 0x808
	v_mad_u32_u24 v10, v108, s8, v3
	ds_read2st64_b32 v[4:5], v10 offset1:1
	ds_read2st64_b32 v[6:7], v10 offset0:2 offset1:3
	ds_read2st64_b32 v[8:9], v10 offset0:4 offset1:5
	;; [unrolled: 1-line block ×3, first 2 shown]
	v_mul_lo_u32 v12, v1, s25
	v_sub_u32_e32 v0, v0, v12
	v_mul_lo_u32 v0, v0, s2
	s_waitcnt lgkmcnt(3)
	v_add_f32_e32 v4, 0, v4
	v_add_f32_e32 v4, v4, v5
	s_waitcnt lgkmcnt(2)
	v_add_f32_e32 v4, v4, v6
	v_add_f32_e32 v4, v4, v7
	v_mul_lo_u32 v1, v1, s21
	s_waitcnt lgkmcnt(1)
	v_add_f32_e32 v4, v4, v8
	v_add3_u32 v0, v2, v1, v0
	v_mov_b32_e32 v1, 0
	v_readlane_b32 s8, v119, 2
	v_add_f32_e32 v4, v4, v9
	v_lshlrev_b64 v[0:1], 2, v[0:1]
	v_readlane_b32 s9, v119, 3
	s_waitcnt lgkmcnt(0)
	v_add_f32_e32 v4, v4, v10
	v_mov_b32_e32 v5, s9
	v_add_co_u32_e32 v0, vcc, s8, v0
	v_add_f32_e32 v4, v4, v11
	v_addc_co_u32_e32 v1, vcc, v5, v1, vcc
	global_store_dword v[0:1], v4, off
.LBB120_49:
	s_or_b64 exec, exec, s[0:1]
	v_cmp_gt_u32_e32 vcc, 5, v108
	s_and_saveexec_b64 s[0:1], vcc
	s_cbranch_execz .LBB120_53
; %bb.50:
	v_or_b32_e32 v0, 8, v108
	v_add_u32_e32 v1, s6, v0
	v_cmp_gt_i32_e32 vcc, s33, v1
	s_and_b64 s[0:1], s[4:5], vcc
	s_and_b64 exec, exec, s[0:1]
	s_cbranch_execz .LBB120_53
; %bb.51:
	s_ashr_i32 s0, s6, 31
	v_mov_b32_e32 v1, s0
	v_add_co_u32_e32 v4, vcc, s6, v108
	v_addc_co_u32_e32 v5, vcc, 0, v1, vcc
	v_lshlrev_b64 v[4:5], 2, v[4:5]
	v_mov_b32_e32 v1, s7
	v_add_co_u32_e32 v4, vcc, s3, v4
	v_addc_co_u32_e32 v5, vcc, v1, v5, vcc
	global_load_dword v4, v[4:5], off offset:32
	v_mov_b32_e32 v1, 0
	s_waitcnt vmcnt(0)
	v_mul_hi_u32 v5, v4, s19
	v_add_u32_e32 v5, v4, v5
	v_lshrrev_b32_e32 v5, s24, v5
	v_cmp_gt_i32_e32 vcc, s13, v5
	s_and_b64 exec, exec, vcc
	s_cbranch_execz .LBB120_53
; %bb.52:
	s_movk_i32 s0, 0x808
	v_mad_u32_u24 v0, v0, s0, v3
	ds_read2st64_b32 v[6:7], v0 offset1:1
	ds_read2st64_b32 v[8:9], v0 offset0:2 offset1:3
	ds_read2st64_b32 v[10:11], v0 offset0:4 offset1:5
	;; [unrolled: 1-line block ×3, first 2 shown]
	v_mul_lo_u32 v3, v5, s25
	v_readlane_b32 s0, v119, 2
	v_readlane_b32 s1, v119, 3
	s_waitcnt lgkmcnt(3)
	v_add_f32_e32 v0, 0, v6
	v_add_f32_e32 v0, v0, v7
	s_waitcnt lgkmcnt(2)
	v_add_f32_e32 v0, v0, v8
	v_add_f32_e32 v0, v0, v9
	;; [unrolled: 3-line block ×4, first 2 shown]
	v_sub_u32_e32 v0, v4, v3
	v_mul_lo_u32 v0, v0, s2
	v_mul_lo_u32 v3, v5, s21
	v_add3_u32 v0, v2, v3, v0
	v_lshlrev_b64 v[0:1], 2, v[0:1]
	v_mov_b32_e32 v2, s1
	v_add_co_u32_e32 v0, vcc, s0, v0
	v_addc_co_u32_e32 v1, vcc, v2, v1, vcc
	global_store_dword v[0:1], v6, off
.LBB120_53:
	s_endpgm
	.section	.rodata,"a",@progbits
	.p2align	6, 0x0
	.amdhsa_kernel _ZL13mul_mat_f_idsI7__half2Li64ELi13ELi8EEvPKT_PKfPKiS7_S7_Pfiiiiiiiiiiiiii15HIP_vector_typeIjLj3EESA_
		.amdhsa_group_segment_fixed_size 0
		.amdhsa_private_segment_fixed_size 0
		.amdhsa_kernarg_size 128
		.amdhsa_user_sgpr_count 6
		.amdhsa_user_sgpr_private_segment_buffer 1
		.amdhsa_user_sgpr_dispatch_ptr 0
		.amdhsa_user_sgpr_queue_ptr 0
		.amdhsa_user_sgpr_kernarg_segment_ptr 1
		.amdhsa_user_sgpr_dispatch_id 0
		.amdhsa_user_sgpr_flat_scratch_init 0
		.amdhsa_user_sgpr_kernarg_preload_length 0
		.amdhsa_user_sgpr_kernarg_preload_offset 0
		.amdhsa_user_sgpr_private_segment_size 0
		.amdhsa_uses_dynamic_stack 0
		.amdhsa_system_sgpr_private_segment_wavefront_offset 0
		.amdhsa_system_sgpr_workgroup_id_x 1
		.amdhsa_system_sgpr_workgroup_id_y 1
		.amdhsa_system_sgpr_workgroup_id_z 1
		.amdhsa_system_sgpr_workgroup_info 0
		.amdhsa_system_vgpr_workitem_id 1
		.amdhsa_next_free_vgpr 120
		.amdhsa_next_free_sgpr 96
		.amdhsa_accum_offset 120
		.amdhsa_reserve_vcc 1
		.amdhsa_reserve_flat_scratch 0
		.amdhsa_float_round_mode_32 0
		.amdhsa_float_round_mode_16_64 0
		.amdhsa_float_denorm_mode_32 3
		.amdhsa_float_denorm_mode_16_64 3
		.amdhsa_dx10_clamp 1
		.amdhsa_ieee_mode 1
		.amdhsa_fp16_overflow 0
		.amdhsa_tg_split 0
		.amdhsa_exception_fp_ieee_invalid_op 0
		.amdhsa_exception_fp_denorm_src 0
		.amdhsa_exception_fp_ieee_div_zero 0
		.amdhsa_exception_fp_ieee_overflow 0
		.amdhsa_exception_fp_ieee_underflow 0
		.amdhsa_exception_fp_ieee_inexact 0
		.amdhsa_exception_int_div_zero 0
	.end_amdhsa_kernel
	.section	.text._ZL13mul_mat_f_idsI7__half2Li64ELi13ELi8EEvPKT_PKfPKiS7_S7_Pfiiiiiiiiiiiiii15HIP_vector_typeIjLj3EESA_,"axG",@progbits,_ZL13mul_mat_f_idsI7__half2Li64ELi13ELi8EEvPKT_PKfPKiS7_S7_Pfiiiiiiiiiiiiii15HIP_vector_typeIjLj3EESA_,comdat
.Lfunc_end120:
	.size	_ZL13mul_mat_f_idsI7__half2Li64ELi13ELi8EEvPKT_PKfPKiS7_S7_Pfiiiiiiiiiiiiii15HIP_vector_typeIjLj3EESA_, .Lfunc_end120-_ZL13mul_mat_f_idsI7__half2Li64ELi13ELi8EEvPKT_PKfPKiS7_S7_Pfiiiiiiiiiiiiii15HIP_vector_typeIjLj3EESA_
                                        ; -- End function
	.section	.AMDGPU.csdata,"",@progbits
; Kernel info:
; codeLenInByte = 7340
; NumSgprs: 100
; NumVgprs: 120
; NumAgprs: 0
; TotalNumVgprs: 120
; ScratchSize: 0
; MemoryBound: 0
; FloatMode: 240
; IeeeMode: 1
; LDSByteSize: 0 bytes/workgroup (compile time only)
; SGPRBlocks: 12
; VGPRBlocks: 14
; NumSGPRsForWavesPerEU: 100
; NumVGPRsForWavesPerEU: 120
; AccumOffset: 120
; Occupancy: 4
; WaveLimiterHint : 1
; COMPUTE_PGM_RSRC2:SCRATCH_EN: 0
; COMPUTE_PGM_RSRC2:USER_SGPR: 6
; COMPUTE_PGM_RSRC2:TRAP_HANDLER: 0
; COMPUTE_PGM_RSRC2:TGID_X_EN: 1
; COMPUTE_PGM_RSRC2:TGID_Y_EN: 1
; COMPUTE_PGM_RSRC2:TGID_Z_EN: 1
; COMPUTE_PGM_RSRC2:TIDIG_COMP_CNT: 1
; COMPUTE_PGM_RSRC3_GFX90A:ACCUM_OFFSET: 29
; COMPUTE_PGM_RSRC3_GFX90A:TG_SPLIT: 0
	.section	.text._ZL9mul_mat_fI7__half2Li64ELi13ELi8ELb1EEvPKT_PKfPKiPfiiiiiiiiiiiiiiii,"axG",@progbits,_ZL9mul_mat_fI7__half2Li64ELi13ELi8ELb1EEvPKT_PKfPKiPfiiiiiiiiiiiiiiii,comdat
	.globl	_ZL9mul_mat_fI7__half2Li64ELi13ELi8ELb1EEvPKT_PKfPKiPfiiiiiiiiiiiiiiii ; -- Begin function _ZL9mul_mat_fI7__half2Li64ELi13ELi8ELb1EEvPKT_PKfPKiPfiiiiiiiiiiiiiiii
	.p2align	8
	.type	_ZL9mul_mat_fI7__half2Li64ELi13ELi8ELb1EEvPKT_PKfPKiPfiiiiiiiiiiiiiiii,@function
_ZL9mul_mat_fI7__half2Li64ELi13ELi8ELb1EEvPKT_PKfPKiPfiiiiiiiiiiiiiiii: ; @_ZL9mul_mat_fI7__half2Li64ELi13ELi8ELb1EEvPKT_PKfPKiPfiiiiiiiiiiiiiiii
; %bb.0:
	s_load_dwordx8 s[16:23], s[4:5], 0x20
	v_and_b32_e32 v16, 0x3ff, v0
	v_bfe_u32 v17, v0, 10, 10
	v_cmp_eq_u32_e32 vcc, 0, v16
	s_waitcnt lgkmcnt(0)
	s_add_i32 s0, s17, 12
	s_mul_hi_i32 s0, s0, 0x4ec4ec4f
	s_lshr_b32 s1, s0, 31
	s_ashr_i32 s0, s0, 2
	s_add_i32 s0, s0, s1
	v_cvt_f32_u32_e32 v1, s0
	s_load_dwordx4 s[24:27], s[4:5], 0x44
	s_load_dword s1, s[4:5], 0x64
	s_add_u32 s34, s4, 0x60
	s_addc_u32 s35, s5, 0
	v_rcp_iflag_f32_e32 v1, v1
	s_sub_i32 s2, 0, s0
	v_mul_f32_e32 v1, 0x4f7ffffe, v1
	v_cvt_u32_f32_e32 v1, v1
	v_readfirstlane_b32 s3, v1
	s_mul_i32 s2, s2, s3
	s_mul_hi_u32 s2, s3, s2
	s_add_i32 s3, s3, s2
	s_waitcnt lgkmcnt(0)
	s_mul_hi_u32 s2, s1, s3
	s_mul_i32 s3, s2, s0
	s_sub_i32 s1, s1, s3
	s_add_i32 s9, s2, 1
	s_sub_i32 s3, s1, s0
	s_cmp_ge_u32 s1, s0
	s_cselect_b32 s2, s9, s2
	s_cselect_b32 s1, s3, s1
	s_add_i32 s3, s2, 1
	s_cmp_ge_u32 s1, s0
	s_cselect_b32 s10, s3, s2
	v_cvt_f32_u32_e32 v1, s10
	s_abs_i32 s39, s27
	v_cvt_f32_u32_e32 v2, s39
	s_load_dwordx2 s[0:1], s[4:5], 0x10
	v_rcp_iflag_f32_e32 v1, v1
	s_sub_i32 s2, 0, s10
	v_rcp_iflag_f32_e32 v2, v2
	s_sub_i32 s38, 0, s39
	v_mul_f32_e32 v1, 0x4f7ffffe, v1
	v_cvt_u32_f32_e32 v1, v1
	v_mul_f32_e32 v2, 0x4f7ffffe, v2
	v_cvt_u32_f32_e32 v2, v2
	v_readfirstlane_b32 s3, v1
	s_mul_i32 s2, s2, s3
	s_mul_hi_u32 s2, s3, s2
	s_add_i32 s3, s3, s2
	v_readfirstlane_b32 s9, v2
	s_mul_hi_u32 s11, s7, s3
	s_and_saveexec_b64 s[2:3], vcc
	s_cbranch_execz .LBB121_2
; %bb.1:
	v_mov_b32_e32 v1, 0x100
	v_lshl_add_u32 v1, v17, 2, v1
	v_mov_b32_e32 v2, -1
	ds_write_b32 v1, v2
.LBB121_2:
	s_or_b64 exec, exec, s[2:3]
	s_mul_i32 s2, s11, s10
	s_sub_i32 s2, s7, s2
	s_add_i32 s3, s11, 1
	s_sub_i32 s12, s2, s10
	s_cmp_ge_u32 s2, s10
	s_cselect_b32 s3, s3, s11
	s_cselect_b32 s2, s12, s2
	s_add_i32 s11, s3, 1
	s_cmp_ge_u32 s2, s10
	s_cselect_b32 s2, s11, s3
	s_mul_i32 s3, s2, s10
	s_mul_i32 s50, s2, 13
	s_sub_i32 s7, s7, s3
	s_mul_hi_i32 s3, s50, s23
	s_mul_i32 s2, s50, s23
	s_lshl_b64 s[2:3], s[2:3], 2
	s_waitcnt lgkmcnt(0)
	s_add_u32 s33, s0, s2
	v_add_u32_e32 v1, s50, v17
	s_mul_i32 s38, s38, s9
	s_addc_u32 s1, s1, s3
	v_cmp_gt_i32_e64 s[10:11], s18, v16
	v_cmp_gt_i32_e64 s[40:41], s17, v1
	v_mov_b32_e32 v1, 0
	s_and_saveexec_b64 s[14:15], s[40:41]
	s_cbranch_execz .LBB121_10
; %bb.3:
	v_mov_b32_e32 v1, 0
	s_and_saveexec_b64 s[28:29], s[10:11]
	s_cbranch_execz .LBB121_9
; %bb.4:
	v_mul_lo_u32 v2, v17, s23
	v_ashrrev_i32_e32 v3, 31, v2
	v_lshlrev_b64 v[2:3], 2, v[2:3]
	v_mov_b32_e32 v1, s1
	v_add_co_u32_e64 v4, s[2:3], s33, v2
	v_addc_co_u32_e64 v5, s[2:3], v1, v3, s[2:3]
	v_mov_b32_e32 v1, 0x100
	v_lshl_add_u32 v6, v17, 2, v1
	v_mul_lo_u32 v2, v16, s22
	s_lshl_b32 s0, s22, 6
	s_mov_b64 s[30:31], 0
	v_mov_b32_e32 v1, 0
	v_mov_b32_e32 v7, v16
	s_branch .LBB121_6
.LBB121_5:                              ;   in Loop: Header=BB121_6 Depth=1
	s_or_b64 exec, exec, s[36:37]
	v_add_u32_e32 v7, 64, v7
	v_cmp_le_i32_e64 s[12:13], s18, v7
	s_xor_b64 s[2:3], s[2:3], -1
	s_or_b64 s[2:3], s[2:3], s[12:13]
	s_and_b64 s[2:3], exec, s[2:3]
	s_or_b64 s[30:31], s[2:3], s[30:31]
	v_add_u32_e32 v2, s0, v2
	s_andn2_b64 exec, exec, s[30:31]
	s_cbranch_execz .LBB121_8
.LBB121_6:                              ; =>This Inner Loop Header: Depth=1
	v_ashrrev_i32_e32 v3, 31, v2
	v_lshlrev_b64 v[8:9], 2, v[2:3]
	v_add_co_u32_e64 v8, s[2:3], v4, v8
	v_addc_co_u32_e64 v9, s[2:3], v5, v9, s[2:3]
	global_load_dword v3, v[8:9], off
	s_waitcnt vmcnt(0)
	v_cmp_ne_u32_e64 s[2:3], s7, v3
	v_cmp_eq_u32_e64 s[12:13], s7, v3
	s_and_saveexec_b64 s[36:37], s[12:13]
	s_cbranch_execz .LBB121_5
; %bb.7:                                ;   in Loop: Header=BB121_6 Depth=1
	v_mov_b32_e32 v1, 1
	ds_write_b32 v6, v7
	s_branch .LBB121_5
.LBB121_8:
	s_or_b64 exec, exec, s[30:31]
.LBB121_9:
	s_or_b64 exec, exec, s[28:29]
.LBB121_10:
	s_or_b64 exec, exec, s[14:15]
	s_mul_hi_u32 s12, s9, s38
	s_and_saveexec_b64 s[2:3], vcc
	s_cbranch_execz .LBB121_12
; %bb.11:
	v_mov_b32_e32 v2, 0x100
	v_lshl_add_u32 v2, v17, 2, v2
	v_mov_b32_e32 v3, -1
	ds_write_b32 v2, v3 offset:32
.LBB121_12:
	s_or_b64 exec, exec, s[2:3]
	s_load_dwordx4 s[44:47], s[4:5], 0x54
	v_add_u32_e32 v88, 8, v17
	s_abs_i32 s0, s8
	s_add_i32 s9, s9, s12
	v_add_u32_e32 v2, s50, v88
	v_cmp_gt_i32_e64 s[2:3], s17, v2
	s_mov_b64 s[28:29], exec
                                        ; implicit-def: $vgpr103 : SGPR spill to VGPR lane
	v_writelane_b32 v103, s2, 0
	v_writelane_b32 v103, s3, 1
	s_and_b64 s[2:3], s[28:29], s[2:3]
	s_mov_b64 exec, s[2:3]
	s_cbranch_execz .LBB121_20
; %bb.13:
	s_and_saveexec_b64 s[30:31], s[10:11]
	s_cbranch_execz .LBB121_19
; %bb.14:
	v_mul_lo_u32 v2, v88, s23
	v_ashrrev_i32_e32 v3, 31, v2
	v_lshlrev_b64 v[2:3], 2, v[2:3]
	v_mov_b32_e32 v5, s1
	v_add_co_u32_e32 v4, vcc, s33, v2
	v_mov_b32_e32 v2, 0x100
	v_addc_co_u32_e32 v5, vcc, v5, v3, vcc
	v_lshl_add_u32 v6, v17, 2, v2
	v_mul_lo_u32 v2, v16, s22
	s_lshl_b32 s1, s22, 6
	s_mov_b64 s[22:23], 0
	v_mov_b32_e32 v7, v16
	s_branch .LBB121_16
.LBB121_15:                             ;   in Loop: Header=BB121_16 Depth=1
	s_or_b64 exec, exec, s[36:37]
	v_add_u32_e32 v7, 64, v7
	v_cmp_le_i32_e64 s[10:11], s18, v7
	s_xor_b64 s[2:3], vcc, -1
	s_or_b64 s[2:3], s[2:3], s[10:11]
	s_and_b64 s[2:3], exec, s[2:3]
	s_or_b64 s[22:23], s[2:3], s[22:23]
	v_add_u32_e32 v2, s1, v2
	s_andn2_b64 exec, exec, s[22:23]
	s_cbranch_execz .LBB121_18
.LBB121_16:                             ; =>This Inner Loop Header: Depth=1
	v_ashrrev_i32_e32 v3, 31, v2
	v_lshlrev_b64 v[8:9], 2, v[2:3]
	v_add_co_u32_e32 v8, vcc, v4, v8
	v_addc_co_u32_e32 v9, vcc, v5, v9, vcc
	global_load_dword v3, v[8:9], off
	s_waitcnt vmcnt(0)
	v_cmp_ne_u32_e32 vcc, s7, v3
	v_cmp_eq_u32_e64 s[10:11], s7, v3
	s_and_saveexec_b64 s[36:37], s[10:11]
	s_cbranch_execz .LBB121_15
; %bb.17:                               ;   in Loop: Header=BB121_16 Depth=1
	v_mov_b32_e32 v1, 1
	ds_write_b32 v6, v7 offset:32
	s_branch .LBB121_15
.LBB121_18:
	s_or_b64 exec, exec, s[22:23]
.LBB121_19:
	s_or_b64 exec, exec, s[30:31]
.LBB121_20:
	s_or_b64 exec, exec, s[28:29]
	s_load_dwordx2 s[2:3], s[34:35], 0xc
	s_load_dwordx4 s[28:31], s[4:5], 0x0
	s_load_dwordx2 s[10:11], s[4:5], 0x18
	v_cmp_ne_u32_e32 vcc, 0, v1
	v_cndmask_b32_e64 v1, 0, 1, vcc
                                        ; kill: killed $sgpr4 killed $sgpr5
	s_waitcnt lgkmcnt(0)
	s_and_b32 s5, s3, 0xffff
	s_lshr_b32 s4, s2, 16
	v_or_b32_dpp v1, v1, v1 row_shl:1 row_mask:0xf bank_mask:0xf bound_ctrl:1
	s_and_b32 s3, s2, 0xffff
	s_mul_i32 s2, s4, s3
	v_or_b32_dpp v1, v1, v1 row_shl:2 row_mask:0xf bank_mask:0xf bound_ctrl:1
	s_bfe_i32 s2, s2, 0x180000
	s_mul_i32 s2, s2, s5
	v_or_b32_dpp v1, v1, v1 row_shl:4 row_mask:0xf bank_mask:0xf bound_ctrl:1
	s_add_i32 s5, s2, 63
	s_bitcmp1_b32 exec_hi, 0
	v_or_b32_dpp v1, v1, v1 row_shl:8 row_mask:0xf bank_mask:0xf bound_ctrl:1
	s_mul_hi_u32 s1, s0, s9
	v_writelane_b32 v103, s10, 2
	v_mov_b32_dpp v2, v1 wave_shl:1 row_mask:0xf bank_mask:0xf bound_ctrl:1
	v_writelane_b32 v103, s11, 3
                                        ; kill: killed $sgpr34 killed $sgpr35
	s_nop 0
	v_or_b32_dpp v1, v2, v1 row_mirror row_mask:0xf bank_mask:0xf bound_ctrl:1
	v_readlane_b32 s2, v1, 32
	s_cselect_b32 s2, s2, 0
	v_readlane_b32 s9, v1, 0
	s_or_b32 s2, s2, s9
	s_andn2_b32 s5, s5, 63
	s_cmp_lg_u32 s5, 64
	v_mov_b32_e32 v1, s2
	s_cbranch_scc0 .LBB121_27
; %bb.21:
	v_bfe_u32 v0, v0, 20, 10
	v_mbcnt_lo_u32_b32 v1, -1, 0
	v_mad_u32_u24 v0, v0, s4, v17
	v_mbcnt_hi_u32_b32 v2, -1, v1
	v_mad_u64_u32 v[0:1], s[4:5], v0, s3, v[16:17]
	v_lshrrev_b32_e32 v1, 6, v0
	v_or_b32_e32 v1, v2, v1
	v_cmp_eq_u32_e32 vcc, 0, v1
	s_and_saveexec_b64 s[4:5], vcc
	s_cbranch_execz .LBB121_23
; %bb.22:
	v_mov_b32_e32 v1, 0
	v_mov_b32_e32 v3, s2
	ds_write_b32 v1, v3
.LBB121_23:
	s_or_b64 exec, exec, s[4:5]
	v_cmp_eq_u32_e32 vcc, 0, v2
	v_cmp_lt_u32_e64 s[4:5], 63, v0
	s_and_b64 s[10:11], s[4:5], vcc
	s_waitcnt lgkmcnt(0)
	s_barrier
	s_and_saveexec_b64 s[4:5], s[10:11]
	s_cbranch_execz .LBB121_26
; %bb.24:
	v_mbcnt_lo_u32_b32 v0, exec_lo, 0
	v_mbcnt_hi_u32_b32 v0, exec_hi, v0
	v_cmp_eq_u32_e32 vcc, 0, v0
	s_and_b64 exec, exec, vcc
	s_cbranch_execz .LBB121_26
; %bb.25:
	v_mov_b32_e32 v0, 0
	v_mov_b32_e32 v1, s2
	ds_or_b32 v0, v1
.LBB121_26:
	s_or_b64 exec, exec, s[4:5]
	v_mov_b32_e32 v0, 0
	s_waitcnt lgkmcnt(0)
	s_barrier
	ds_read_b32 v1, v0
	s_waitcnt lgkmcnt(0)
	s_barrier
.LBB121_27:
	v_cmp_ne_u32_e32 vcc, 0, v1
	s_ashr_i32 s2, s8, 31
	s_ashr_i32 s3, s27, 31
	s_cbranch_vccz .LBB121_80
; %bb.28:
	v_lshlrev_b32_e32 v89, 6, v17
	v_add_u32_e32 v91, v89, v16
	v_cmp_le_i32_e32 vcc, s16, v91
	v_and_b32_e32 v90, 15, v16
                                        ; implicit-def: $sgpr9
	s_and_saveexec_b64 s[4:5], vcc
	s_xor_b64 s[4:5], exec, s[4:5]
; %bb.29:
	v_and_b32_e32 v90, 15, v16
	s_mov_b32 s9, 0
                                        ; implicit-def: $vgpr91
; %bb.30:
	s_or_saveexec_b64 s[4:5], s[4:5]
	s_lshl_b32 s6, s6, 6
	v_mov_b32_e32 v11, s9
	v_mov_b32_e32 v10, s9
	;; [unrolled: 1-line block ×16, first 2 shown]
	v_writelane_b32 v103, s4, 4
	v_writelane_b32 v103, s5, 5
	s_xor_b64 exec, exec, s[4:5]
	s_cbranch_execz .LBB121_73
; %bb.31:
	s_xor_b32 s2, s2, s3
	s_mul_i32 s3, s1, s39
	s_sub_i32 s0, s0, s3
	s_add_i32 s3, s1, 1
	s_sub_i32 s4, s0, s39
	s_cmp_ge_u32 s0, s39
	s_cselect_b32 s1, s3, s1
	s_cselect_b32 s0, s4, s0
	s_add_i32 s3, s1, 1
	s_cmp_ge_u32 s0, s39
	s_cselect_b32 s0, s3, s1
	s_xor_b32 s0, s0, s2
	s_sub_i32 s0, s0, s2
	s_mul_hi_i32 s1, s0, s44
	s_mul_i32 s0, s0, s44
	s_mul_i32 s2, s7, s24
	v_writelane_b32 v103, s40, 6
	s_ashr_i32 s3, s2, 31
	s_lshl_b64 s[0:1], s[0:1], 2
	v_writelane_b32 v103, s41, 7
	s_add_u32 s5, s28, s0
	v_writelane_b32 v103, s6, 8
	s_mul_i32 s4, s6, s19
	s_addc_u32 s6, s29, s1
	s_lshl_b64 s[2:3], s[2:3], 2
	s_add_u32 s7, s5, s2
	s_addc_u32 s6, s6, s3
	s_ashr_i32 s5, s4, 31
	s_lshl_b64 s[4:5], s[4:5], 2
	s_add_u32 s24, s7, s4
	s_addc_u32 s10, s6, s5
	s_movk_i32 s6, 0x1080
	v_mov_b32_e32 v92, 0x100
	v_writelane_b32 v103, s8, 9
	v_mad_u32_u24 v0, v17, s6, v92
	s_mul_hi_i32 s7, s45, s8
	v_writelane_b32 v103, s44, 10
	s_mul_i32 s6, s45, s8
	s_mul_hi_i32 s9, s20, s50
	s_mul_i32 s8, s20, s50
	s_lshl_b64 s[8:9], s[8:9], 3
	s_lshl_b64 s[6:7], s[6:7], 2
	s_add_u32 s6, s30, s6
	s_addc_u32 s7, s31, s7
	s_add_u32 s27, s6, s8
	s_addc_u32 s33, s7, s9
	s_cmp_lt_i32 s50, s17
	s_cselect_b64 s[6:7], -1, 0
	s_add_i32 s8, s50, 1
	s_cmp_lt_i32 s8, s17
	v_writelane_b32 v103, s45, 11
	s_cselect_b64 s[12:13], -1, 0
	s_add_i32 s8, s50, 2
	v_writelane_b32 v103, s46, 12
	s_cmp_lt_i32 s8, s17
	v_writelane_b32 v103, s47, 13
	s_cselect_b64 s[22:23], -1, 0
	s_lshl_b32 s8, s20, 2
	v_writelane_b32 v103, s8, 14
	s_add_i32 s8, s50, 3
	s_cmp_lt_i32 s8, s17
	s_cselect_b64 s[30:31], -1, 0
	s_add_i32 s8, s50, 4
	s_cmp_lt_i32 s8, s17
	s_cselect_b64 s[34:35], -1, 0
	s_lshl_b32 s8, s20, 3
	v_writelane_b32 v103, s8, 15
	s_add_i32 s8, s50, 5
	s_cmp_lt_i32 s8, s17
	s_cselect_b64 s[36:37], -1, 0
	s_add_i32 s8, s50, 6
	s_cmp_lt_i32 s8, s17
	s_mul_i32 s8, s20, 6
	s_cselect_b64 s[38:39], -1, 0
	v_writelane_b32 v103, s8, 16
	s_add_i32 s8, s50, 7
	s_cmp_lt_i32 s8, s17
	s_cselect_b64 s[40:41], -1, 0
	s_add_i32 s8, s50, 8
	s_cmp_lt_i32 s8, s17
	s_cselect_b64 s[42:43], -1, 0
	s_lshl_b32 s8, s20, 4
	v_writelane_b32 v103, s8, 17
	s_add_i32 s8, s50, 9
	s_cmp_lt_i32 s8, s17
	s_cselect_b64 s[44:45], -1, 0
	s_add_i32 s8, s50, 10
	s_cmp_lt_i32 s8, s17
	s_mul_i32 s8, s20, 10
	s_cselect_b64 s[46:47], -1, 0
	v_writelane_b32 v103, s8, 18
	s_add_i32 s8, s50, 11
	s_cmp_lt_i32 s8, s17
	s_cselect_b64 s[48:49], -1, 0
	s_add_i32 s8, s50, 12
	v_writelane_b32 v103, s50, 19
	s_cmp_lt_i32 s8, s17
	s_mul_i32 s8, s20, 12
	s_cselect_b64 s[50:51], -1, 0
	v_writelane_b32 v103, s8, 20
	s_ashr_i32 s9, s19, 31
	s_mov_b32 s8, s19
	s_lshl_b64 s[52:53], s[8:9], 2
	s_add_u32 s0, s0, s4
	v_lshrrev_b32_e32 v2, 1, v16
	s_addc_u32 s1, s1, s5
	v_mul_u32_u24_e32 v1, 0x108, v90
	v_and_b32_e32 v2, 0x1f8, v2
	s_add_u32 s0, s0, s2
	v_lshl_add_u32 v93, v16, 2, v0
	v_add3_u32 v94, v0, v1, v2
	v_lshlrev_b32_e32 v0, 1, v16
	s_addc_u32 s1, s1, s3
	v_lshl_add_u32 v95, v17, 7, v0
	v_lshlrev_b32_e32 v0, 2, v91
	s_add_u32 s0, s28, s0
	v_add_co_u32_e32 v18, vcc, s0, v0
	s_mul_i32 s0, s20, 24
	v_writelane_b32 v103, s0, 21
	s_mul_i32 s0, s20, 22
	v_writelane_b32 v103, s0, 22
	;; [unrolled: 2-line block ×4, first 2 shown]
	s_mul_i32 s0, s20, 14
	s_addc_u32 s1, s29, s1
	v_writelane_b32 v103, s0, 25
	s_lshl_b32 s0, s20, 1
	v_writelane_b32 v103, s0, 26
	s_mul_i32 s0, s19, 3
	v_writelane_b32 v103, s0, 27
	s_mul_i32 s0, s19, 5
	v_mov_b32_e32 v1, s1
	v_writelane_b32 v103, s0, 28
	s_mul_i32 s0, s19, 6
	v_mov_b32_e32 v97, 0
	v_addc_co_u32_e32 v19, vcc, 0, v1, vcc
	s_lshl_b32 s62, s19, 1
	s_lshl_b32 s64, s19, 2
	v_writelane_b32 v103, s0, 29
	s_mul_i32 s67, s19, 7
	s_lshl_b32 s68, s19, 3
	s_mul_i32 s69, s19, 9
	s_mul_i32 s70, s19, 10
	s_mul_i32 s71, s19, 11
	s_mul_i32 s72, s19, 12
	s_mul_i32 s73, s19, 13
	s_mul_i32 s74, s19, 14
	s_mul_i32 s75, s19, 15
	s_lshl_b32 s76, s19, 4
	v_mov_b32_e32 v96, s10
	s_mul_i32 s77, s19, 17
	v_mov_b32_e32 v98, s53
	v_mov_b32_e32 v12, 0
	;; [unrolled: 1-line block ×17, first 2 shown]
	s_mul_i32 s53, s19, 18
	s_mul_i32 s78, s19, 19
	;; [unrolled: 1-line block ×14, first 2 shown]
	s_lshl_b32 s91, s19, 5
	s_mul_i32 s92, s19, 33
	s_mul_i32 s93, s19, 34
	;; [unrolled: 1-line block ×31, first 2 shown]
	s_mov_b64 s[18:19], 0
	s_branch .LBB121_33
.LBB121_32:                             ;   in Loop: Header=BB121_33 Depth=1
	s_waitcnt vmcnt(0)
	v_cvt_f16_f32_e32 v84, v84
	v_cvt_f16_f32_e32 v85, v85
	v_add_u32_e32 v86, 0xc00, v93
	ds_write2_b32 v86, v97, v97 offset0:172 offset1:238
	v_add_co_u32_e32 v18, vcc, 0x800, v18
	v_pack_b32_f16 v84, v84, v85
	ds_write2_b32 v86, v84, v97 offset0:40 offset1:106
	ds_read2_b64 v[84:87], v94 offset0:8 offset1:12
	v_add_u32_e32 v91, 0x200, v91
	v_addc_co_u32_e32 v19, vcc, 0, v19, vcc
	s_waitcnt lgkmcnt(0)
	v_mfma_f32_16x16x16f16 v[8:11], v[36:37], v[84:85], v[8:11]
	v_cmp_le_i32_e32 vcc, s16, v91
	v_add_u32_e32 v95, 0x400, v95
	s_or_b64 s[18:19], vcc, s[18:19]
	v_mfma_f32_16x16x16f16 v[4:7], v[52:53], v[84:85], v[4:7]
	v_mfma_f32_16x16x16f16 v[0:3], v[66:67], v[84:85], v[0:3]
	;; [unrolled: 1-line block ×5, first 2 shown]
	ds_read2_b64 v[50:53], v94 offset0:16 offset1:20
	v_mfma_f32_16x16x16f16 v[0:3], v[64:65], v[86:87], v[0:3]
	v_mfma_f32_16x16x16f16 v[12:15], v[80:81], v[86:87], v[12:15]
	s_waitcnt lgkmcnt(0)
	v_mfma_f32_16x16x16f16 v[8:11], v[30:31], v[50:51], v[8:11]
	v_mfma_f32_16x16x16f16 v[4:7], v[46:47], v[50:51], v[4:7]
	;; [unrolled: 1-line block ×5, first 2 shown]
	ds_read2_b64 v[28:31], v94 offset0:24 offset1:28
	v_mfma_f32_16x16x16f16 v[4:7], v[44:45], v[52:53], v[4:7]
	v_mfma_f32_16x16x16f16 v[0:3], v[60:61], v[52:53], v[0:3]
	;; [unrolled: 1-line block ×3, first 2 shown]
	s_waitcnt lgkmcnt(0)
	v_mfma_f32_16x16x16f16 v[8:11], v[26:27], v[28:29], v[8:11]
	v_mfma_f32_16x16x16f16 v[4:7], v[42:43], v[28:29], v[4:7]
	;; [unrolled: 1-line block ×5, first 2 shown]
	ds_read2_b64 v[24:27], v94 offset0:32 offset1:36
	v_mfma_f32_16x16x16f16 v[4:7], v[40:41], v[30:31], v[4:7]
	v_mfma_f32_16x16x16f16 v[0:3], v[56:57], v[30:31], v[0:3]
	;; [unrolled: 1-line block ×3, first 2 shown]
	s_waitcnt lgkmcnt(0)
	v_mfma_f32_16x16x16f16 v[8:11], v[22:23], v[24:25], v[8:11]
	v_mfma_f32_16x16x16f16 v[4:7], v[38:39], v[24:25], v[4:7]
	;; [unrolled: 1-line block ×8, first 2 shown]
	s_andn2_b64 exec, exec, s[18:19]
	s_cbranch_execz .LBB121_72
.LBB121_33:                             ; =>This Inner Loop Header: Depth=1
	v_add_co_u32_e32 v20, vcc, s52, v18
	v_addc_co_u32_e32 v21, vcc, v19, v98, vcc
	global_load_dword v32, v[18:19], off
	global_load_dword v33, v[20:21], off
	v_add_u32_e32 v20, s62, v91
	v_ashrrev_i32_e32 v21, 31, v20
	v_lshlrev_b64 v[20:21], 2, v[20:21]
	v_add_co_u32_e32 v20, vcc, s24, v20
	v_addc_co_u32_e32 v21, vcc, v96, v21, vcc
	v_readlane_b32 vcc_lo, v103, 27
	v_add_u32_e32 v22, vcc_lo, v91
	v_ashrrev_i32_e32 v23, 31, v22
	v_lshlrev_b64 v[22:23], 2, v[22:23]
	v_add_u32_e32 v24, s64, v91
	v_add_co_u32_e32 v22, vcc, s24, v22
	v_ashrrev_i32_e32 v25, 31, v24
	v_addc_co_u32_e32 v23, vcc, v96, v23, vcc
	v_lshlrev_b64 v[24:25], 2, v[24:25]
	v_add_co_u32_e32 v24, vcc, s24, v24
	v_addc_co_u32_e32 v25, vcc, v96, v25, vcc
	v_readlane_b32 vcc_lo, v103, 28
	v_add_u32_e32 v26, vcc_lo, v91
	v_ashrrev_i32_e32 v27, 31, v26
	v_lshlrev_b64 v[26:27], 2, v[26:27]
	v_add_co_u32_e32 v26, vcc, s24, v26
	v_addc_co_u32_e32 v27, vcc, v96, v27, vcc
	v_readlane_b32 vcc_lo, v103, 29
	v_add_u32_e32 v28, vcc_lo, v91
	v_ashrrev_i32_e32 v29, 31, v28
	v_lshlrev_b64 v[28:29], 2, v[28:29]
	v_add_u32_e32 v30, s67, v91
	v_add_co_u32_e32 v28, vcc, s24, v28
	v_ashrrev_i32_e32 v31, 31, v30
	v_addc_co_u32_e32 v29, vcc, v96, v29, vcc
	v_lshlrev_b64 v[30:31], 2, v[30:31]
	v_add_co_u32_e32 v30, vcc, s24, v30
	v_addc_co_u32_e32 v31, vcc, v96, v31, vcc
	global_load_dword v34, v[20:21], off
	global_load_dword v35, v[22:23], off
	;; [unrolled: 1-line block ×3, first 2 shown]
	s_nop 0
	global_load_dword v26, v[26:27], off
	s_nop 0
	global_load_dword v27, v[28:29], off
	;; [unrolled: 2-line block ×3, first 2 shown]
	v_add_u32_e32 v20, s68, v91
	v_ashrrev_i32_e32 v21, 31, v20
	v_add_u32_e32 v22, s69, v91
	v_lshlrev_b64 v[20:21], 2, v[20:21]
	v_ashrrev_i32_e32 v23, 31, v22
	v_add_co_u32_e32 v20, vcc, s24, v20
	v_add_u32_e32 v24, s70, v91
	v_lshlrev_b64 v[22:23], 2, v[22:23]
	v_addc_co_u32_e32 v21, vcc, v96, v21, vcc
	v_ashrrev_i32_e32 v25, 31, v24
	v_add_co_u32_e32 v22, vcc, s24, v22
	v_lshlrev_b64 v[24:25], 2, v[24:25]
	v_addc_co_u32_e32 v23, vcc, v96, v23, vcc
	global_load_dword v20, v[20:21], off
	s_nop 0
	global_load_dword v21, v[22:23], off
	v_add_u32_e32 v22, s71, v91
	v_add_co_u32_e32 v24, vcc, s24, v24
	v_ashrrev_i32_e32 v23, 31, v22
	v_addc_co_u32_e32 v25, vcc, v96, v25, vcc
	v_lshlrev_b64 v[22:23], 2, v[22:23]
	v_add_u32_e32 v60, s56, v91
	v_ashrrev_i32_e32 v61, 31, v60
	v_lshlrev_b64 v[60:61], 2, v[60:61]
	s_waitcnt vmcnt(9)
	ds_write_b32 v93, v32 offset:64
	s_waitcnt vmcnt(8)
	ds_write_b32 v93, v33 offset:328
	;; [unrolled: 2-line block ×8, first 2 shown]
	v_add_co_u32_e32 v26, vcc, s24, v22
	v_add_u32_e32 v22, s72, v91
	v_addc_co_u32_e32 v27, vcc, v96, v23, vcc
	v_ashrrev_i32_e32 v23, 31, v22
	v_lshlrev_b64 v[22:23], 2, v[22:23]
	v_add_co_u32_e32 v28, vcc, s24, v22
	v_add_u32_e32 v22, s73, v91
	v_addc_co_u32_e32 v29, vcc, v96, v23, vcc
	v_ashrrev_i32_e32 v23, 31, v22
	v_lshlrev_b64 v[22:23], 2, v[22:23]
	;; [unrolled: 5-line block ×6, first 2 shown]
	v_add_co_u32_e32 v38, vcc, s24, v22
	v_addc_co_u32_e32 v39, vcc, v96, v23, vcc
	global_load_dword v22, v[24:25], off
	global_load_dword v23, v[26:27], off
	s_nop 0
	global_load_dword v24, v[28:29], off
	global_load_dword v25, v[30:31], off
	global_load_dword v26, v[32:33], off
	global_load_dword v27, v[34:35], off
	s_nop 0
	global_load_dword v34, v[36:37], off
	global_load_dword v35, v[38:39], off
	v_add_u32_e32 v28, s53, v91
	v_ashrrev_i32_e32 v29, 31, v28
	v_lshlrev_b64 v[28:29], 2, v[28:29]
	v_add_u32_e32 v30, s78, v91
	v_add_co_u32_e32 v28, vcc, s24, v28
	v_ashrrev_i32_e32 v31, 31, v30
	v_addc_co_u32_e32 v29, vcc, v96, v29, vcc
	v_lshlrev_b64 v[30:31], 2, v[30:31]
	v_add_u32_e32 v32, s79, v91
	v_add_co_u32_e32 v30, vcc, s24, v30
	v_ashrrev_i32_e32 v33, 31, v32
	v_addc_co_u32_e32 v31, vcc, v96, v31, vcc
	;; [unrolled: 5-line block ×4, first 2 shown]
	v_lshlrev_b64 v[38:39], 2, v[38:39]
	v_add_co_u32_e32 v42, vcc, s24, v38
	v_add_u32_e32 v38, s82, v91
	v_addc_co_u32_e32 v43, vcc, v96, v39, vcc
	v_ashrrev_i32_e32 v39, 31, v38
	v_lshlrev_b64 v[38:39], 2, v[38:39]
	v_add_co_u32_e32 v44, vcc, s24, v38
	v_add_u32_e32 v38, s83, v91
	v_addc_co_u32_e32 v45, vcc, v96, v39, vcc
	v_ashrrev_i32_e32 v39, 31, v38
	;; [unrolled: 5-line block ×3, first 2 shown]
	v_lshlrev_b64 v[38:39], 2, v[38:39]
	v_add_co_u32_e32 v48, vcc, s24, v38
	v_addc_co_u32_e32 v49, vcc, v96, v39, vcc
	global_load_dword v38, v[28:29], off
	global_load_dword v39, v[30:31], off
	;; [unrolled: 1-line block ×4, first 2 shown]
	s_nop 0
	global_load_dword v42, v[42:43], off
	s_nop 0
	global_load_dword v43, v[44:45], off
	;; [unrolled: 2-line block ×3, first 2 shown]
	global_load_dword v45, v[48:49], off
	v_add_u32_e32 v28, s85, v91
	v_ashrrev_i32_e32 v29, 31, v28
	v_lshlrev_b64 v[28:29], 2, v[28:29]
	v_add_u32_e32 v30, s86, v91
	v_add_co_u32_e32 v28, vcc, s24, v28
	v_ashrrev_i32_e32 v31, 31, v30
	v_addc_co_u32_e32 v29, vcc, v96, v29, vcc
	v_lshlrev_b64 v[30:31], 2, v[30:31]
	v_add_u32_e32 v32, s87, v91
	v_add_co_u32_e32 v30, vcc, s24, v30
	v_ashrrev_i32_e32 v33, 31, v32
	v_addc_co_u32_e32 v31, vcc, v96, v31, vcc
	;; [unrolled: 5-line block ×4, first 2 shown]
	v_lshlrev_b64 v[46:47], 2, v[46:47]
	v_add_co_u32_e32 v48, vcc, s24, v46
	v_add_u32_e32 v46, s90, v91
	v_addc_co_u32_e32 v49, vcc, v96, v47, vcc
	v_ashrrev_i32_e32 v47, 31, v46
	v_lshlrev_b64 v[46:47], 2, v[46:47]
	v_add_co_u32_e32 v54, vcc, s24, v46
	v_add_u32_e32 v46, s91, v91
	v_addc_co_u32_e32 v55, vcc, v96, v47, vcc
	v_ashrrev_i32_e32 v47, 31, v46
	;; [unrolled: 5-line block ×3, first 2 shown]
	v_lshlrev_b64 v[46:47], 2, v[46:47]
	v_add_co_u32_e32 v58, vcc, s24, v46
	v_addc_co_u32_e32 v59, vcc, v96, v47, vcc
	global_load_dword v46, v[28:29], off
	global_load_dword v47, v[30:31], off
	;; [unrolled: 1-line block ×6, first 2 shown]
	s_nop 0
	global_load_dword v48, v[56:57], off
	global_load_dword v49, v[58:59], off
	v_add_u32_e32 v28, s93, v91
	v_ashrrev_i32_e32 v29, 31, v28
	v_lshlrev_b64 v[28:29], 2, v[28:29]
	v_add_u32_e32 v30, s94, v91
	v_add_co_u32_e32 v28, vcc, s24, v28
	v_ashrrev_i32_e32 v31, 31, v30
	v_addc_co_u32_e32 v29, vcc, v96, v29, vcc
	v_lshlrev_b64 v[30:31], 2, v[30:31]
	v_add_u32_e32 v32, s95, v91
	v_add_co_u32_e32 v30, vcc, s24, v30
	v_ashrrev_i32_e32 v33, 31, v32
	v_addc_co_u32_e32 v31, vcc, v96, v31, vcc
	;; [unrolled: 5-line block ×6, first 2 shown]
	v_lshlrev_b64 v[58:59], 2, v[58:59]
	v_add_co_u32_e32 v58, vcc, s24, v58
	v_addc_co_u32_e32 v59, vcc, v96, v59, vcc
	v_add_co_u32_e32 v60, vcc, s24, v60
	v_addc_co_u32_e32 v61, vcc, v96, v61, vcc
	global_load_dword v62, v[28:29], off
	global_load_dword v63, v[30:31], off
	;; [unrolled: 1-line block ×8, first 2 shown]
	v_add_u32_e32 v28, s58, v91
	v_ashrrev_i32_e32 v29, 31, v28
	v_lshlrev_b64 v[28:29], 2, v[28:29]
	v_add_u32_e32 v30, s17, v91
	v_add_co_u32_e32 v28, vcc, s24, v28
	v_ashrrev_i32_e32 v31, 31, v30
	v_addc_co_u32_e32 v29, vcc, v96, v29, vcc
	v_lshlrev_b64 v[30:31], 2, v[30:31]
	v_add_u32_e32 v32, s28, v91
	v_add_co_u32_e32 v30, vcc, s24, v30
	v_ashrrev_i32_e32 v33, 31, v32
	v_addc_co_u32_e32 v31, vcc, v96, v31, vcc
	;; [unrolled: 5-line block ×7, first 2 shown]
	v_lshlrev_b64 v[60:61], 2, v[60:61]
	v_add_co_u32_e32 v60, vcc, s24, v60
	v_addc_co_u32_e32 v61, vcc, v96, v61, vcc
	global_load_dword v70, v[28:29], off
	global_load_dword v71, v[30:31], off
	;; [unrolled: 1-line block ×8, first 2 shown]
	v_add_u32_e32 v28, s5, v91
	v_ashrrev_i32_e32 v29, 31, v28
	v_lshlrev_b64 v[28:29], 2, v[28:29]
	v_add_u32_e32 v30, s2, v91
	v_add_co_u32_e32 v28, vcc, s24, v28
	v_ashrrev_i32_e32 v31, 31, v30
	v_addc_co_u32_e32 v29, vcc, v96, v29, vcc
	v_lshlrev_b64 v[30:31], 2, v[30:31]
	v_add_u32_e32 v32, s3, v91
	v_add_co_u32_e32 v30, vcc, s24, v30
	v_ashrrev_i32_e32 v33, 31, v32
	v_addc_co_u32_e32 v31, vcc, v96, v31, vcc
	;; [unrolled: 5-line block ×7, first 2 shown]
	v_lshlrev_b64 v[60:61], 2, v[60:61]
	v_add_co_u32_e32 v60, vcc, s24, v60
	v_addc_co_u32_e32 v61, vcc, v96, v61, vcc
	global_load_dword v78, v[28:29], off
	global_load_dword v79, v[30:31], off
	;; [unrolled: 1-line block ×8, first 2 shown]
	v_add_u32_e32 v28, s20, v91
	v_ashrrev_i32_e32 v29, 31, v28
	v_lshlrev_b64 v[28:29], 2, v[28:29]
	v_add_u32_e32 v30, s9, v91
	v_add_co_u32_e32 v28, vcc, s24, v28
	v_ashrrev_i32_e32 v31, 31, v30
	v_addc_co_u32_e32 v29, vcc, v96, v29, vcc
	v_lshlrev_b64 v[30:31], 2, v[30:31]
	v_add_u32_e32 v32, s8, v91
	v_add_co_u32_e32 v30, vcc, s24, v30
	v_ashrrev_i32_e32 v33, 31, v32
	v_addc_co_u32_e32 v31, vcc, v96, v31, vcc
	;; [unrolled: 5-line block ×5, first 2 shown]
	v_lshlrev_b64 v[56:57], 2, v[56:57]
	v_add_co_u32_e32 v56, vcc, s24, v56
	v_addc_co_u32_e32 v57, vcc, v96, v57, vcc
	global_load_dword v86, v[28:29], off
	global_load_dword v87, v[30:31], off
	;; [unrolled: 1-line block ×6, first 2 shown]
	s_waitcnt vmcnt(55)
	ds_write_b32 v93, v20 offset:2176
	s_waitcnt vmcnt(54)
	ds_write_b32 v93, v21 offset:2440
	s_waitcnt vmcnt(53)
	ds_write_b32 v93, v22 offset:2704
	s_waitcnt vmcnt(52)
	ds_write_b32 v93, v23 offset:2968
	s_waitcnt vmcnt(51)
	ds_write_b32 v93, v24 offset:3232
	s_waitcnt vmcnt(50)
	ds_write_b32 v93, v25 offset:3496
	s_waitcnt vmcnt(49)
	ds_write_b32 v93, v26 offset:3760
	s_waitcnt vmcnt(48)
	ds_write_b32 v93, v27 offset:4024
	ds_read_b64 v[36:37], v94 offset:64
	ds_read_b64 v[32:33], v94 offset:96
	ds_read_b64 v[30:31], v94 offset:128
	ds_read_b64 v[28:29], v94 offset:160
	ds_read_b64 v[26:27], v94 offset:192
	ds_read_b64 v[24:25], v94 offset:224
	ds_read_b64 v[22:23], v94 offset:256
	ds_read_b64 v[20:21], v94 offset:288
	s_waitcnt vmcnt(47)
	ds_write_b32 v93, v34 offset:64
	s_waitcnt vmcnt(46)
	ds_write_b32 v93, v35 offset:328
	s_waitcnt vmcnt(45)
	ds_write_b32 v93, v38 offset:592
	s_waitcnt vmcnt(44)
	ds_write_b32 v93, v39 offset:856
	s_waitcnt vmcnt(43)
	ds_write_b32 v93, v40 offset:1120
	s_waitcnt vmcnt(42)
	ds_write_b32 v93, v41 offset:1384
	s_waitcnt vmcnt(41)
	ds_write_b32 v93, v42 offset:1648
	s_waitcnt vmcnt(40)
	ds_write_b32 v93, v43 offset:1912
	s_waitcnt vmcnt(39)
	ds_write_b32 v93, v44 offset:2176
	s_waitcnt vmcnt(38)
	ds_write_b32 v93, v45 offset:2440
	s_waitcnt vmcnt(37)
	ds_write_b32 v93, v46 offset:2704
	s_waitcnt vmcnt(36)
	ds_write_b32 v93, v47 offset:2968
	s_waitcnt vmcnt(35)
	ds_write_b32 v93, v50 offset:3232
	s_waitcnt vmcnt(34)
	ds_write_b32 v93, v51 offset:3496
	s_waitcnt vmcnt(33)
	ds_write_b32 v93, v52 offset:3760
	s_waitcnt vmcnt(32)
	ds_write_b32 v93, v53 offset:4024
	ds_read_b64 v[52:53], v94 offset:64
	ds_read_b64 v[50:51], v94 offset:96
	ds_read_b64 v[46:47], v94 offset:128
	ds_read_b64 v[44:45], v94 offset:160
	ds_read_b64 v[42:43], v94 offset:192
	ds_read_b64 v[40:41], v94 offset:224
	ds_read_b64 v[38:39], v94 offset:256
	ds_read_b64 v[34:35], v94 offset:288
	s_waitcnt vmcnt(31)
	ds_write_b32 v93, v48 offset:64
	s_waitcnt vmcnt(30)
	ds_write_b32 v93, v49 offset:328
	s_waitcnt vmcnt(29)
	ds_write_b32 v93, v62 offset:592
	s_waitcnt vmcnt(28)
	ds_write_b32 v93, v63 offset:856
	s_waitcnt vmcnt(27)
	ds_write_b32 v93, v64 offset:1120
	s_waitcnt vmcnt(26)
	ds_write_b32 v93, v65 offset:1384
	s_waitcnt vmcnt(25)
	ds_write_b32 v93, v66 offset:1648
	s_waitcnt vmcnt(24)
	ds_write_b32 v93, v67 offset:1912
	;; [unrolled: 40-line block ×3, first 2 shown]
	s_waitcnt vmcnt(7)
	ds_write_b32 v93, v84 offset:2176
	s_waitcnt vmcnt(6)
	ds_write_b32 v93, v85 offset:2440
	;; [unrolled: 2-line block ×8, first 2 shown]
	ds_read_b64 v[82:83], v94 offset:64
	ds_read_b64 v[80:81], v94 offset:96
	;; [unrolled: 1-line block ×8, first 2 shown]
	s_andn2_b64 vcc, exec, s[6:7]
	v_mov_b32_e32 v84, 0
	v_mov_b32_e32 v85, 0
	s_cbranch_vccnz .LBB121_36
; %bb.34:                               ;   in Loop: Header=BB121_33 Depth=1
	ds_read_b32 v86, v92
	v_mov_b32_e32 v85, 0
	v_mov_b32_e32 v84, 0
	s_waitcnt lgkmcnt(0)
	v_cmp_gt_i32_e32 vcc, 0, v86
	s_cbranch_vccnz .LBB121_36
; %bb.35:                               ;   in Loop: Header=BB121_33 Depth=1
	v_mul_lo_u32 v84, v86, s25
	v_add_u32_e32 v84, v95, v84
	v_ashrrev_i32_e32 v85, 31, v84
	v_lshlrev_b64 v[84:85], 2, v[84:85]
	v_mov_b32_e32 v86, s33
	v_add_co_u32_e32 v84, vcc, s27, v84
	v_addc_co_u32_e32 v85, vcc, v86, v85, vcc
	global_load_dwordx2 v[84:85], v[84:85], off
.LBB121_36:                             ;   in Loop: Header=BB121_33 Depth=1
	s_waitcnt vmcnt(0)
	v_cvt_f16_f32_e32 v84, v84
	v_cvt_f16_f32_e32 v85, v85
	s_andn2_b64 vcc, exec, s[12:13]
	v_mov_b32_e32 v86, 0
	v_mov_b32_e32 v87, 0
	v_pack_b32_f16 v84, v84, v85
	ds_write_b32 v93, v84 offset:64
	v_mov_b32_e32 v84, 0
	s_cbranch_vccnz .LBB121_39
; %bb.37:                               ;   in Loop: Header=BB121_33 Depth=1
	ds_read_b32 v85, v92 offset:4
	v_mov_b32_e32 v87, 0
	v_mov_b32_e32 v86, 0
	s_waitcnt lgkmcnt(0)
	v_cmp_gt_i32_e32 vcc, 0, v85
	s_cbranch_vccnz .LBB121_39
; %bb.38:                               ;   in Loop: Header=BB121_33 Depth=1
	v_mul_lo_u32 v85, v85, s25
	v_readlane_b32 vcc_lo, v103, 26
	v_add_u32_e32 v85, vcc_lo, v85
	v_add_u32_e32 v86, v85, v95
	v_ashrrev_i32_e32 v87, 31, v86
	v_lshlrev_b64 v[86:87], 2, v[86:87]
	v_mov_b32_e32 v85, s33
	v_add_co_u32_e32 v86, vcc, s27, v86
	v_addc_co_u32_e32 v87, vcc, v85, v87, vcc
	global_load_dwordx2 v[86:87], v[86:87], off
.LBB121_39:                             ;   in Loop: Header=BB121_33 Depth=1
	s_waitcnt vmcnt(0)
	v_cvt_f16_f32_e32 v85, v86
	v_cvt_f16_f32_e32 v86, v87
	s_andn2_b64 vcc, exec, s[22:23]
	v_pack_b32_f16 v85, v85, v86
	ds_write_b32 v93, v85 offset:328
	v_mov_b32_e32 v85, 0
	s_cbranch_vccnz .LBB121_42
; %bb.40:                               ;   in Loop: Header=BB121_33 Depth=1
	ds_read_b32 v86, v92 offset:8
	v_mov_b32_e32 v85, 0
	v_mov_b32_e32 v84, 0
	s_waitcnt lgkmcnt(0)
	v_cmp_gt_i32_e32 vcc, 0, v86
	s_cbranch_vccnz .LBB121_42
; %bb.41:                               ;   in Loop: Header=BB121_33 Depth=1
	v_mul_lo_u32 v84, v86, s25
	v_readlane_b32 vcc_lo, v103, 14
	v_add_u32_e32 v84, vcc_lo, v84
	v_add_u32_e32 v84, v84, v95
	v_ashrrev_i32_e32 v85, 31, v84
	v_lshlrev_b64 v[84:85], 2, v[84:85]
	v_mov_b32_e32 v86, s33
	v_add_co_u32_e32 v84, vcc, s27, v84
	v_addc_co_u32_e32 v85, vcc, v86, v85, vcc
	global_load_dwordx2 v[84:85], v[84:85], off
.LBB121_42:                             ;   in Loop: Header=BB121_33 Depth=1
	s_waitcnt vmcnt(0)
	v_cvt_f16_f32_e32 v84, v84
	v_cvt_f16_f32_e32 v85, v85
	s_andn2_b64 vcc, exec, s[30:31]
	v_mov_b32_e32 v86, 0
	v_mov_b32_e32 v87, 0
	v_pack_b32_f16 v84, v84, v85
	ds_write_b32 v93, v84 offset:592
	v_mov_b32_e32 v84, 0
	s_cbranch_vccnz .LBB121_45
; %bb.43:                               ;   in Loop: Header=BB121_33 Depth=1
	ds_read_b32 v85, v92 offset:12
	v_mov_b32_e32 v87, 0
	v_mov_b32_e32 v86, 0
	s_waitcnt lgkmcnt(0)
	v_cmp_gt_i32_e32 vcc, 0, v85
	s_cbranch_vccnz .LBB121_45
; %bb.44:                               ;   in Loop: Header=BB121_33 Depth=1
	v_mul_lo_u32 v85, v85, s25
	v_readlane_b32 vcc_lo, v103, 16
	v_add_u32_e32 v85, vcc_lo, v85
	v_add_u32_e32 v86, v85, v95
	v_ashrrev_i32_e32 v87, 31, v86
	v_lshlrev_b64 v[86:87], 2, v[86:87]
	v_mov_b32_e32 v85, s33
	v_add_co_u32_e32 v86, vcc, s27, v86
	v_addc_co_u32_e32 v87, vcc, v85, v87, vcc
	global_load_dwordx2 v[86:87], v[86:87], off
.LBB121_45:                             ;   in Loop: Header=BB121_33 Depth=1
	s_waitcnt vmcnt(0)
	v_cvt_f16_f32_e32 v85, v86
	v_cvt_f16_f32_e32 v86, v87
	s_andn2_b64 vcc, exec, s[34:35]
	v_pack_b32_f16 v85, v85, v86
	ds_write_b32 v93, v85 offset:856
	v_mov_b32_e32 v85, 0
	s_cbranch_vccnz .LBB121_48
; %bb.46:                               ;   in Loop: Header=BB121_33 Depth=1
	ds_read_b32 v86, v92 offset:16
	v_mov_b32_e32 v85, 0
	v_mov_b32_e32 v84, 0
	s_waitcnt lgkmcnt(0)
	v_cmp_gt_i32_e32 vcc, 0, v86
	s_cbranch_vccnz .LBB121_48
; %bb.47:                               ;   in Loop: Header=BB121_33 Depth=1
	v_mul_lo_u32 v84, v86, s25
	v_readlane_b32 vcc_lo, v103, 15
	v_add_u32_e32 v84, vcc_lo, v84
	v_add_u32_e32 v84, v84, v95
	v_ashrrev_i32_e32 v85, 31, v84
	v_lshlrev_b64 v[84:85], 2, v[84:85]
	v_mov_b32_e32 v86, s33
	v_add_co_u32_e32 v84, vcc, s27, v84
	v_addc_co_u32_e32 v85, vcc, v86, v85, vcc
	global_load_dwordx2 v[84:85], v[84:85], off
.LBB121_48:                             ;   in Loop: Header=BB121_33 Depth=1
	s_waitcnt vmcnt(0)
	v_cvt_f16_f32_e32 v84, v84
	v_cvt_f16_f32_e32 v85, v85
	s_andn2_b64 vcc, exec, s[36:37]
	v_mov_b32_e32 v86, 0
	v_mov_b32_e32 v87, 0
	v_pack_b32_f16 v84, v84, v85
	ds_write_b32 v93, v84 offset:1120
	v_mov_b32_e32 v84, 0
	s_cbranch_vccnz .LBB121_51
; %bb.49:                               ;   in Loop: Header=BB121_33 Depth=1
	ds_read_b32 v85, v92 offset:20
	v_mov_b32_e32 v87, 0
	v_mov_b32_e32 v86, 0
	s_waitcnt lgkmcnt(0)
	v_cmp_gt_i32_e32 vcc, 0, v85
	s_cbranch_vccnz .LBB121_51
; %bb.50:                               ;   in Loop: Header=BB121_33 Depth=1
	v_mul_lo_u32 v85, v85, s25
	v_readlane_b32 vcc_lo, v103, 18
	v_add_u32_e32 v85, vcc_lo, v85
	v_add_u32_e32 v86, v85, v95
	v_ashrrev_i32_e32 v87, 31, v86
	v_lshlrev_b64 v[86:87], 2, v[86:87]
	v_mov_b32_e32 v85, s33
	v_add_co_u32_e32 v86, vcc, s27, v86
	v_addc_co_u32_e32 v87, vcc, v85, v87, vcc
	global_load_dwordx2 v[86:87], v[86:87], off
.LBB121_51:                             ;   in Loop: Header=BB121_33 Depth=1
	s_waitcnt vmcnt(0)
	v_cvt_f16_f32_e32 v85, v86
	v_cvt_f16_f32_e32 v86, v87
	s_andn2_b64 vcc, exec, s[38:39]
	v_pack_b32_f16 v85, v85, v86
	ds_write_b32 v93, v85 offset:1384
	v_mov_b32_e32 v85, 0
	s_cbranch_vccnz .LBB121_54
; %bb.52:                               ;   in Loop: Header=BB121_33 Depth=1
	ds_read_b32 v86, v92 offset:24
	v_mov_b32_e32 v85, 0
	v_mov_b32_e32 v84, 0
	s_waitcnt lgkmcnt(0)
	v_cmp_gt_i32_e32 vcc, 0, v86
	s_cbranch_vccnz .LBB121_54
; %bb.53:                               ;   in Loop: Header=BB121_33 Depth=1
	v_mul_lo_u32 v84, v86, s25
	v_readlane_b32 vcc_lo, v103, 20
	v_add_u32_e32 v84, vcc_lo, v84
	v_add_u32_e32 v84, v84, v95
	v_ashrrev_i32_e32 v85, 31, v84
	v_lshlrev_b64 v[84:85], 2, v[84:85]
	v_mov_b32_e32 v86, s33
	v_add_co_u32_e32 v84, vcc, s27, v84
	v_addc_co_u32_e32 v85, vcc, v86, v85, vcc
	global_load_dwordx2 v[84:85], v[84:85], off
.LBB121_54:                             ;   in Loop: Header=BB121_33 Depth=1
	s_waitcnt vmcnt(0)
	v_cvt_f16_f32_e32 v84, v84
	v_cvt_f16_f32_e32 v85, v85
	s_andn2_b64 vcc, exec, s[40:41]
	v_mov_b32_e32 v86, 0
	v_mov_b32_e32 v87, 0
	v_pack_b32_f16 v84, v84, v85
	ds_write_b32 v93, v84 offset:1648
	v_mov_b32_e32 v84, 0
	s_cbranch_vccnz .LBB121_57
; %bb.55:                               ;   in Loop: Header=BB121_33 Depth=1
	ds_read_b32 v85, v92 offset:28
	v_mov_b32_e32 v87, 0
	v_mov_b32_e32 v86, 0
	s_waitcnt lgkmcnt(0)
	v_cmp_gt_i32_e32 vcc, 0, v85
	s_cbranch_vccnz .LBB121_57
; %bb.56:                               ;   in Loop: Header=BB121_33 Depth=1
	v_mul_lo_u32 v85, v85, s25
	v_readlane_b32 vcc_lo, v103, 25
	v_add_u32_e32 v85, vcc_lo, v85
	v_add_u32_e32 v86, v85, v95
	v_ashrrev_i32_e32 v87, 31, v86
	v_lshlrev_b64 v[86:87], 2, v[86:87]
	v_mov_b32_e32 v85, s33
	v_add_co_u32_e32 v86, vcc, s27, v86
	v_addc_co_u32_e32 v87, vcc, v85, v87, vcc
	global_load_dwordx2 v[86:87], v[86:87], off
.LBB121_57:                             ;   in Loop: Header=BB121_33 Depth=1
	s_waitcnt vmcnt(0)
	v_cvt_f16_f32_e32 v85, v86
	v_cvt_f16_f32_e32 v86, v87
	s_andn2_b64 vcc, exec, s[42:43]
	v_pack_b32_f16 v85, v85, v86
	ds_write_b32 v93, v85 offset:1912
	v_mov_b32_e32 v85, 0
	s_cbranch_vccnz .LBB121_60
; %bb.58:                               ;   in Loop: Header=BB121_33 Depth=1
	ds_read_b32 v86, v92 offset:32
	v_mov_b32_e32 v85, 0
	v_mov_b32_e32 v84, 0
	s_waitcnt lgkmcnt(0)
	v_cmp_gt_i32_e32 vcc, 0, v86
	s_cbranch_vccnz .LBB121_60
; %bb.59:                               ;   in Loop: Header=BB121_33 Depth=1
	v_mul_lo_u32 v84, v86, s25
	v_readlane_b32 vcc_lo, v103, 17
	v_add_u32_e32 v84, vcc_lo, v84
	v_add_u32_e32 v84, v84, v95
	v_ashrrev_i32_e32 v85, 31, v84
	v_lshlrev_b64 v[84:85], 2, v[84:85]
	v_mov_b32_e32 v86, s33
	v_add_co_u32_e32 v84, vcc, s27, v84
	v_addc_co_u32_e32 v85, vcc, v86, v85, vcc
	global_load_dwordx2 v[84:85], v[84:85], off
.LBB121_60:                             ;   in Loop: Header=BB121_33 Depth=1
	s_waitcnt vmcnt(0)
	v_cvt_f16_f32_e32 v84, v84
	v_cvt_f16_f32_e32 v85, v85
	s_andn2_b64 vcc, exec, s[44:45]
	v_mov_b32_e32 v86, 0
	v_mov_b32_e32 v87, 0
	v_pack_b32_f16 v84, v84, v85
	ds_write_b32 v93, v84 offset:2176
	v_mov_b32_e32 v84, 0
	s_cbranch_vccnz .LBB121_63
; %bb.61:                               ;   in Loop: Header=BB121_33 Depth=1
	ds_read_b32 v85, v92 offset:36
	v_mov_b32_e32 v87, 0
	v_mov_b32_e32 v86, 0
	s_waitcnt lgkmcnt(0)
	v_cmp_gt_i32_e32 vcc, 0, v85
	s_cbranch_vccnz .LBB121_63
; %bb.62:                               ;   in Loop: Header=BB121_33 Depth=1
	v_mul_lo_u32 v85, v85, s25
	v_readlane_b32 vcc_lo, v103, 24
	v_add_u32_e32 v85, vcc_lo, v85
	v_add_u32_e32 v86, v85, v95
	v_ashrrev_i32_e32 v87, 31, v86
	v_lshlrev_b64 v[86:87], 2, v[86:87]
	v_mov_b32_e32 v85, s33
	v_add_co_u32_e32 v86, vcc, s27, v86
	v_addc_co_u32_e32 v87, vcc, v85, v87, vcc
	global_load_dwordx2 v[86:87], v[86:87], off
.LBB121_63:                             ;   in Loop: Header=BB121_33 Depth=1
	s_waitcnt vmcnt(0)
	v_cvt_f16_f32_e32 v85, v86
	v_cvt_f16_f32_e32 v86, v87
	s_andn2_b64 vcc, exec, s[46:47]
	v_pack_b32_f16 v85, v85, v86
	ds_write_b32 v93, v85 offset:2440
	v_mov_b32_e32 v85, 0
	s_cbranch_vccnz .LBB121_66
; %bb.64:                               ;   in Loop: Header=BB121_33 Depth=1
	ds_read_b32 v86, v92 offset:40
	v_mov_b32_e32 v85, 0
	v_mov_b32_e32 v84, 0
	s_waitcnt lgkmcnt(0)
	v_cmp_gt_i32_e32 vcc, 0, v86
	s_cbranch_vccnz .LBB121_66
; %bb.65:                               ;   in Loop: Header=BB121_33 Depth=1
	v_mul_lo_u32 v84, v86, s25
	v_readlane_b32 vcc_lo, v103, 23
	v_add_u32_e32 v84, vcc_lo, v84
	v_add_u32_e32 v84, v84, v95
	v_ashrrev_i32_e32 v85, 31, v84
	v_lshlrev_b64 v[84:85], 2, v[84:85]
	v_mov_b32_e32 v86, s33
	v_add_co_u32_e32 v84, vcc, s27, v84
	v_addc_co_u32_e32 v85, vcc, v86, v85, vcc
	global_load_dwordx2 v[84:85], v[84:85], off
.LBB121_66:                             ;   in Loop: Header=BB121_33 Depth=1
	s_waitcnt vmcnt(0)
	v_cvt_f16_f32_e32 v84, v84
	v_cvt_f16_f32_e32 v85, v85
	s_andn2_b64 vcc, exec, s[48:49]
	v_mov_b32_e32 v86, 0
	v_mov_b32_e32 v87, 0
	v_pack_b32_f16 v84, v84, v85
	ds_write_b32 v93, v84 offset:2704
	v_mov_b32_e32 v84, 0
	s_cbranch_vccnz .LBB121_69
; %bb.67:                               ;   in Loop: Header=BB121_33 Depth=1
	ds_read_b32 v85, v92 offset:44
	v_mov_b32_e32 v87, 0
	v_mov_b32_e32 v86, 0
	s_waitcnt lgkmcnt(0)
	v_cmp_gt_i32_e32 vcc, 0, v85
	s_cbranch_vccnz .LBB121_69
; %bb.68:                               ;   in Loop: Header=BB121_33 Depth=1
	v_mul_lo_u32 v85, v85, s25
	v_readlane_b32 vcc_lo, v103, 22
	v_add_u32_e32 v85, vcc_lo, v85
	v_add_u32_e32 v86, v85, v95
	v_ashrrev_i32_e32 v87, 31, v86
	v_lshlrev_b64 v[86:87], 2, v[86:87]
	v_mov_b32_e32 v85, s33
	v_add_co_u32_e32 v86, vcc, s27, v86
	v_addc_co_u32_e32 v87, vcc, v85, v87, vcc
	global_load_dwordx2 v[86:87], v[86:87], off
.LBB121_69:                             ;   in Loop: Header=BB121_33 Depth=1
	s_waitcnt vmcnt(0)
	v_cvt_f16_f32_e32 v85, v86
	v_cvt_f16_f32_e32 v86, v87
	s_andn2_b64 vcc, exec, s[50:51]
	v_pack_b32_f16 v85, v85, v86
	ds_write_b32 v93, v85 offset:2968
	v_mov_b32_e32 v85, 0
	s_cbranch_vccnz .LBB121_32
; %bb.70:                               ;   in Loop: Header=BB121_33 Depth=1
	ds_read_b32 v86, v92 offset:48
	v_mov_b32_e32 v85, 0
	v_mov_b32_e32 v84, 0
	s_waitcnt lgkmcnt(0)
	v_cmp_gt_i32_e32 vcc, 0, v86
	s_cbranch_vccnz .LBB121_32
; %bb.71:                               ;   in Loop: Header=BB121_33 Depth=1
	v_mul_lo_u32 v84, v86, s25
	v_readlane_b32 vcc_lo, v103, 21
	v_add_u32_e32 v84, vcc_lo, v84
	v_add_u32_e32 v84, v84, v95
	v_ashrrev_i32_e32 v85, 31, v84
	v_lshlrev_b64 v[84:85], 2, v[84:85]
	v_mov_b32_e32 v86, s33
	v_add_co_u32_e32 v84, vcc, s27, v84
	v_addc_co_u32_e32 v85, vcc, v86, v85, vcc
	global_load_dwordx2 v[84:85], v[84:85], off
	s_branch .LBB121_32
.LBB121_72:
	s_or_b64 exec, exec, s[18:19]
	v_readlane_b32 s40, v103, 6
	v_readlane_b32 s44, v103, 10
	;; [unrolled: 1-line block ×9, first 2 shown]
.LBB121_73:
	v_readlane_b32 s0, v103, 4
	v_readlane_b32 s1, v103, 5
	s_or_b64 exec, exec, s[0:1]
	v_mul_u32_u24_e32 v18, 0x808, v90
	s_movk_i32 s1, 0x100
	v_lshlrev_b32_e32 v19, 2, v89
	v_add3_u32 v18, s1, v18, v19
	v_and_b32_e32 v20, 0x3f0, v16
	v_add_u32_e32 v21, v18, v20
	s_barrier
	v_add_u32_e32 v19, 64, v18
	ds_write2_b32 v21, v8, v9 offset0:16 offset1:17
	v_or_b32_e32 v9, 12, v16
	v_add_u32_e32 v8, v19, v20
	v_and_b32_e32 v9, 0x3fc, v9
	ds_write_b32 v8, v10 offset:8
	v_add_u32_e32 v10, v18, v9
	ds_write_b32 v10, v11 offset:64
	ds_write2_b32 v8, v4, v5 offset0:16 offset1:17
	ds_write_b32 v8, v6 offset:72
	v_add_u32_e32 v4, v19, v9
	ds_write_b32 v4, v7 offset:64
	ds_write2_b32 v8, v0, v1 offset0:32 offset1:33
	ds_write_b32 v8, v2 offset:136
	ds_write_b32 v4, v3 offset:128
	ds_write2_b32 v8, v12, v13 offset0:48 offset1:49
	ds_write_b32 v8, v14 offset:200
	ds_write_b32 v4, v15 offset:192
	v_mov_b32_e32 v8, 0x100
	s_movk_i32 s0, 0x808
	v_lshl_add_u32 v9, v16, 2, v8
	v_mad_u32_u24 v0, v17, s0, v9
	s_waitcnt lgkmcnt(0)
	s_barrier
	ds_read2_b32 v[6:7], v0 offset0:16 offset1:80
	ds_read2_b32 v[2:3], v0 offset0:144 offset1:208
	v_add_u32_e32 v0, 64, v0
	ds_read2st64_b32 v[4:5], v0 offset0:4 offset1:5
	ds_read2st64_b32 v[0:1], v0 offset0:6 offset1:7
	v_cmp_gt_u32_e32 vcc, 13, v17
	v_mov_b32_e32 v10, -1
	s_and_saveexec_b64 s[4:5], vcc
	s_cbranch_execz .LBB121_75
; %bb.74:
	v_lshl_add_u32 v8, v17, 2, v8
	ds_read_b32 v10, v8
.LBB121_75:
	s_or_b64 exec, exec, s[4:5]
	s_mul_hi_i32 s1, s46, s8
	s_mul_i32 s0, s46, s8
	s_lshl_b64 s[0:1], s[0:1], 2
	v_readlane_b32 s4, v103, 2
	s_mul_hi_i32 s3, s50, s21
	s_mul_i32 s2, s50, s21
	v_readlane_b32 s5, v103, 3
	s_add_u32 s4, s4, s0
	s_addc_u32 s5, s5, s1
	s_lshl_b64 s[0:1], s[2:3], 2
	s_add_u32 s2, s4, s0
	s_waitcnt lgkmcnt(0)
	v_cmp_lt_i32_e32 vcc, -1, v10
	v_add_u32_e32 v8, s6, v16
	s_addc_u32 s3, s5, s1
	s_and_b64 s[4:5], vcc, s[40:41]
	s_and_saveexec_b64 s[0:1], s[4:5]
	s_cbranch_execz .LBB121_77
; %bb.76:
	v_add_f32_e32 v6, 0, v6
	v_add_f32_e32 v6, v6, v7
	;; [unrolled: 1-line block ×8, first 2 shown]
	v_mul_lo_u32 v0, v10, s26
	v_mul_lo_u32 v1, v17, s21
	v_add3_u32 v0, v8, v1, v0
	v_mov_b32_e32 v1, 0
	v_lshlrev_b64 v[0:1], 2, v[0:1]
	v_mov_b32_e32 v3, s3
	v_add_co_u32_e32 v0, vcc, s2, v0
	v_addc_co_u32_e32 v1, vcc, v3, v1, vcc
	global_store_dword v[0:1], v2, off
.LBB121_77:
	s_or_b64 exec, exec, s[0:1]
	v_cmp_gt_u32_e32 vcc, 5, v17
	s_and_saveexec_b64 s[0:1], vcc
	s_cbranch_execz .LBB121_80
; %bb.78:
	v_mov_b32_e32 v0, 0x100
	v_lshl_add_u32 v0, v17, 2, v0
	ds_read_b32 v0, v0 offset:32
	v_readlane_b32 s0, v103, 0
	v_readlane_b32 s1, v103, 1
	s_waitcnt lgkmcnt(0)
	v_cmp_lt_i32_e32 vcc, -1, v0
	s_and_b64 s[0:1], vcc, s[0:1]
	s_and_b64 exec, exec, s[0:1]
	s_cbranch_execz .LBB121_80
; %bb.79:
	v_mul_u32_u24_e32 v1, 0x808, v17
	v_add_u32_e32 v1, v1, v9
	v_add_u32_e32 v6, 0x80, v1
	ds_read2st64_b32 v[2:3], v6 offset0:64 offset1:65
	v_mul_lo_u32 v9, v0, s26
	ds_read2st64_b32 v[0:1], v6 offset0:66 offset1:67
	ds_read2st64_b32 v[4:5], v6 offset0:68 offset1:69
	;; [unrolled: 1-line block ×3, first 2 shown]
	s_waitcnt lgkmcnt(3)
	v_add_f32_e32 v2, 0, v2
	v_add_f32_e32 v2, v2, v3
	s_waitcnt lgkmcnt(2)
	v_add_f32_e32 v0, v2, v0
	v_add_f32_e32 v0, v0, v1
	;; [unrolled: 3-line block ×4, first 2 shown]
	v_mul_lo_u32 v0, v88, s21
	v_add3_u32 v0, v8, v0, v9
	v_mov_b32_e32 v1, 0
	v_lshlrev_b64 v[0:1], 2, v[0:1]
	v_mov_b32_e32 v3, s3
	v_add_co_u32_e32 v0, vcc, s2, v0
	v_addc_co_u32_e32 v1, vcc, v3, v1, vcc
	global_store_dword v[0:1], v2, off
.LBB121_80:
	s_endpgm
	.section	.rodata,"a",@progbits
	.p2align	6, 0x0
	.amdhsa_kernel _ZL9mul_mat_fI7__half2Li64ELi13ELi8ELb1EEvPKT_PKfPKiPfiiiiiiiiiiiiiiii
		.amdhsa_group_segment_fixed_size 256
		.amdhsa_private_segment_fixed_size 0
		.amdhsa_kernarg_size 352
		.amdhsa_user_sgpr_count 6
		.amdhsa_user_sgpr_private_segment_buffer 1
		.amdhsa_user_sgpr_dispatch_ptr 0
		.amdhsa_user_sgpr_queue_ptr 0
		.amdhsa_user_sgpr_kernarg_segment_ptr 1
		.amdhsa_user_sgpr_dispatch_id 0
		.amdhsa_user_sgpr_flat_scratch_init 0
		.amdhsa_user_sgpr_kernarg_preload_length 0
		.amdhsa_user_sgpr_kernarg_preload_offset 0
		.amdhsa_user_sgpr_private_segment_size 0
		.amdhsa_uses_dynamic_stack 0
		.amdhsa_system_sgpr_private_segment_wavefront_offset 0
		.amdhsa_system_sgpr_workgroup_id_x 1
		.amdhsa_system_sgpr_workgroup_id_y 1
		.amdhsa_system_sgpr_workgroup_id_z 1
		.amdhsa_system_sgpr_workgroup_info 0
		.amdhsa_system_vgpr_workitem_id 2
		.amdhsa_next_free_vgpr 104
		.amdhsa_next_free_sgpr 96
		.amdhsa_accum_offset 104
		.amdhsa_reserve_vcc 1
		.amdhsa_reserve_flat_scratch 0
		.amdhsa_float_round_mode_32 0
		.amdhsa_float_round_mode_16_64 0
		.amdhsa_float_denorm_mode_32 3
		.amdhsa_float_denorm_mode_16_64 3
		.amdhsa_dx10_clamp 1
		.amdhsa_ieee_mode 1
		.amdhsa_fp16_overflow 0
		.amdhsa_tg_split 0
		.amdhsa_exception_fp_ieee_invalid_op 0
		.amdhsa_exception_fp_denorm_src 0
		.amdhsa_exception_fp_ieee_div_zero 0
		.amdhsa_exception_fp_ieee_overflow 0
		.amdhsa_exception_fp_ieee_underflow 0
		.amdhsa_exception_fp_ieee_inexact 0
		.amdhsa_exception_int_div_zero 0
	.end_amdhsa_kernel
	.section	.text._ZL9mul_mat_fI7__half2Li64ELi13ELi8ELb1EEvPKT_PKfPKiPfiiiiiiiiiiiiiiii,"axG",@progbits,_ZL9mul_mat_fI7__half2Li64ELi13ELi8ELb1EEvPKT_PKfPKiPfiiiiiiiiiiiiiiii,comdat
.Lfunc_end121:
	.size	_ZL9mul_mat_fI7__half2Li64ELi13ELi8ELb1EEvPKT_PKfPKiPfiiiiiiiiiiiiiiii, .Lfunc_end121-_ZL9mul_mat_fI7__half2Li64ELi13ELi8ELb1EEvPKT_PKfPKiPfiiiiiiiiiiiiiiii
                                        ; -- End function
	.section	.AMDGPU.csdata,"",@progbits
; Kernel info:
; codeLenInByte = 8364
; NumSgprs: 100
; NumVgprs: 104
; NumAgprs: 0
; TotalNumVgprs: 104
; ScratchSize: 0
; MemoryBound: 0
; FloatMode: 240
; IeeeMode: 1
; LDSByteSize: 256 bytes/workgroup (compile time only)
; SGPRBlocks: 12
; VGPRBlocks: 12
; NumSGPRsForWavesPerEU: 100
; NumVGPRsForWavesPerEU: 104
; AccumOffset: 104
; Occupancy: 4
; WaveLimiterHint : 0
; COMPUTE_PGM_RSRC2:SCRATCH_EN: 0
; COMPUTE_PGM_RSRC2:USER_SGPR: 6
; COMPUTE_PGM_RSRC2:TRAP_HANDLER: 0
; COMPUTE_PGM_RSRC2:TGID_X_EN: 1
; COMPUTE_PGM_RSRC2:TGID_Y_EN: 1
; COMPUTE_PGM_RSRC2:TGID_Z_EN: 1
; COMPUTE_PGM_RSRC2:TIDIG_COMP_CNT: 2
; COMPUTE_PGM_RSRC3_GFX90A:ACCUM_OFFSET: 25
; COMPUTE_PGM_RSRC3_GFX90A:TG_SPLIT: 0
	.section	.text._ZL9mul_mat_fI7__half2Li64ELi13ELi8ELb0EEvPKT_PKfPKiPfiiiiiiiiiiiiiiii,"axG",@progbits,_ZL9mul_mat_fI7__half2Li64ELi13ELi8ELb0EEvPKT_PKfPKiPfiiiiiiiiiiiiiiii,comdat
	.globl	_ZL9mul_mat_fI7__half2Li64ELi13ELi8ELb0EEvPKT_PKfPKiPfiiiiiiiiiiiiiiii ; -- Begin function _ZL9mul_mat_fI7__half2Li64ELi13ELi8ELb0EEvPKT_PKfPKiPfiiiiiiiiiiiiiiii
	.p2align	8
	.type	_ZL9mul_mat_fI7__half2Li64ELi13ELi8ELb0EEvPKT_PKfPKiPfiiiiiiiiiiiiiiii,@function
_ZL9mul_mat_fI7__half2Li64ELi13ELi8ELb0EEvPKT_PKfPKiPfiiiiiiiiiiiiiiii: ; @_ZL9mul_mat_fI7__half2Li64ELi13ELi8ELb0EEvPKT_PKfPKiPfiiiiiiiiiiiiiiii
; %bb.0:
	s_load_dwordx8 s[12:19], s[4:5], 0x40
	s_load_dword s9, s[4:5], 0x20
	s_load_dwordx4 s[0:3], s[4:5], 0x2c
	v_bfe_u32 v86, v0, 10, 10
	v_lshlrev_b32_e32 v88, 6, v86
	v_and_b32_e32 v87, 0x3ff, v0
	s_waitcnt lgkmcnt(0)
	s_abs_i32 s27, s12
	s_abs_i32 s26, s16
	v_cvt_f32_u32_e32 v1, s27
	v_cvt_f32_u32_e32 v2, s26
	v_add_u32_e32 v90, v88, v87
	s_mov_b32 s22, 0
	v_rcp_iflag_f32_e32 v1, v1
	v_rcp_iflag_f32_e32 v2, v2
	s_ashr_i32 s28, s8, 31
	v_cmp_le_i32_e32 vcc, s9, v90
	v_mul_f32_e32 v1, 0x4f7ffffe, v1
	v_mul_f32_e32 v2, 0x4f7ffffe, v2
	v_cvt_u32_f32_e32 v1, v1
	v_cvt_u32_f32_e32 v2, v2
	v_and_b32_e32 v89, 15, v87
	v_readfirstlane_b32 s21, v1
	v_readfirstlane_b32 s20, v2
	s_and_saveexec_b64 s[10:11], vcc
	s_xor_b64 s[10:11], exec, s[10:11]
; %bb.1:
	v_and_b32_e32 v89, 15, v87
                                        ; implicit-def: $vgpr90
; %bb.2:
	s_or_saveexec_b64 s[24:25], s[10:11]
	s_load_dwordx2 s[10:11], s[4:5], 0x18
	s_lshl_b32 s3, s6, 6
	v_mov_b32_e32 v15, s22
	v_mov_b32_e32 v14, s22
	;; [unrolled: 1-line block ×16, first 2 shown]
	s_xor_b64 exec, exec, s[24:25]
	s_cbranch_execz .LBB122_6
; %bb.3:
	s_sub_i32 s6, 0, s27
	s_sub_i32 s22, 0, s26
	s_mul_i32 s6, s6, s21
	s_mul_i32 s22, s22, s20
	s_mul_hi_u32 s6, s21, s6
	s_mul_hi_u32 s22, s20, s22
	s_abs_i32 s29, s7
	s_add_i32 s6, s21, s6
	s_add_i32 s31, s20, s22
	s_load_dwordx4 s[20:23], s[4:5], 0x0
	s_mul_hi_u32 s4, s29, s6
	s_ashr_i32 s6, s7, 31
	s_ashr_i32 s12, s12, 31
	s_xor_b32 s6, s6, s12
	s_mul_i32 s12, s4, s27
	s_abs_i32 s30, s8
	s_sub_i32 s12, s29, s12
	s_mul_hi_u32 s5, s30, s31
	s_ashr_i32 s16, s16, 31
	s_add_i32 s29, s4, 1
	s_sub_i32 s31, s12, s27
	s_cmp_ge_u32 s12, s27
	s_cselect_b32 s4, s29, s4
	s_cselect_b32 s12, s31, s12
	s_add_i32 s29, s4, 1
	s_cmp_ge_u32 s12, s27
	s_cselect_b32 s4, s29, s4
	s_mul_i32 s12, s5, s26
	s_xor_b32 s4, s4, s6
	s_sub_i32 s12, s30, s12
	s_sub_i32 s6, s4, s6
	s_xor_b32 s4, s28, s16
	s_add_i32 s16, s5, 1
	s_sub_i32 s27, s12, s26
	s_cmp_ge_u32 s12, s26
	s_cselect_b32 s5, s16, s5
	s_cselect_b32 s12, s27, s12
	s_add_i32 s16, s5, 1
	s_cmp_ge_u32 s12, s26
	s_cselect_b32 s5, s16, s5
	s_xor_b32 s5, s5, s4
	s_sub_i32 s4, s5, s4
	s_mul_hi_i32 s5, s4, s17
	s_mul_i32 s4, s4, s17
	s_mul_i32 s12, s6, s13
	s_ashr_i32 s13, s12, 31
	s_lshl_b64 s[26:27], s[4:5], 2
	s_mul_i32 s16, s3, s0
	s_waitcnt lgkmcnt(0)
	s_add_u32 s6, s20, s26
	s_addc_u32 s29, s21, s27
	s_ashr_i32 s17, s16, 31
	s_lshl_b64 s[16:17], s[16:17], 2
	s_lshl_b64 s[12:13], s[12:13], 2
	s_mul_hi_i32 s5, s18, s8
	s_mul_i32 s4, s18, s8
	s_add_u32 s18, s12, s16
	s_addc_u32 s30, s13, s17
	s_mul_i32 s28, s7, s14
	s_add_u32 s6, s18, s6
	s_addc_u32 s73, s30, s29
	s_ashr_i32 s29, s28, 31
	s_lshl_b64 s[16:17], s[4:5], 2
	s_lshl_b64 s[4:5], s[28:29], 2
	s_add_u32 s22, s22, s4
	s_addc_u32 s23, s23, s5
	s_add_u32 s14, s22, s16
	s_movk_i32 s4, 0x1080
	s_addc_u32 s74, s23, s17
	v_mad_u32_u24 v0, v86, s4, 0
	s_ashr_i32 s5, s0, 31
	s_mov_b32 s4, s0
	v_lshrrev_b32_e32 v3, 1, v87
	s_ashr_i32 s13, s1, 31
	s_lshl_b64 s[4:5], s[4:5], 2
	v_lshlrev_b32_e32 v1, 2, v87
	v_mul_u32_u24_e32 v2, 0x108, v89
	v_and_b32_e32 v3, 0x1f8, v3
	s_add_u32 s18, s18, s26
	v_add_u32_e32 v91, v0, v1
	v_add3_u32 v92, v0, v2, v3
	v_lshlrev_b32_e32 v0, 8, v86
	s_addc_u32 s26, s30, s27
	v_mov_b32_e32 v2, s26
	v_add_co_u32_e32 v0, vcc, s18, v0
	v_addc_co_u32_e32 v2, vcc, 0, v2, vcc
	v_add_co_u32_e32 v0, vcc, v0, v1
	v_addc_co_u32_e32 v1, vcc, 0, v2, vcc
	v_mov_b32_e32 v2, s21
	v_add_co_u32_e32 v16, vcc, s20, v0
	v_addc_co_u32_e32 v17, vcc, v2, v1, vcc
	v_lshlrev_b32_e32 v0, 9, v86
	v_mov_b32_e32 v1, s17
	v_add_co_u32_e32 v0, vcc, s16, v0
	v_addc_co_u32_e32 v1, vcc, 0, v1, vcc
	v_lshlrev_b32_e32 v2, 3, v87
	v_add_co_u32_e32 v0, vcc, v0, v2
	s_mov_b32 s12, s1
	v_addc_co_u32_e32 v1, vcc, 0, v1, vcc
	s_lshl_b64 s[12:13], s[12:13], 3
	v_mov_b32_e32 v2, s23
	v_add_co_u32_e32 v18, vcc, s22, v0
	v_mov_b32_e32 v95, 0
	v_addc_co_u32_e32 v19, vcc, v2, v1, vcc
	s_mul_i32 s16, s0, 63
	s_lshl_b32 s17, s1, 1
	s_mul_i32 s18, s1, 3
	s_lshl_b32 s20, s1, 2
	s_mul_i32 s21, s1, 5
	s_mul_i32 s22, s1, 6
	;; [unrolled: 1-line block ×3, first 2 shown]
	s_lshl_b32 s26, s1, 3
	s_mul_i32 s27, s1, 9
	s_mul_i32 s28, s1, 10
	s_mul_i32 s29, s1, 11
	s_mul_i32 s30, s1, 12
	s_lshl_b32 s31, s0, 1
	s_mul_i32 s33, s0, 3
	s_lshl_b32 s34, s0, 2
	s_mul_i32 s35, s0, 5
	s_mul_i32 s36, s0, 6
	;; [unrolled: 1-line block ×3, first 2 shown]
	s_lshl_b32 s38, s0, 3
	s_mul_i32 s39, s0, 9
	s_mul_i32 s40, s0, 10
	;; [unrolled: 1-line block ×7, first 2 shown]
	s_lshl_b32 s46, s0, 4
	s_mul_i32 s47, s0, 17
	s_mul_i32 s48, s0, 18
	;; [unrolled: 1-line block ×15, first 2 shown]
	s_lshl_b32 s62, s0, 5
	s_mul_i32 s63, s0, 33
	s_mul_i32 s64, s0, 34
	;; [unrolled: 1-line block ×10, first 2 shown]
	v_mov_b32_e32 v93, s73
	s_mul_i32 s73, s0, 43
	v_mov_b32_e32 v94, s74
	s_mul_i32 s74, s0, 44
	v_mov_b32_e32 v96, s5
	v_mov_b32_e32 v97, s13
	;; [unrolled: 1-line block ×18, first 2 shown]
	s_mul_i32 s5, s0, 45
	s_mul_i32 s13, s0, 46
	;; [unrolled: 1-line block ×18, first 2 shown]
	s_mov_b64 s[0:1], 0
.LBB122_4:                              ; =>This Inner Loop Header: Depth=1
	global_load_dword v20, v[16:17], off
	v_add_u32_e32 v36, s46, v90
	v_ashrrev_i32_e32 v37, 31, v36
	v_lshlrev_b64 v[36:37], 2, v[36:37]
	v_add_u32_e32 v52, s62, v90
	v_ashrrev_i32_e32 v53, 31, v52
	v_lshlrev_b64 v[52:53], 2, v[52:53]
	;; [unrolled: 3-line block ×3, first 2 shown]
	s_waitcnt vmcnt(0)
	ds_write_b32 v91, v20
	v_add_co_u32_e32 v20, vcc, s4, v16
	v_addc_co_u32_e32 v21, vcc, v17, v96, vcc
	global_load_dword v20, v[20:21], off
	s_waitcnt vmcnt(0)
	ds_write_b32 v91, v20 offset:264
	v_add_u32_e32 v20, s31, v90
	v_ashrrev_i32_e32 v21, 31, v20
	v_lshlrev_b64 v[20:21], 2, v[20:21]
	v_add_co_u32_e32 v20, vcc, s6, v20
	v_addc_co_u32_e32 v21, vcc, v93, v21, vcc
	global_load_dword v20, v[20:21], off
	s_waitcnt vmcnt(0)
	ds_write_b32 v91, v20 offset:528
	v_add_u32_e32 v20, s33, v90
	v_ashrrev_i32_e32 v21, 31, v20
	v_lshlrev_b64 v[20:21], 2, v[20:21]
	;; [unrolled: 8-line block ×14, first 2 shown]
	v_add_co_u32_e32 v20, vcc, s6, v20
	v_addc_co_u32_e32 v21, vcc, v93, v21, vcc
	global_load_dword v20, v[20:21], off
	v_add_co_u32_e32 v36, vcc, s6, v36
	v_addc_co_u32_e32 v37, vcc, v93, v37, vcc
	s_waitcnt vmcnt(0)
	ds_write_b32 v91, v20 offset:3960
	ds_read_b64 v[34:35], v92
	ds_read_b64 v[32:33], v92 offset:32
	ds_read_b64 v[30:31], v92 offset:64
	;; [unrolled: 1-line block ×7, first 2 shown]
	global_load_dword v36, v[36:37], off
	s_waitcnt vmcnt(0)
	ds_write_b32 v91, v36
	v_add_u32_e32 v36, s47, v90
	v_ashrrev_i32_e32 v37, 31, v36
	v_lshlrev_b64 v[36:37], 2, v[36:37]
	v_add_co_u32_e32 v36, vcc, s6, v36
	v_addc_co_u32_e32 v37, vcc, v93, v37, vcc
	global_load_dword v36, v[36:37], off
	s_waitcnt vmcnt(0)
	ds_write_b32 v91, v36 offset:264
	v_add_u32_e32 v36, s48, v90
	v_ashrrev_i32_e32 v37, 31, v36
	v_lshlrev_b64 v[36:37], 2, v[36:37]
	v_add_co_u32_e32 v36, vcc, s6, v36
	v_addc_co_u32_e32 v37, vcc, v93, v37, vcc
	global_load_dword v36, v[36:37], off
	s_waitcnt vmcnt(0)
	ds_write_b32 v91, v36 offset:528
	;; [unrolled: 8-line block ×14, first 2 shown]
	v_add_u32_e32 v36, s61, v90
	v_ashrrev_i32_e32 v37, 31, v36
	v_lshlrev_b64 v[36:37], 2, v[36:37]
	v_add_co_u32_e32 v36, vcc, s6, v36
	v_addc_co_u32_e32 v37, vcc, v93, v37, vcc
	global_load_dword v36, v[36:37], off
	v_add_co_u32_e32 v52, vcc, s6, v52
	v_addc_co_u32_e32 v53, vcc, v93, v53, vcc
	s_waitcnt vmcnt(0)
	ds_write_b32 v91, v36 offset:3960
	ds_read_b64 v[50:51], v92
	ds_read_b64 v[48:49], v92 offset:32
	ds_read_b64 v[46:47], v92 offset:64
	;; [unrolled: 1-line block ×7, first 2 shown]
	global_load_dword v52, v[52:53], off
	s_waitcnt vmcnt(0)
	ds_write_b32 v91, v52
	v_add_u32_e32 v52, s63, v90
	v_ashrrev_i32_e32 v53, 31, v52
	v_lshlrev_b64 v[52:53], 2, v[52:53]
	v_add_co_u32_e32 v52, vcc, s6, v52
	v_addc_co_u32_e32 v53, vcc, v93, v53, vcc
	global_load_dword v52, v[52:53], off
	s_waitcnt vmcnt(0)
	ds_write_b32 v91, v52 offset:264
	v_add_u32_e32 v52, s64, v90
	v_ashrrev_i32_e32 v53, 31, v52
	v_lshlrev_b64 v[52:53], 2, v[52:53]
	v_add_co_u32_e32 v52, vcc, s6, v52
	v_addc_co_u32_e32 v53, vcc, v93, v53, vcc
	global_load_dword v52, v[52:53], off
	s_waitcnt vmcnt(0)
	ds_write_b32 v91, v52 offset:528
	v_add_u32_e32 v52, s65, v90
	v_ashrrev_i32_e32 v53, 31, v52
	v_lshlrev_b64 v[52:53], 2, v[52:53]
	v_add_co_u32_e32 v52, vcc, s6, v52
	v_addc_co_u32_e32 v53, vcc, v93, v53, vcc
	global_load_dword v52, v[52:53], off
	s_waitcnt vmcnt(0)
	ds_write_b32 v91, v52 offset:792
	v_add_u32_e32 v52, s66, v90
	v_ashrrev_i32_e32 v53, 31, v52
	v_lshlrev_b64 v[52:53], 2, v[52:53]
	v_add_co_u32_e32 v52, vcc, s6, v52
	v_addc_co_u32_e32 v53, vcc, v93, v53, vcc
	global_load_dword v52, v[52:53], off
	s_waitcnt vmcnt(0)
	ds_write_b32 v91, v52 offset:1056
	v_add_u32_e32 v52, s67, v90
	v_ashrrev_i32_e32 v53, 31, v52
	v_lshlrev_b64 v[52:53], 2, v[52:53]
	v_add_co_u32_e32 v52, vcc, s6, v52
	v_addc_co_u32_e32 v53, vcc, v93, v53, vcc
	global_load_dword v52, v[52:53], off
	s_waitcnt vmcnt(0)
	ds_write_b32 v91, v52 offset:1320
	v_add_u32_e32 v52, s68, v90
	v_ashrrev_i32_e32 v53, 31, v52
	v_lshlrev_b64 v[52:53], 2, v[52:53]
	v_add_co_u32_e32 v52, vcc, s6, v52
	v_addc_co_u32_e32 v53, vcc, v93, v53, vcc
	global_load_dword v52, v[52:53], off
	s_waitcnt vmcnt(0)
	ds_write_b32 v91, v52 offset:1584
	v_add_u32_e32 v52, s69, v90
	v_ashrrev_i32_e32 v53, 31, v52
	v_lshlrev_b64 v[52:53], 2, v[52:53]
	v_add_co_u32_e32 v52, vcc, s6, v52
	v_addc_co_u32_e32 v53, vcc, v93, v53, vcc
	global_load_dword v52, v[52:53], off
	s_waitcnt vmcnt(0)
	ds_write_b32 v91, v52 offset:1848
	v_add_u32_e32 v52, s70, v90
	v_ashrrev_i32_e32 v53, 31, v52
	v_lshlrev_b64 v[52:53], 2, v[52:53]
	v_add_co_u32_e32 v52, vcc, s6, v52
	v_addc_co_u32_e32 v53, vcc, v93, v53, vcc
	global_load_dword v52, v[52:53], off
	s_waitcnt vmcnt(0)
	ds_write_b32 v91, v52 offset:2112
	v_add_u32_e32 v52, s71, v90
	v_ashrrev_i32_e32 v53, 31, v52
	v_lshlrev_b64 v[52:53], 2, v[52:53]
	v_add_co_u32_e32 v52, vcc, s6, v52
	v_addc_co_u32_e32 v53, vcc, v93, v53, vcc
	global_load_dword v52, v[52:53], off
	s_waitcnt vmcnt(0)
	ds_write_b32 v91, v52 offset:2376
	v_add_u32_e32 v52, s72, v90
	v_ashrrev_i32_e32 v53, 31, v52
	v_lshlrev_b64 v[52:53], 2, v[52:53]
	v_add_co_u32_e32 v52, vcc, s6, v52
	v_addc_co_u32_e32 v53, vcc, v93, v53, vcc
	global_load_dword v52, v[52:53], off
	s_waitcnt vmcnt(0)
	ds_write_b32 v91, v52 offset:2640
	v_add_u32_e32 v52, s73, v90
	v_ashrrev_i32_e32 v53, 31, v52
	v_lshlrev_b64 v[52:53], 2, v[52:53]
	v_add_co_u32_e32 v52, vcc, s6, v52
	v_addc_co_u32_e32 v53, vcc, v93, v53, vcc
	global_load_dword v52, v[52:53], off
	s_waitcnt vmcnt(0)
	ds_write_b32 v91, v52 offset:2904
	v_add_u32_e32 v52, s74, v90
	v_ashrrev_i32_e32 v53, 31, v52
	v_lshlrev_b64 v[52:53], 2, v[52:53]
	v_add_co_u32_e32 v52, vcc, s6, v52
	v_addc_co_u32_e32 v53, vcc, v93, v53, vcc
	global_load_dword v52, v[52:53], off
	s_waitcnt vmcnt(0)
	ds_write_b32 v91, v52 offset:3168
	v_add_u32_e32 v52, s5, v90
	v_ashrrev_i32_e32 v53, 31, v52
	v_lshlrev_b64 v[52:53], 2, v[52:53]
	v_add_co_u32_e32 v52, vcc, s6, v52
	v_addc_co_u32_e32 v53, vcc, v93, v53, vcc
	global_load_dword v52, v[52:53], off
	s_waitcnt vmcnt(0)
	ds_write_b32 v91, v52 offset:3432
	v_add_u32_e32 v52, s13, v90
	v_ashrrev_i32_e32 v53, 31, v52
	v_lshlrev_b64 v[52:53], 2, v[52:53]
	v_add_co_u32_e32 v52, vcc, s6, v52
	v_addc_co_u32_e32 v53, vcc, v93, v53, vcc
	global_load_dword v52, v[52:53], off
	s_waitcnt vmcnt(0)
	ds_write_b32 v91, v52 offset:3696
	v_add_u32_e32 v52, s75, v90
	v_ashrrev_i32_e32 v53, 31, v52
	v_lshlrev_b64 v[52:53], 2, v[52:53]
	v_add_co_u32_e32 v52, vcc, s6, v52
	v_addc_co_u32_e32 v53, vcc, v93, v53, vcc
	global_load_dword v52, v[52:53], off
	v_add_co_u32_e32 v68, vcc, s6, v68
	v_addc_co_u32_e32 v69, vcc, v93, v69, vcc
	s_waitcnt vmcnt(0)
	ds_write_b32 v91, v52 offset:3960
	ds_read_b64 v[66:67], v92
	ds_read_b64 v[64:65], v92 offset:32
	ds_read_b64 v[62:63], v92 offset:64
	;; [unrolled: 1-line block ×7, first 2 shown]
	global_load_dword v68, v[68:69], off
	s_waitcnt vmcnt(0)
	ds_write_b32 v91, v68
	v_add_u32_e32 v68, s77, v90
	v_ashrrev_i32_e32 v69, 31, v68
	v_lshlrev_b64 v[68:69], 2, v[68:69]
	v_add_co_u32_e32 v68, vcc, s6, v68
	v_addc_co_u32_e32 v69, vcc, v93, v69, vcc
	global_load_dword v68, v[68:69], off
	s_waitcnt vmcnt(0)
	ds_write_b32 v91, v68 offset:264
	v_add_u32_e32 v68, s78, v90
	v_ashrrev_i32_e32 v69, 31, v68
	v_lshlrev_b64 v[68:69], 2, v[68:69]
	v_add_co_u32_e32 v68, vcc, s6, v68
	v_addc_co_u32_e32 v69, vcc, v93, v69, vcc
	global_load_dword v68, v[68:69], off
	s_waitcnt vmcnt(0)
	ds_write_b32 v91, v68 offset:528
	;; [unrolled: 8-line block ×15, first 2 shown]
	ds_read_b64 v[82:83], v92
	ds_read_b64 v[80:81], v92 offset:32
	ds_read_b64 v[78:79], v92 offset:64
	;; [unrolled: 1-line block ×7, first 2 shown]
	global_load_dwordx2 v[84:85], v[18:19], off
	s_waitcnt vmcnt(0)
	v_cvt_f16_f32_e32 v84, v84
	v_cvt_f16_f32_e32 v85, v85
	v_pack_b32_f16 v84, v84, v85
	ds_write_b32 v91, v84
	v_add_co_u32_e32 v84, vcc, s12, v18
	v_addc_co_u32_e32 v85, vcc, v19, v97, vcc
	global_load_dwordx2 v[84:85], v[84:85], off
	s_waitcnt vmcnt(0)
	v_cvt_f16_f32_e32 v84, v84
	v_cvt_f16_f32_e32 v85, v85
	v_pack_b32_f16 v84, v84, v85
	ds_write_b32 v91, v84 offset:264
	v_add_u32_e32 v84, s17, v90
	v_ashrrev_i32_e32 v85, 31, v84
	v_lshlrev_b64 v[84:85], 3, v[84:85]
	v_add_co_u32_e32 v84, vcc, s14, v84
	v_addc_co_u32_e32 v85, vcc, v94, v85, vcc
	global_load_dwordx2 v[84:85], v[84:85], off
	s_waitcnt vmcnt(0)
	v_cvt_f16_f32_e32 v84, v84
	v_cvt_f16_f32_e32 v85, v85
	v_pack_b32_f16 v84, v84, v85
	ds_write_b32 v91, v84 offset:528
	v_add_u32_e32 v84, s18, v90
	v_ashrrev_i32_e32 v85, 31, v84
	v_lshlrev_b64 v[84:85], 3, v[84:85]
	v_add_co_u32_e32 v84, vcc, s14, v84
	v_addc_co_u32_e32 v85, vcc, v94, v85, vcc
	global_load_dwordx2 v[84:85], v[84:85], off
	s_waitcnt vmcnt(0)
	v_cvt_f16_f32_e32 v84, v84
	v_cvt_f16_f32_e32 v85, v85
	v_pack_b32_f16 v84, v84, v85
	ds_write_b32 v91, v84 offset:792
	v_add_u32_e32 v84, s20, v90
	v_ashrrev_i32_e32 v85, 31, v84
	v_lshlrev_b64 v[84:85], 3, v[84:85]
	v_add_co_u32_e32 v84, vcc, s14, v84
	v_addc_co_u32_e32 v85, vcc, v94, v85, vcc
	global_load_dwordx2 v[84:85], v[84:85], off
	s_waitcnt vmcnt(0)
	v_cvt_f16_f32_e32 v84, v84
	v_cvt_f16_f32_e32 v85, v85
	v_pack_b32_f16 v84, v84, v85
	ds_write_b32 v91, v84 offset:1056
	v_add_u32_e32 v84, s21, v90
	v_ashrrev_i32_e32 v85, 31, v84
	v_lshlrev_b64 v[84:85], 3, v[84:85]
	v_add_co_u32_e32 v84, vcc, s14, v84
	v_addc_co_u32_e32 v85, vcc, v94, v85, vcc
	global_load_dwordx2 v[84:85], v[84:85], off
	s_waitcnt vmcnt(0)
	v_cvt_f16_f32_e32 v84, v84
	v_cvt_f16_f32_e32 v85, v85
	v_pack_b32_f16 v84, v84, v85
	ds_write_b32 v91, v84 offset:1320
	v_add_u32_e32 v84, s22, v90
	v_ashrrev_i32_e32 v85, 31, v84
	v_lshlrev_b64 v[84:85], 3, v[84:85]
	v_add_co_u32_e32 v84, vcc, s14, v84
	v_addc_co_u32_e32 v85, vcc, v94, v85, vcc
	global_load_dwordx2 v[84:85], v[84:85], off
	s_waitcnt vmcnt(0)
	v_cvt_f16_f32_e32 v84, v84
	v_cvt_f16_f32_e32 v85, v85
	v_pack_b32_f16 v84, v84, v85
	ds_write_b32 v91, v84 offset:1584
	v_add_u32_e32 v84, s23, v90
	v_ashrrev_i32_e32 v85, 31, v84
	v_lshlrev_b64 v[84:85], 3, v[84:85]
	v_add_co_u32_e32 v84, vcc, s14, v84
	v_addc_co_u32_e32 v85, vcc, v94, v85, vcc
	global_load_dwordx2 v[84:85], v[84:85], off
	s_waitcnt vmcnt(0)
	v_cvt_f16_f32_e32 v84, v84
	v_cvt_f16_f32_e32 v85, v85
	v_pack_b32_f16 v84, v84, v85
	ds_write_b32 v91, v84 offset:1848
	v_add_u32_e32 v84, s26, v90
	v_ashrrev_i32_e32 v85, 31, v84
	v_lshlrev_b64 v[84:85], 3, v[84:85]
	v_add_co_u32_e32 v84, vcc, s14, v84
	v_addc_co_u32_e32 v85, vcc, v94, v85, vcc
	global_load_dwordx2 v[84:85], v[84:85], off
	s_waitcnt vmcnt(0)
	v_cvt_f16_f32_e32 v84, v84
	v_cvt_f16_f32_e32 v85, v85
	v_pack_b32_f16 v84, v84, v85
	ds_write_b32 v91, v84 offset:2112
	v_add_u32_e32 v84, s27, v90
	v_ashrrev_i32_e32 v85, 31, v84
	v_lshlrev_b64 v[84:85], 3, v[84:85]
	v_add_co_u32_e32 v84, vcc, s14, v84
	v_addc_co_u32_e32 v85, vcc, v94, v85, vcc
	global_load_dwordx2 v[84:85], v[84:85], off
	s_waitcnt vmcnt(0)
	v_cvt_f16_f32_e32 v84, v84
	v_cvt_f16_f32_e32 v85, v85
	v_pack_b32_f16 v84, v84, v85
	ds_write_b32 v91, v84 offset:2376
	v_add_u32_e32 v84, s28, v90
	v_ashrrev_i32_e32 v85, 31, v84
	v_lshlrev_b64 v[84:85], 3, v[84:85]
	v_add_co_u32_e32 v84, vcc, s14, v84
	v_addc_co_u32_e32 v85, vcc, v94, v85, vcc
	global_load_dwordx2 v[84:85], v[84:85], off
	s_waitcnt vmcnt(0)
	v_cvt_f16_f32_e32 v84, v84
	v_cvt_f16_f32_e32 v85, v85
	v_pack_b32_f16 v84, v84, v85
	ds_write_b32 v91, v84 offset:2640
	v_add_u32_e32 v84, s29, v90
	v_ashrrev_i32_e32 v85, 31, v84
	v_lshlrev_b64 v[84:85], 3, v[84:85]
	v_add_co_u32_e32 v84, vcc, s14, v84
	v_addc_co_u32_e32 v85, vcc, v94, v85, vcc
	global_load_dwordx2 v[84:85], v[84:85], off
	s_waitcnt vmcnt(0)
	v_cvt_f16_f32_e32 v84, v84
	v_cvt_f16_f32_e32 v85, v85
	v_pack_b32_f16 v84, v84, v85
	ds_write_b32 v91, v84 offset:2904
	v_add_u32_e32 v84, s30, v90
	v_ashrrev_i32_e32 v85, 31, v84
	v_lshlrev_b64 v[84:85], 3, v[84:85]
	v_add_co_u32_e32 v84, vcc, s14, v84
	v_addc_co_u32_e32 v85, vcc, v94, v85, vcc
	global_load_dwordx2 v[84:85], v[84:85], off
	v_add_co_u32_e32 v16, vcc, 0x800, v16
	v_addc_co_u32_e32 v17, vcc, 0, v17, vcc
	v_add_co_u32_e32 v18, vcc, 0x1000, v18
	v_add_u32_e32 v90, 0x200, v90
	v_addc_co_u32_e32 v19, vcc, 0, v19, vcc
	v_cmp_le_i32_e32 vcc, s9, v90
	s_or_b64 s[0:1], vcc, s[0:1]
	s_waitcnt vmcnt(0)
	v_cvt_f16_f32_e32 v84, v84
	v_cvt_f16_f32_e32 v85, v85
	v_pack_b32_f16 v84, v84, v85
	ds_write_b32 v91, v84 offset:3168
	ds_write_b32 v91, v95 offset:3432
	;; [unrolled: 1-line block ×4, first 2 shown]
	ds_read_b64 v[84:85], v92
	ds_read_b64 v[98:99], v92 offset:32
	s_waitcnt lgkmcnt(1)
	v_mfma_f32_16x16x16f16 v[12:15], v[34:35], v[84:85], v[12:15]
	v_mfma_f32_16x16x16f16 v[8:11], v[50:51], v[84:85], v[8:11]
	v_mfma_f32_16x16x16f16 v[4:7], v[66:67], v[84:85], v[4:7]
	v_mfma_f32_16x16x16f16 v[0:3], v[82:83], v[84:85], v[0:3]
	s_waitcnt lgkmcnt(0)
	v_mfma_f32_16x16x16f16 v[12:15], v[32:33], v[98:99], v[12:15]
	ds_read_b64 v[32:33], v92 offset:64
	v_mfma_f32_16x16x16f16 v[8:11], v[48:49], v[98:99], v[8:11]
	v_mfma_f32_16x16x16f16 v[4:7], v[64:65], v[98:99], v[4:7]
	v_mfma_f32_16x16x16f16 v[0:3], v[80:81], v[98:99], v[0:3]
	s_waitcnt lgkmcnt(0)
	v_mfma_f32_16x16x16f16 v[12:15], v[30:31], v[32:33], v[12:15]
	ds_read_b64 v[30:31], v92 offset:96
	v_mfma_f32_16x16x16f16 v[8:11], v[46:47], v[32:33], v[8:11]
	v_mfma_f32_16x16x16f16 v[4:7], v[62:63], v[32:33], v[4:7]
	v_mfma_f32_16x16x16f16 v[0:3], v[78:79], v[32:33], v[0:3]
	;; [unrolled: 6-line block ×6, first 2 shown]
	s_waitcnt lgkmcnt(0)
	v_mfma_f32_16x16x16f16 v[12:15], v[20:21], v[22:23], v[12:15]
	v_mfma_f32_16x16x16f16 v[8:11], v[36:37], v[22:23], v[8:11]
	;; [unrolled: 1-line block ×4, first 2 shown]
	s_andn2_b64 exec, exec, s[0:1]
	s_cbranch_execnz .LBB122_4
; %bb.5:
	s_or_b64 exec, exec, s[0:1]
.LBB122_6:
	s_or_b64 exec, exec, s[24:25]
	v_mul_u32_u24_e32 v16, 0x808, v89
	v_lshlrev_b32_e32 v17, 2, v88
	v_add3_u32 v16, 0, v16, v17
	v_and_b32_e32 v17, 0x3f0, v87
	s_mul_hi_i32 s1, s19, s8
	s_mul_i32 s0, s19, s8
	v_add_u32_e32 v17, v16, v17
	s_lshl_b64 s[0:1], s[0:1], 2
	s_waitcnt lgkmcnt(0)
	s_barrier
	ds_write2_b32 v17, v12, v13 offset1:1
	ds_write_b32 v17, v14 offset:8
	v_or_b32_e32 v12, 12, v87
	s_mul_i32 s4, s7, s15
	s_add_u32 s6, s10, s0
	v_and_b32_e32 v12, 0x3fc, v12
	s_addc_u32 s7, s11, s1
	s_ashr_i32 s5, s4, 31
	v_add_u32_e32 v12, v16, v12
	s_lshl_b64 s[0:1], s[4:5], 2
	s_movk_i32 s4, 0x808
	ds_write_b32 v12, v15
	ds_write2_b32 v17, v8, v9 offset0:16 offset1:17
	ds_write_b32 v17, v10 offset:72
	ds_write_b32 v12, v11 offset:64
	ds_write2_b32 v17, v4, v5 offset0:32 offset1:33
	ds_write_b32 v17, v6 offset:136
	ds_write_b32 v12, v7 offset:128
	;; [unrolled: 3-line block ×3, first 2 shown]
	v_lshl_add_u32 v1, v87, 2, 0
	v_mad_u32_u24 v8, v86, s4, v1
	s_waitcnt lgkmcnt(0)
	s_barrier
	ds_read2st64_b32 v[2:3], v8 offset1:1
	ds_read2st64_b32 v[4:5], v8 offset0:2 offset1:3
	ds_read2st64_b32 v[6:7], v8 offset0:4 offset1:5
	ds_read2st64_b32 v[8:9], v8 offset0:6 offset1:7
	s_add_u32 s0, s6, s0
	v_add_u32_e32 v0, s3, v87
	s_addc_u32 s1, s7, s1
	s_waitcnt lgkmcnt(3)
	v_add_f32_e32 v2, 0, v2
	v_add_f32_e32 v2, v2, v3
	s_waitcnt lgkmcnt(2)
	v_add_f32_e32 v2, v2, v4
	v_add_f32_e32 v2, v2, v5
	;; [unrolled: 3-line block ×4, first 2 shown]
	v_mad_u64_u32 v[2:3], s[6:7], v86, s2, v[0:1]
	v_mov_b32_e32 v3, 0
	v_lshlrev_b64 v[4:5], 2, v[2:3]
	v_mov_b32_e32 v2, s1
	v_add_co_u32_e32 v4, vcc, s0, v4
	v_addc_co_u32_e32 v5, vcc, v2, v5, vcc
	v_cmp_gt_u32_e32 vcc, 5, v86
	global_store_dword v[4:5], v6, off
	s_and_saveexec_b64 s[6:7], vcc
	s_cbranch_execz .LBB122_8
; %bb.7:
	v_or_b32_e32 v2, 8, v86
	v_mad_u32_u24 v1, v2, s4, v1
	ds_read2st64_b32 v[4:5], v1 offset1:1
	ds_read2st64_b32 v[6:7], v1 offset0:2 offset1:3
	ds_read2st64_b32 v[8:9], v1 offset0:4 offset1:5
	;; [unrolled: 1-line block ×3, first 2 shown]
	s_waitcnt lgkmcnt(3)
	v_add_f32_e32 v1, 0, v4
	v_add_f32_e32 v1, v1, v5
	s_waitcnt lgkmcnt(2)
	v_add_f32_e32 v1, v1, v6
	v_add_f32_e32 v1, v1, v7
	;; [unrolled: 3-line block ×4, first 2 shown]
	v_mad_u64_u32 v[0:1], s[2:3], v2, s2, v[0:1]
	v_mov_b32_e32 v1, v3
	v_lshlrev_b64 v[0:1], 2, v[0:1]
	v_mov_b32_e32 v2, s1
	v_add_co_u32_e32 v0, vcc, s0, v0
	v_addc_co_u32_e32 v1, vcc, v2, v1, vcc
	global_store_dword v[0:1], v4, off
.LBB122_8:
	s_endpgm
	.section	.rodata,"a",@progbits
	.p2align	6, 0x0
	.amdhsa_kernel _ZL9mul_mat_fI7__half2Li64ELi13ELi8ELb0EEvPKT_PKfPKiPfiiiiiiiiiiiiiiii
		.amdhsa_group_segment_fixed_size 0
		.amdhsa_private_segment_fixed_size 0
		.amdhsa_kernarg_size 96
		.amdhsa_user_sgpr_count 6
		.amdhsa_user_sgpr_private_segment_buffer 1
		.amdhsa_user_sgpr_dispatch_ptr 0
		.amdhsa_user_sgpr_queue_ptr 0
		.amdhsa_user_sgpr_kernarg_segment_ptr 1
		.amdhsa_user_sgpr_dispatch_id 0
		.amdhsa_user_sgpr_flat_scratch_init 0
		.amdhsa_user_sgpr_kernarg_preload_length 0
		.amdhsa_user_sgpr_kernarg_preload_offset 0
		.amdhsa_user_sgpr_private_segment_size 0
		.amdhsa_uses_dynamic_stack 0
		.amdhsa_system_sgpr_private_segment_wavefront_offset 0
		.amdhsa_system_sgpr_workgroup_id_x 1
		.amdhsa_system_sgpr_workgroup_id_y 1
		.amdhsa_system_sgpr_workgroup_id_z 1
		.amdhsa_system_sgpr_workgroup_info 0
		.amdhsa_system_vgpr_workitem_id 1
		.amdhsa_next_free_vgpr 100
		.amdhsa_next_free_sgpr 91
		.amdhsa_accum_offset 100
		.amdhsa_reserve_vcc 1
		.amdhsa_reserve_flat_scratch 0
		.amdhsa_float_round_mode_32 0
		.amdhsa_float_round_mode_16_64 0
		.amdhsa_float_denorm_mode_32 3
		.amdhsa_float_denorm_mode_16_64 3
		.amdhsa_dx10_clamp 1
		.amdhsa_ieee_mode 1
		.amdhsa_fp16_overflow 0
		.amdhsa_tg_split 0
		.amdhsa_exception_fp_ieee_invalid_op 0
		.amdhsa_exception_fp_denorm_src 0
		.amdhsa_exception_fp_ieee_div_zero 0
		.amdhsa_exception_fp_ieee_overflow 0
		.amdhsa_exception_fp_ieee_underflow 0
		.amdhsa_exception_fp_ieee_inexact 0
		.amdhsa_exception_int_div_zero 0
	.end_amdhsa_kernel
	.section	.text._ZL9mul_mat_fI7__half2Li64ELi13ELi8ELb0EEvPKT_PKfPKiPfiiiiiiiiiiiiiiii,"axG",@progbits,_ZL9mul_mat_fI7__half2Li64ELi13ELi8ELb0EEvPKT_PKfPKiPfiiiiiiiiiiiiiiii,comdat
.Lfunc_end122:
	.size	_ZL9mul_mat_fI7__half2Li64ELi13ELi8ELb0EEvPKT_PKfPKiPfiiiiiiiiiiiiiiii, .Lfunc_end122-_ZL9mul_mat_fI7__half2Li64ELi13ELi8ELb0EEvPKT_PKfPKiPfiiiiiiiiiiiiiiii
                                        ; -- End function
	.section	.AMDGPU.csdata,"",@progbits
; Kernel info:
; codeLenInByte = 5732
; NumSgprs: 95
; NumVgprs: 100
; NumAgprs: 0
; TotalNumVgprs: 100
; ScratchSize: 0
; MemoryBound: 0
; FloatMode: 240
; IeeeMode: 1
; LDSByteSize: 0 bytes/workgroup (compile time only)
; SGPRBlocks: 11
; VGPRBlocks: 12
; NumSGPRsForWavesPerEU: 95
; NumVGPRsForWavesPerEU: 100
; AccumOffset: 100
; Occupancy: 4
; WaveLimiterHint : 0
; COMPUTE_PGM_RSRC2:SCRATCH_EN: 0
; COMPUTE_PGM_RSRC2:USER_SGPR: 6
; COMPUTE_PGM_RSRC2:TRAP_HANDLER: 0
; COMPUTE_PGM_RSRC2:TGID_X_EN: 1
; COMPUTE_PGM_RSRC2:TGID_Y_EN: 1
; COMPUTE_PGM_RSRC2:TGID_Z_EN: 1
; COMPUTE_PGM_RSRC2:TIDIG_COMP_CNT: 1
; COMPUTE_PGM_RSRC3_GFX90A:ACCUM_OFFSET: 24
; COMPUTE_PGM_RSRC3_GFX90A:TG_SPLIT: 0
	.section	.text._ZL13mul_mat_f_idsI15__hip_bfloat162Li64ELi13ELi1EEvPKT_PKfPKiS7_S7_Pfiiiiiiiiiiiiii15HIP_vector_typeIjLj3EESA_,"axG",@progbits,_ZL13mul_mat_f_idsI15__hip_bfloat162Li64ELi13ELi1EEvPKT_PKfPKiS7_S7_Pfiiiiiiiiiiiiii15HIP_vector_typeIjLj3EESA_,comdat
	.globl	_ZL13mul_mat_f_idsI15__hip_bfloat162Li64ELi13ELi1EEvPKT_PKfPKiS7_S7_Pfiiiiiiiiiiiiii15HIP_vector_typeIjLj3EESA_ ; -- Begin function _ZL13mul_mat_f_idsI15__hip_bfloat162Li64ELi13ELi1EEvPKT_PKfPKiS7_S7_Pfiiiiiiiiiiiiii15HIP_vector_typeIjLj3EESA_
	.p2align	8
	.type	_ZL13mul_mat_f_idsI15__hip_bfloat162Li64ELi13ELi1EEvPKT_PKfPKiS7_S7_Pfiiiiiiiiiiiiii15HIP_vector_typeIjLj3EESA_,@function
_ZL13mul_mat_f_idsI15__hip_bfloat162Li64ELi13ELi1EEvPKT_PKfPKiS7_S7_Pfiiiiiiiiiiiiii15HIP_vector_typeIjLj3EESA_: ; @_ZL13mul_mat_f_idsI15__hip_bfloat162Li64ELi13ELi1EEvPKT_PKfPKiS7_S7_Pfiiiiiiiiiiiiii15HIP_vector_typeIjLj3EESA_
; %bb.0:
	s_load_dwordx2 s[0:1], s[4:5], 0x20
	s_mov_b32 s34, s7
	s_ashr_i32 s35, s7, 31
	s_lshl_b64 s[2:3], s[34:35], 2
	s_waitcnt lgkmcnt(0)
	s_add_u32 s0, s0, s2
	s_addc_u32 s1, s1, s3
	s_load_dwordx2 s[26:27], s[0:1], 0x0
	s_waitcnt lgkmcnt(0)
	s_sub_i32 s33, s27, s26
	s_add_i32 s0, s33, 12
	s_mul_hi_i32 s0, s0, 0x4ec4ec4f
	s_lshr_b32 s1, s0, 31
	s_ashr_i32 s0, s0, 2
	s_add_i32 s0, s0, s1
	s_cmp_ge_i32 s8, s0
	s_cbranch_scc1 .LBB123_189
; %bb.1:
	v_bfe_u32 v108, v0, 10, 10
	v_lshlrev_b32_e32 v110, 6, v108
	v_and_b32_e32 v109, 0x3ff, v0
	s_load_dwordx4 s[12:15], s[4:5], 0x30
	s_load_dwordx2 s[20:21], s[4:5], 0x40
	s_load_dwordx4 s[0:3], s[4:5], 0x4c
	s_load_dwordx4 s[16:19], s[4:5], 0x68
	s_load_dwordx2 s[24:25], s[4:5], 0x78
	v_or_b32_e32 v112, v110, v109
	s_ashr_i32 s27, s26, 31
	s_waitcnt lgkmcnt(0)
	v_cmp_le_i32_e32 vcc, s12, v112
	v_and_b32_e32 v0, 15, v109
                                        ; implicit-def: $sgpr3
                                        ; implicit-def: $vgpr111
	s_and_saveexec_b64 s[10:11], vcc
	s_xor_b64 s[10:11], exec, s[10:11]
; %bb.2:
	v_mul_u32_u24_e32 v111, 0x108, v0
	s_mov_b32 s3, 0
                                        ; implicit-def: $vgpr112
                                        ; implicit-def: $vgpr0
; %bb.3:
	s_or_saveexec_b64 s[22:23], s[10:11]
	s_load_dwordx2 s[10:11], s[4:5], 0x18
                                        ; implicit-def: $vgpr119 : SGPR spill to VGPR lane
	s_lshl_b32 s7, s6, 6
	s_mul_i32 s6, s8, 13
	v_accvgpr_write_b32 a0, s3
	v_accvgpr_write_b32 a1, s3
	s_waitcnt lgkmcnt(0)
	v_writelane_b32 v119, s10, 0
	v_writelane_b32 v119, s11, 1
	s_load_dwordx2 s[10:11], s[4:5], 0x28
	v_accvgpr_write_b32 a2, s3
	v_accvgpr_write_b32 a3, s3
	;; [unrolled: 1-line block ×4, first 2 shown]
	s_waitcnt lgkmcnt(0)
	v_writelane_b32 v119, s10, 2
	v_writelane_b32 v119, s11, 3
	v_accvgpr_write_b32 a6, s3
	v_accvgpr_write_b32 a7, s3
	;; [unrolled: 1-line block ×10, first 2 shown]
	v_writelane_b32 v119, s22, 4
	v_writelane_b32 v119, s23, 5
	s_xor_b64 exec, exec, s[22:23]
	s_cbranch_execz .LBB123_150
; %bb.4:
	v_writelane_b32 v119, s24, 6
	v_writelane_b32 v119, s25, 7
	s_load_dwordx4 s[8:11], s[4:5], 0x0
	s_load_dwordx2 s[22:23], s[4:5], 0x10
	s_mul_i32 s4, s34, s0
	s_mul_i32 s24, s7, s15
	s_ashr_i32 s5, s4, 31
	s_ashr_i32 s25, s24, 31
	s_lshl_b64 s[24:25], s[24:25], 2
	s_lshl_b64 s[4:5], s[4:5], 2
	s_add_u32 s3, s4, s24
	s_addc_u32 s24, s5, s25
	v_writelane_b32 v119, s7, 8
	s_waitcnt lgkmcnt(0)
	s_add_u32 s0, s3, s8
	s_addc_u32 s25, s24, s9
	v_writelane_b32 v119, s26, 9
	s_lshl_b64 s[4:5], s[26:27], 2
	v_writelane_b32 v119, s27, 10
	s_add_u32 s26, s22, s4
	s_addc_u32 s27, s23, s5
	s_movk_i32 s4, 0x1080
	s_cmp_lt_i32 s6, s33
	v_mad_u32_u24 v1, v108, s4, 0
	s_cselect_b64 s[4:5], -1, 0
	s_ashr_i32 s7, s6, 31
	s_lshl_b64 s[22:23], s[6:7], 2
	s_add_u32 s34, s26, s22
	s_addc_u32 s35, s27, s23
	s_add_i32 s7, s6, 1
	s_cmp_lt_i32 s7, s33
	s_cselect_b64 s[36:37], -1, 0
	s_add_i32 s7, s6, 2
	s_cmp_lt_i32 s7, s33
	v_mul_u32_u24_e32 v111, 0x108, v0
	v_lshrrev_b32_e32 v0, 1, v109
	s_cselect_b64 s[38:39], -1, 0
	s_add_i32 s7, s6, 3
	v_and_b32_e32 v0, 0x1f8, v0
	s_cmp_lt_i32 s7, s33
	v_add3_u32 v114, v1, v111, v0
	s_cselect_b64 s[40:41], -1, 0
	s_add_i32 s7, s6, 4
	v_lshlrev_b32_e32 v0, 8, v108
	s_cmp_lt_i32 s7, s33
	v_add_co_u32_e32 v0, vcc, s3, v0
	s_mul_i32 s3, s15, 3
	s_cselect_b64 s[42:43], -1, 0
	s_add_i32 s7, s6, 5
	v_writelane_b32 v119, s3, 11
	s_mul_i32 s3, s15, 5
	s_cmp_lt_i32 s7, s33
	v_writelane_b32 v119, s3, 12
	s_mul_i32 s3, s15, 6
	s_cselect_b64 s[44:45], -1, 0
	s_add_i32 s7, s6, 6
	v_writelane_b32 v119, s3, 13
	s_mul_i32 s3, s15, 7
	s_cmp_lt_i32 s7, s33
	v_writelane_b32 v119, s3, 14
	;; [unrolled: 7-line block ×6, first 2 shown]
	s_mul_i32 s3, s15, 18
	v_lshlrev_b32_e32 v2, 2, v109
	s_cselect_b64 s[54:55], -1, 0
	s_add_i32 s7, s6, 11
	v_writelane_b32 v119, s3, 23
	s_mul_i32 s3, s15, 19
	v_add_u32_e32 v113, v1, v2
	s_cmp_lt_i32 s7, s33
	v_mov_b32_e32 v1, s24
	v_writelane_b32 v119, s3, 24
	s_mul_i32 s3, s15, 20
	s_cselect_b64 s[56:57], -1, 0
	s_add_i32 s7, s6, 12
	v_addc_co_u32_e32 v1, vcc, 0, v1, vcc
	v_writelane_b32 v119, s3, 25
	s_mul_i32 s3, s15, 21
	s_cmp_lt_i32 s7, s33
	v_add_co_u32_e32 v0, vcc, v0, v2
	v_writelane_b32 v119, s3, 26
	s_mul_i32 s3, s15, 22
	s_cselect_b64 s[58:59], -1, 0
	s_ashr_i32 s23, s15, 31
	s_mov_b32 s22, s15
	v_addc_co_u32_e32 v1, vcc, 0, v1, vcc
	v_writelane_b32 v119, s3, 27
	s_mul_i32 s3, s15, 23
	s_lshl_b64 s[60:61], s[22:23], 2
	v_mov_b32_e32 v2, s9
	v_add_co_u32_e32 v16, vcc, s8, v0
	v_writelane_b32 v119, s3, 28
	s_mul_i32 s3, s15, 24
	v_addc_co_u32_e32 v17, vcc, v2, v1, vcc
	s_lshl_b32 s7, s15, 1
	s_lshl_b32 s65, s15, 2
	;; [unrolled: 1-line block ×4, first 2 shown]
	v_writelane_b32 v119, s3, 29
	s_mul_i32 s86, s15, 25
	s_mul_i32 s87, s15, 26
	;; [unrolled: 1-line block ×5, first 2 shown]
	v_mov_b32_e32 v115, s25
	s_mul_i32 s91, s15, 30
	v_mov_b32_e32 v116, 0
	v_accvgpr_write_b32 a15, 0
	v_accvgpr_write_b32 a14, 0
	;; [unrolled: 1-line block ×16, first 2 shown]
	v_mov_b32_e32 v117, s61
	s_mul_i32 s61, s15, 31
	s_lshl_b32 s92, s15, 5
	s_mul_i32 s93, s15, 33
	s_mul_i32 s94, s15, 34
	;; [unrolled: 1-line block ×31, first 2 shown]
	s_mov_b32 s83, 0x7f800000
	s_movk_i32 s84, 0x7fff
	s_mov_b32 s85, 0x7060302
	s_mov_b64 s[8:9], 0
	s_branch .LBB123_6
.LBB123_5:                              ;   in Loop: Header=BB123_6 Depth=1
	s_or_b64 exec, exec, s[62:63]
	v_perm_b32 v82, v82, v84, s85
	v_add_u32_e32 v83, 0xc00, v113
	ds_write2_b32 v83, v82, v116 offset0:24 offset1:90
	ds_write2_b32 v83, v116, v116 offset0:156 offset1:222
	ds_read2_b64 v[82:85], v114 offset1:4
	v_accvgpr_write_b32 a0, v12
	v_accvgpr_write_b32 a4, v8
	;; [unrolled: 1-line block ×16, first 2 shown]
	s_waitcnt lgkmcnt(0)
	v_mfma_f32_16x16x16bf16_1k a[0:3], v[32:33], v[82:83], a[0:3]
	ds_read2_b64 v[0:3], v114 offset0:8 offset1:12
	v_add_co_u32_e32 v16, vcc, 0x100, v16
	v_add_u32_e32 v112, 64, v112
	v_addc_co_u32_e32 v17, vcc, 0, v17, vcc
	v_cmp_le_i32_e32 vcc, s12, v112
	v_mfma_f32_16x16x16bf16_1k a[4:7], v[50:51], v[82:83], a[4:7]
	s_or_b64 s[8:9], vcc, s[8:9]
	v_mfma_f32_16x16x16bf16_1k a[8:11], v[64:65], v[82:83], a[8:11]
	v_mfma_f32_16x16x16bf16_1k a[12:15], v[80:81], v[82:83], a[12:15]
	;; [unrolled: 1-line block ×6, first 2 shown]
	s_waitcnt lgkmcnt(0)
	v_mfma_f32_16x16x16bf16_1k a[0:3], v[26:27], v[0:1], a[0:3]
	v_mfma_f32_16x16x16bf16_1k a[4:7], v[44:45], v[0:1], a[4:7]
	;; [unrolled: 1-line block ×8, first 2 shown]
	ds_read2_b64 v[0:3], v114 offset0:16 offset1:20
	s_waitcnt lgkmcnt(0)
	v_mfma_f32_16x16x16bf16_1k a[0:3], v[28:29], v[0:1], a[0:3]
	v_mfma_f32_16x16x16bf16_1k a[4:7], v[40:41], v[0:1], a[4:7]
	;; [unrolled: 1-line block ×8, first 2 shown]
	ds_read2_b64 v[0:3], v114 offset0:24 offset1:28
	s_waitcnt lgkmcnt(0)
	v_mfma_f32_16x16x16bf16_1k a[0:3], v[20:21], v[0:1], a[0:3]
	v_mfma_f32_16x16x16bf16_1k a[4:7], v[36:37], v[0:1], a[4:7]
	;; [unrolled: 1-line block ×8, first 2 shown]
	s_andn2_b64 exec, exec, s[8:9]
	s_cbranch_execz .LBB123_149
.LBB123_6:                              ; =>This Inner Loop Header: Depth=1
	v_add_co_u32_e32 v0, vcc, s60, v16
	v_addc_co_u32_e32 v1, vcc, v17, v117, vcc
	global_load_dword v18, v[16:17], off
	global_load_dword v19, v[0:1], off
	v_add_u32_e32 v0, s7, v112
	v_ashrrev_i32_e32 v1, 31, v0
	v_readlane_b32 s62, v119, 11
	v_lshlrev_b64 v[0:1], 2, v[0:1]
	v_add_u32_e32 v2, s62, v112
	v_add_co_u32_e32 v0, vcc, s0, v0
	v_ashrrev_i32_e32 v3, 31, v2
	v_addc_co_u32_e32 v1, vcc, v115, v1, vcc
	v_lshlrev_b64 v[2:3], 2, v[2:3]
	v_add_u32_e32 v4, s65, v112
	v_add_co_u32_e32 v2, vcc, s0, v2
	v_ashrrev_i32_e32 v5, 31, v4
	v_readlane_b32 s62, v119, 12
	v_addc_co_u32_e32 v3, vcc, v115, v3, vcc
	v_lshlrev_b64 v[4:5], 2, v[4:5]
	v_add_u32_e32 v6, s62, v112
	v_add_co_u32_e32 v4, vcc, s0, v4
	v_ashrrev_i32_e32 v7, 31, v6
	v_readlane_b32 s62, v119, 13
	;; [unrolled: 6-line block ×3, first 2 shown]
	v_addc_co_u32_e32 v7, vcc, v115, v7, vcc
	v_lshlrev_b64 v[8:9], 2, v[8:9]
	v_add_u32_e32 v10, s62, v112
	v_add_co_u32_e32 v8, vcc, s0, v8
	v_ashrrev_i32_e32 v11, 31, v10
	v_addc_co_u32_e32 v9, vcc, v115, v9, vcc
	v_lshlrev_b64 v[10:11], 2, v[10:11]
	v_add_u32_e32 v12, s69, v112
	v_add_co_u32_e32 v10, vcc, s0, v10
	v_ashrrev_i32_e32 v13, 31, v12
	v_readlane_b32 s62, v119, 15
	v_addc_co_u32_e32 v11, vcc, v115, v11, vcc
	v_lshlrev_b64 v[12:13], 2, v[12:13]
	v_add_u32_e32 v14, s62, v112
	v_add_co_u32_e32 v12, vcc, s0, v12
	v_ashrrev_i32_e32 v15, 31, v14
	v_addc_co_u32_e32 v13, vcc, v115, v13, vcc
	v_lshlrev_b64 v[14:15], 2, v[14:15]
	v_add_co_u32_e32 v14, vcc, s0, v14
	v_readlane_b32 s62, v119, 16
	v_addc_co_u32_e32 v15, vcc, v115, v15, vcc
	global_load_dword v20, v[0:1], off
	global_load_dword v21, v[2:3], off
	;; [unrolled: 1-line block ×6, first 2 shown]
	s_nop 0
	global_load_dword v12, v[12:13], off
	s_nop 0
	global_load_dword v13, v[14:15], off
	v_add_u32_e32 v0, s62, v112
	v_ashrrev_i32_e32 v1, 31, v0
	v_readlane_b32 s62, v119, 17
	v_lshlrev_b64 v[0:1], 2, v[0:1]
	v_add_u32_e32 v2, s62, v112
	v_add_co_u32_e32 v0, vcc, s0, v0
	v_ashrrev_i32_e32 v3, 31, v2
	v_readlane_b32 s62, v119, 18
	v_addc_co_u32_e32 v1, vcc, v115, v1, vcc
	v_lshlrev_b64 v[2:3], 2, v[2:3]
	v_add_u32_e32 v4, s62, v112
	v_add_co_u32_e32 v2, vcc, s0, v2
	v_ashrrev_i32_e32 v5, 31, v4
	v_readlane_b32 s62, v119, 19
	v_addc_co_u32_e32 v3, vcc, v115, v3, vcc
	;; [unrolled: 6-line block ×4, first 2 shown]
	v_lshlrev_b64 v[8:9], 2, v[8:9]
	v_add_u32_e32 v10, s62, v112
	v_add_co_u32_e32 v8, vcc, s0, v8
	v_ashrrev_i32_e32 v11, 31, v10
	v_addc_co_u32_e32 v9, vcc, v115, v9, vcc
	v_lshlrev_b64 v[10:11], 2, v[10:11]
	v_add_co_u32_e32 v10, vcc, s0, v10
	v_addc_co_u32_e32 v11, vcc, v115, v11, vcc
	global_load_dword v14, v[0:1], off
	global_load_dword v15, v[2:3], off
	s_nop 0
	global_load_dword v4, v[4:5], off
	s_nop 0
	;; [unrolled: 2-line block ×3, first 2 shown]
	global_load_dword v6, v[8:9], off
	global_load_dword v7, v[10:11], off
	v_add_u32_e32 v0, s77, v112
	v_ashrrev_i32_e32 v1, 31, v0
	v_readlane_b32 s62, v119, 22
	v_lshlrev_b64 v[0:1], 2, v[0:1]
	v_add_u32_e32 v2, s62, v112
	v_add_co_u32_e32 v0, vcc, s0, v0
	v_ashrrev_i32_e32 v3, 31, v2
	v_addc_co_u32_e32 v1, vcc, v115, v1, vcc
	v_lshlrev_b64 v[2:3], 2, v[2:3]
	s_waitcnt vmcnt(15)
	ds_write_b32 v113, v18
	s_waitcnt vmcnt(14)
	ds_write_b32 v113, v19 offset:264
	s_waitcnt vmcnt(13)
	ds_write_b32 v113, v20 offset:528
	;; [unrolled: 2-line block ×9, first 2 shown]
	v_add_co_u32_e32 v2, vcc, s0, v2
	v_readlane_b32 s62, v119, 23
	v_addc_co_u32_e32 v3, vcc, v115, v3, vcc
	global_load_dword v0, v[0:1], off
	s_nop 0
	global_load_dword v1, v[2:3], off
	v_add_u32_e32 v2, s62, v112
	v_ashrrev_i32_e32 v3, 31, v2
	v_readlane_b32 s62, v119, 24
	s_waitcnt vmcnt(7)
	ds_write_b32 v113, v14 offset:2640
	s_waitcnt vmcnt(6)
	ds_write_b32 v113, v15 offset:2904
	;; [unrolled: 2-line block ×6, first 2 shown]
	v_lshlrev_b64 v[2:3], 2, v[2:3]
	v_add_u32_e32 v4, s62, v112
	v_add_co_u32_e32 v2, vcc, s0, v2
	v_ashrrev_i32_e32 v5, 31, v4
	v_readlane_b32 s62, v119, 25
	v_addc_co_u32_e32 v3, vcc, v115, v3, vcc
	v_lshlrev_b64 v[4:5], 2, v[4:5]
	v_add_u32_e32 v6, s62, v112
	v_add_co_u32_e32 v4, vcc, s0, v4
	v_ashrrev_i32_e32 v7, 31, v6
	v_readlane_b32 s62, v119, 26
	v_addc_co_u32_e32 v5, vcc, v115, v5, vcc
	;; [unrolled: 6-line block ×5, first 2 shown]
	v_lshlrev_b64 v[12:13], 2, v[12:13]
	v_add_u32_e32 v14, s62, v112
	v_add_co_u32_e32 v12, vcc, s0, v12
	v_ashrrev_i32_e32 v15, 31, v14
	v_addc_co_u32_e32 v13, vcc, v115, v13, vcc
	v_lshlrev_b64 v[14:15], 2, v[14:15]
	v_add_u32_e32 v18, s86, v112
	v_add_co_u32_e32 v14, vcc, s0, v14
	v_ashrrev_i32_e32 v19, 31, v18
	v_addc_co_u32_e32 v15, vcc, v115, v15, vcc
	v_lshlrev_b64 v[18:19], 2, v[18:19]
	v_add_co_u32_e32 v18, vcc, s0, v18
	v_addc_co_u32_e32 v19, vcc, v115, v19, vcc
	global_load_dword v34, v[2:3], off
	global_load_dword v35, v[4:5], off
	global_load_dword v36, v[6:7], off
	global_load_dword v37, v[8:9], off
	global_load_dword v38, v[10:11], off
	global_load_dword v39, v[12:13], off
	global_load_dword v40, v[14:15], off
	global_load_dword v41, v[18:19], off
	v_add_u32_e32 v2, s87, v112
	v_ashrrev_i32_e32 v3, 31, v2
	v_lshlrev_b64 v[2:3], 2, v[2:3]
	v_add_u32_e32 v4, s88, v112
	v_add_co_u32_e32 v2, vcc, s0, v2
	v_ashrrev_i32_e32 v5, 31, v4
	v_addc_co_u32_e32 v3, vcc, v115, v3, vcc
	v_lshlrev_b64 v[4:5], 2, v[4:5]
	v_add_u32_e32 v6, s89, v112
	v_add_co_u32_e32 v4, vcc, s0, v4
	v_ashrrev_i32_e32 v7, 31, v6
	v_addc_co_u32_e32 v5, vcc, v115, v5, vcc
	v_lshlrev_b64 v[6:7], 2, v[6:7]
	v_add_u32_e32 v8, s90, v112
	v_add_co_u32_e32 v6, vcc, s0, v6
	v_ashrrev_i32_e32 v9, 31, v8
	v_addc_co_u32_e32 v7, vcc, v115, v7, vcc
	v_lshlrev_b64 v[8:9], 2, v[8:9]
	v_add_u32_e32 v10, s91, v112
	v_add_co_u32_e32 v8, vcc, s0, v8
	v_ashrrev_i32_e32 v11, 31, v10
	v_addc_co_u32_e32 v9, vcc, v115, v9, vcc
	v_lshlrev_b64 v[10:11], 2, v[10:11]
	v_add_u32_e32 v12, s61, v112
	v_add_co_u32_e32 v10, vcc, s0, v10
	v_ashrrev_i32_e32 v13, 31, v12
	v_addc_co_u32_e32 v11, vcc, v115, v11, vcc
	v_lshlrev_b64 v[12:13], 2, v[12:13]
	v_add_u32_e32 v14, s92, v112
	v_add_co_u32_e32 v12, vcc, s0, v12
	v_ashrrev_i32_e32 v15, 31, v14
	v_addc_co_u32_e32 v13, vcc, v115, v13, vcc
	v_lshlrev_b64 v[14:15], 2, v[14:15]
	v_add_u32_e32 v18, s93, v112
	v_add_co_u32_e32 v14, vcc, s0, v14
	v_ashrrev_i32_e32 v19, 31, v18
	v_addc_co_u32_e32 v15, vcc, v115, v15, vcc
	v_lshlrev_b64 v[18:19], 2, v[18:19]
	v_add_co_u32_e32 v18, vcc, s0, v18
	v_addc_co_u32_e32 v19, vcc, v115, v19, vcc
	global_load_dword v42, v[2:3], off
	global_load_dword v43, v[4:5], off
	global_load_dword v44, v[6:7], off
	global_load_dword v45, v[8:9], off
	global_load_dword v46, v[10:11], off
	global_load_dword v47, v[12:13], off
	global_load_dword v48, v[14:15], off
	global_load_dword v49, v[18:19], off
	v_add_u32_e32 v2, s94, v112
	v_ashrrev_i32_e32 v3, 31, v2
	v_lshlrev_b64 v[2:3], 2, v[2:3]
	v_add_u32_e32 v4, s95, v112
	v_add_co_u32_e32 v2, vcc, s0, v2
	v_ashrrev_i32_e32 v5, 31, v4
	v_addc_co_u32_e32 v3, vcc, v115, v3, vcc
	v_lshlrev_b64 v[4:5], 2, v[4:5]
	v_add_u32_e32 v6, s28, v112
	v_add_co_u32_e32 v4, vcc, s0, v4
	v_ashrrev_i32_e32 v7, 31, v6
	v_addc_co_u32_e32 v5, vcc, v115, v5, vcc
	v_lshlrev_b64 v[6:7], 2, v[6:7]
	v_add_u32_e32 v8, s29, v112
	v_add_co_u32_e32 v6, vcc, s0, v6
	v_ashrrev_i32_e32 v9, 31, v8
	v_addc_co_u32_e32 v7, vcc, v115, v7, vcc
	v_lshlrev_b64 v[8:9], 2, v[8:9]
	v_add_u32_e32 v10, s3, v112
	v_add_co_u32_e32 v8, vcc, s0, v8
	v_ashrrev_i32_e32 v11, 31, v10
	v_addc_co_u32_e32 v9, vcc, v115, v9, vcc
	v_lshlrev_b64 v[10:11], 2, v[10:11]
	v_add_u32_e32 v12, s24, v112
	v_add_co_u32_e32 v10, vcc, s0, v10
	v_ashrrev_i32_e32 v13, 31, v12
	v_addc_co_u32_e32 v11, vcc, v115, v11, vcc
	;; [unrolled: 48-line block ×5, first 2 shown]
	v_lshlrev_b64 v[12:13], 2, v[12:13]
	v_add_co_u32_e32 v12, vcc, s0, v12
	v_addc_co_u32_e32 v13, vcc, v115, v13, vcc
	ds_read_b64 v[32:33], v114
	ds_read_b64 v[30:31], v114 offset:32
	ds_read_b64 v[26:27], v114 offset:64
	;; [unrolled: 1-line block ×3, first 2 shown]
	global_load_dword v76, v[2:3], off
	global_load_dword v77, v[4:5], off
	;; [unrolled: 1-line block ×6, first 2 shown]
	ds_read_b64 v[28:29], v114 offset:128
	ds_read_b64 v[24:25], v114 offset:160
	ds_read_b64 v[20:21], v114 offset:192
	ds_read_b64 v[18:19], v114 offset:224
	s_waitcnt vmcnt(47)
	ds_write_b32 v113, v0
	s_waitcnt vmcnt(46)
	ds_write_b32 v113, v1 offset:264
	s_waitcnt vmcnt(45)
	ds_write_b32 v113, v34 offset:528
	s_waitcnt vmcnt(44)
	ds_write_b32 v113, v35 offset:792
	s_waitcnt vmcnt(43)
	ds_write_b32 v113, v36 offset:1056
	s_waitcnt vmcnt(42)
	ds_write_b32 v113, v37 offset:1320
	s_waitcnt vmcnt(41)
	ds_write_b32 v113, v38 offset:1584
	s_waitcnt vmcnt(40)
	ds_write_b32 v113, v39 offset:1848
	s_waitcnt vmcnt(39)
	ds_write_b32 v113, v40 offset:2112
	s_waitcnt vmcnt(38)
	ds_write_b32 v113, v41 offset:2376
	s_waitcnt vmcnt(37)
	ds_write_b32 v113, v42 offset:2640
	s_waitcnt vmcnt(36)
	ds_write_b32 v113, v43 offset:2904
	s_waitcnt vmcnt(35)
	ds_write_b32 v113, v44 offset:3168
	s_waitcnt vmcnt(34)
	ds_write_b32 v113, v45 offset:3432
	s_waitcnt vmcnt(33)
	ds_write_b32 v113, v46 offset:3696
	s_waitcnt vmcnt(32)
	ds_write_b32 v113, v47 offset:3960
	ds_read_b64 v[50:51], v114
	ds_read_b64 v[46:47], v114 offset:32
	ds_read_b64 v[44:45], v114 offset:64
	ds_read_b64 v[42:43], v114 offset:96
	ds_read_b64 v[40:41], v114 offset:128
	ds_read_b64 v[38:39], v114 offset:160
	ds_read_b64 v[36:37], v114 offset:192
	ds_read_b64 v[34:35], v114 offset:224
	s_waitcnt vmcnt(31)
	ds_write_b32 v113, v48
	s_waitcnt vmcnt(30)
	ds_write_b32 v113, v49 offset:264
	s_waitcnt vmcnt(29)
	ds_write_b32 v113, v52 offset:528
	s_waitcnt vmcnt(28)
	ds_write_b32 v113, v53 offset:792
	s_waitcnt vmcnt(27)
	ds_write_b32 v113, v54 offset:1056
	s_waitcnt vmcnt(26)
	ds_write_b32 v113, v55 offset:1320
	s_waitcnt vmcnt(25)
	ds_write_b32 v113, v56 offset:1584
	s_waitcnt vmcnt(24)
	ds_write_b32 v113, v57 offset:1848
	s_waitcnt vmcnt(23)
	ds_write_b32 v113, v58 offset:2112
	s_waitcnt vmcnt(22)
	ds_write_b32 v113, v59 offset:2376
	s_waitcnt vmcnt(21)
	ds_write_b32 v113, v60 offset:2640
	s_waitcnt vmcnt(20)
	ds_write_b32 v113, v61 offset:2904
	s_waitcnt vmcnt(19)
	ds_write_b32 v113, v62 offset:3168
	s_waitcnt vmcnt(18)
	ds_write_b32 v113, v63 offset:3432
	s_waitcnt vmcnt(17)
	ds_write_b32 v113, v64 offset:3696
	s_waitcnt vmcnt(16)
	ds_write_b32 v113, v65 offset:3960
	ds_read_b64 v[64:65], v114
	ds_read_b64 v[62:63], v114 offset:32
	ds_read_b64 v[60:61], v114 offset:64
	ds_read_b64 v[58:59], v114 offset:96
	;; [unrolled: 40-line block ×3, first 2 shown]
	ds_read_b64 v[76:77], v114 offset:128
	ds_read_b64 v[72:73], v114 offset:160
	;; [unrolled: 1-line block ×4, first 2 shown]
	v_accvgpr_read_b32 v3, a15
	v_accvgpr_read_b32 v2, a14
	;; [unrolled: 1-line block ×16, first 2 shown]
	s_andn2_b64 vcc, exec, s[4:5]
	v_mov_b32_e32 v106, 0
	v_mov_b32_e32 v107, 0
	s_cbranch_vccnz .LBB123_9
; %bb.7:                                ;   in Loop: Header=BB123_6 Depth=1
	s_load_dword s62, s[34:35], 0x0
	v_mov_b32_e32 v107, 0
	v_mov_b32_e32 v106, 0
	s_waitcnt lgkmcnt(0)
	s_mul_hi_u32 s63, s62, s16
	s_add_i32 s63, s62, s63
	s_lshr_b32 s63, s63, s17
	s_cmp_ge_i32 s63, s13
	s_cbranch_scc1 .LBB123_9
; %bb.8:                                ;   in Loop: Header=BB123_6 Depth=1
	s_mul_i32 vcc_lo, s63, s18
	s_sub_i32 s62, s62, vcc_lo
	s_mul_i32 s63, s63, s20
	s_mul_i32 s62, s62, s1
	v_add_u32_e32 v82, s63, v112
	v_lshl_add_u32 v82, v82, 1, s62
	v_ashrrev_i32_e32 v83, 31, v82
	v_lshlrev_b64 v[82:83], 2, v[82:83]
	v_mov_b32_e32 v84, s11
	v_add_co_u32_e32 v82, vcc, s10, v82
	v_addc_co_u32_e32 v83, vcc, v84, v83, vcc
	global_load_dwordx2 v[106:107], v[82:83], off
.LBB123_9:                              ;   in Loop: Header=BB123_6 Depth=1
	s_andn2_b64 vcc, exec, s[36:37]
	v_mov_b32_e32 v100, 0
	v_mov_b32_e32 v104, 0
	v_mov_b32_e32 v105, 0
	s_cbranch_vccnz .LBB123_12
; %bb.10:                               ;   in Loop: Header=BB123_6 Depth=1
	s_load_dword s62, s[34:35], 0x4
	v_mov_b32_e32 v105, 0
	v_mov_b32_e32 v104, 0
	s_waitcnt lgkmcnt(0)
	s_mul_hi_u32 s63, s62, s16
	s_add_i32 s63, s62, s63
	s_lshr_b32 s63, s63, s17
	s_cmp_ge_i32 s63, s13
	s_cbranch_scc1 .LBB123_12
; %bb.11:                               ;   in Loop: Header=BB123_6 Depth=1
	s_mul_i32 vcc_lo, s63, s18
	s_sub_i32 s62, s62, vcc_lo
	s_mul_i32 s63, s63, s20
	s_mul_i32 s62, s62, s1
	v_add_u32_e32 v82, s63, v112
	v_lshl_add_u32 v82, v82, 1, s62
	v_ashrrev_i32_e32 v83, 31, v82
	v_lshlrev_b64 v[82:83], 2, v[82:83]
	v_mov_b32_e32 v84, s11
	v_add_co_u32_e32 v82, vcc, s10, v82
	v_addc_co_u32_e32 v83, vcc, v84, v83, vcc
	global_load_dwordx2 v[104:105], v[82:83], off
.LBB123_12:                             ;   in Loop: Header=BB123_6 Depth=1
	s_andn2_b64 vcc, exec, s[38:39]
	v_mov_b32_e32 v101, 0
	s_cbranch_vccnz .LBB123_15
; %bb.13:                               ;   in Loop: Header=BB123_6 Depth=1
	s_load_dword s62, s[34:35], 0x8
	v_mov_b32_e32 v101, 0
	v_mov_b32_e32 v100, 0
	s_waitcnt lgkmcnt(0)
	s_mul_hi_u32 s63, s62, s16
	s_add_i32 s63, s62, s63
	s_lshr_b32 s63, s63, s17
	s_cmp_ge_i32 s63, s13
	s_cbranch_scc1 .LBB123_15
; %bb.14:                               ;   in Loop: Header=BB123_6 Depth=1
	s_mul_i32 vcc_lo, s63, s18
	s_sub_i32 s62, s62, vcc_lo
	s_mul_i32 s63, s63, s20
	s_mul_i32 s62, s62, s1
	v_add_u32_e32 v82, s63, v112
	v_lshl_add_u32 v82, v82, 1, s62
	v_ashrrev_i32_e32 v83, 31, v82
	v_lshlrev_b64 v[82:83], 2, v[82:83]
	v_mov_b32_e32 v84, s11
	v_add_co_u32_e32 v82, vcc, s10, v82
	v_addc_co_u32_e32 v83, vcc, v84, v83, vcc
	global_load_dwordx2 v[100:101], v[82:83], off
.LBB123_15:                             ;   in Loop: Header=BB123_6 Depth=1
	s_andn2_b64 vcc, exec, s[40:41]
	v_mov_b32_e32 v96, 0
	v_mov_b32_e32 v102, 0
	v_mov_b32_e32 v103, 0
	s_cbranch_vccnz .LBB123_18
; %bb.16:                               ;   in Loop: Header=BB123_6 Depth=1
	s_load_dword s62, s[34:35], 0xc
	v_mov_b32_e32 v103, 0
	v_mov_b32_e32 v102, 0
	s_waitcnt lgkmcnt(0)
	s_mul_hi_u32 s63, s62, s16
	s_add_i32 s63, s62, s63
	s_lshr_b32 s63, s63, s17
	s_cmp_ge_i32 s63, s13
	s_cbranch_scc1 .LBB123_18
; %bb.17:                               ;   in Loop: Header=BB123_6 Depth=1
	s_mul_i32 vcc_lo, s63, s18
	s_sub_i32 s62, s62, vcc_lo
	s_mul_i32 s63, s63, s20
	s_mul_i32 s62, s62, s1
	v_add_u32_e32 v82, s63, v112
	v_lshl_add_u32 v82, v82, 1, s62
	v_ashrrev_i32_e32 v83, 31, v82
	v_lshlrev_b64 v[82:83], 2, v[82:83]
	v_mov_b32_e32 v84, s11
	v_add_co_u32_e32 v82, vcc, s10, v82
	v_addc_co_u32_e32 v83, vcc, v84, v83, vcc
	global_load_dwordx2 v[102:103], v[82:83], off
.LBB123_18:                             ;   in Loop: Header=BB123_6 Depth=1
	s_andn2_b64 vcc, exec, s[42:43]
	v_mov_b32_e32 v97, 0
	s_cbranch_vccnz .LBB123_21
; %bb.19:                               ;   in Loop: Header=BB123_6 Depth=1
	s_load_dword s62, s[34:35], 0x10
	v_mov_b32_e32 v97, 0
	v_mov_b32_e32 v96, 0
	s_waitcnt lgkmcnt(0)
	s_mul_hi_u32 s63, s62, s16
	s_add_i32 s63, s62, s63
	s_lshr_b32 s63, s63, s17
	s_cmp_ge_i32 s63, s13
	s_cbranch_scc1 .LBB123_21
; %bb.20:                               ;   in Loop: Header=BB123_6 Depth=1
	s_mul_i32 vcc_lo, s63, s18
	s_sub_i32 s62, s62, vcc_lo
	s_mul_i32 s63, s63, s20
	s_mul_i32 s62, s62, s1
	v_add_u32_e32 v82, s63, v112
	v_lshl_add_u32 v82, v82, 1, s62
	v_ashrrev_i32_e32 v83, 31, v82
	v_lshlrev_b64 v[82:83], 2, v[82:83]
	v_mov_b32_e32 v84, s11
	v_add_co_u32_e32 v82, vcc, s10, v82
	v_addc_co_u32_e32 v83, vcc, v84, v83, vcc
	global_load_dwordx2 v[96:97], v[82:83], off
.LBB123_21:                             ;   in Loop: Header=BB123_6 Depth=1
	;; [unrolled: 56-line block ×6, first 2 shown]
	s_waitcnt vmcnt(0)
	v_and_b32_e32 v118, 0x7f800000, v106
	v_cmp_ne_u32_e32 vcc, s83, v118
                                        ; implicit-def: $vgpr118
	s_and_saveexec_b64 s[62:63], vcc
	s_xor_b64 s[62:63], exec, s[62:63]
; %bb.46:                               ;   in Loop: Header=BB123_6 Depth=1
	v_bfe_u32 v118, v106, 16, 1
	v_add3_u32 v118, v106, v118, s84
; %bb.47:                               ;   in Loop: Header=BB123_6 Depth=1
	s_andn2_saveexec_b64 s[62:63], s[62:63]
; %bb.48:                               ;   in Loop: Header=BB123_6 Depth=1
	v_or_b32_e32 v118, 0x10000, v106
	v_cmp_eq_u32_sdwa vcc, v106, v116 src0_sel:WORD_0 src1_sel:DWORD
	v_cndmask_b32_e32 v118, v118, v106, vcc
; %bb.49:                               ;   in Loop: Header=BB123_6 Depth=1
	s_or_b64 exec, exec, s[62:63]
	v_and_b32_e32 v106, 0x7f800000, v107
	v_cmp_ne_u32_e32 vcc, s83, v106
                                        ; implicit-def: $vgpr106
	s_and_saveexec_b64 s[62:63], vcc
	s_xor_b64 s[62:63], exec, s[62:63]
; %bb.50:                               ;   in Loop: Header=BB123_6 Depth=1
	v_bfe_u32 v106, v107, 16, 1
	v_add3_u32 v106, v107, v106, s84
                                        ; implicit-def: $vgpr107
; %bb.51:                               ;   in Loop: Header=BB123_6 Depth=1
	s_andn2_saveexec_b64 s[62:63], s[62:63]
; %bb.52:                               ;   in Loop: Header=BB123_6 Depth=1
	v_or_b32_e32 v106, 0x10000, v107
	v_cmp_eq_u32_sdwa vcc, v107, v116 src0_sel:WORD_0 src1_sel:DWORD
	v_cndmask_b32_e32 v106, v106, v107, vcc
; %bb.53:                               ;   in Loop: Header=BB123_6 Depth=1
	s_or_b64 exec, exec, s[62:63]
	v_perm_b32 v106, v106, v118, s85
	ds_write_b32 v113, v106
	v_and_b32_e32 v106, 0x7f800000, v104
	v_cmp_ne_u32_e32 vcc, s83, v106
                                        ; implicit-def: $vgpr106
	s_and_saveexec_b64 s[62:63], vcc
	s_xor_b64 s[62:63], exec, s[62:63]
; %bb.54:                               ;   in Loop: Header=BB123_6 Depth=1
	v_bfe_u32 v106, v104, 16, 1
	v_add3_u32 v106, v104, v106, s84
; %bb.55:                               ;   in Loop: Header=BB123_6 Depth=1
	s_andn2_saveexec_b64 s[62:63], s[62:63]
; %bb.56:                               ;   in Loop: Header=BB123_6 Depth=1
	v_or_b32_e32 v106, 0x10000, v104
	v_cmp_eq_u32_sdwa vcc, v104, v116 src0_sel:WORD_0 src1_sel:DWORD
	v_cndmask_b32_e32 v106, v106, v104, vcc
; %bb.57:                               ;   in Loop: Header=BB123_6 Depth=1
	s_or_b64 exec, exec, s[62:63]
	v_and_b32_e32 v104, 0x7f800000, v105
	v_cmp_ne_u32_e32 vcc, s83, v104
                                        ; implicit-def: $vgpr104
	s_and_saveexec_b64 s[62:63], vcc
	s_xor_b64 s[62:63], exec, s[62:63]
; %bb.58:                               ;   in Loop: Header=BB123_6 Depth=1
	v_bfe_u32 v104, v105, 16, 1
	v_add3_u32 v104, v105, v104, s84
                                        ; implicit-def: $vgpr105
; %bb.59:                               ;   in Loop: Header=BB123_6 Depth=1
	s_andn2_saveexec_b64 s[62:63], s[62:63]
; %bb.60:                               ;   in Loop: Header=BB123_6 Depth=1
	v_or_b32_e32 v104, 0x10000, v105
	v_cmp_eq_u32_sdwa vcc, v105, v116 src0_sel:WORD_0 src1_sel:DWORD
	v_cndmask_b32_e32 v104, v104, v105, vcc
; %bb.61:                               ;   in Loop: Header=BB123_6 Depth=1
	s_or_b64 exec, exec, s[62:63]
	v_perm_b32 v104, v104, v106, s85
	ds_write_b32 v113, v104 offset:264
	v_and_b32_e32 v104, 0x7f800000, v100
	v_cmp_ne_u32_e32 vcc, s83, v104
                                        ; implicit-def: $vgpr104
	s_and_saveexec_b64 s[62:63], vcc
	s_xor_b64 s[62:63], exec, s[62:63]
; %bb.62:                               ;   in Loop: Header=BB123_6 Depth=1
	v_bfe_u32 v104, v100, 16, 1
	v_add3_u32 v104, v100, v104, s84
; %bb.63:                               ;   in Loop: Header=BB123_6 Depth=1
	s_andn2_saveexec_b64 s[62:63], s[62:63]
; %bb.64:                               ;   in Loop: Header=BB123_6 Depth=1
	v_or_b32_e32 v104, 0x10000, v100
	v_cmp_eq_u32_sdwa vcc, v100, v116 src0_sel:WORD_0 src1_sel:DWORD
	v_cndmask_b32_e32 v104, v104, v100, vcc
; %bb.65:                               ;   in Loop: Header=BB123_6 Depth=1
	s_or_b64 exec, exec, s[62:63]
	v_and_b32_e32 v100, 0x7f800000, v101
	v_cmp_ne_u32_e32 vcc, s83, v100
                                        ; implicit-def: $vgpr100
	s_and_saveexec_b64 s[62:63], vcc
	s_xor_b64 s[62:63], exec, s[62:63]
; %bb.66:                               ;   in Loop: Header=BB123_6 Depth=1
	v_bfe_u32 v100, v101, 16, 1
	v_add3_u32 v100, v101, v100, s84
                                        ; implicit-def: $vgpr101
; %bb.67:                               ;   in Loop: Header=BB123_6 Depth=1
	s_andn2_saveexec_b64 s[62:63], s[62:63]
; %bb.68:                               ;   in Loop: Header=BB123_6 Depth=1
	v_or_b32_e32 v100, 0x10000, v101
	v_cmp_eq_u32_sdwa vcc, v101, v116 src0_sel:WORD_0 src1_sel:DWORD
	v_cndmask_b32_e32 v100, v100, v101, vcc
; %bb.69:                               ;   in Loop: Header=BB123_6 Depth=1
	s_or_b64 exec, exec, s[62:63]
	v_perm_b32 v100, v100, v104, s85
	ds_write_b32 v113, v100 offset:528
	v_and_b32_e32 v100, 0x7f800000, v102
	v_cmp_ne_u32_e32 vcc, s83, v100
                                        ; implicit-def: $vgpr100
	s_and_saveexec_b64 s[62:63], vcc
	s_xor_b64 s[62:63], exec, s[62:63]
; %bb.70:                               ;   in Loop: Header=BB123_6 Depth=1
	v_bfe_u32 v100, v102, 16, 1
	v_add3_u32 v100, v102, v100, s84
; %bb.71:                               ;   in Loop: Header=BB123_6 Depth=1
	s_andn2_saveexec_b64 s[62:63], s[62:63]
; %bb.72:                               ;   in Loop: Header=BB123_6 Depth=1
	v_or_b32_e32 v100, 0x10000, v102
	v_cmp_eq_u32_sdwa vcc, v102, v116 src0_sel:WORD_0 src1_sel:DWORD
	v_cndmask_b32_e32 v100, v100, v102, vcc
; %bb.73:                               ;   in Loop: Header=BB123_6 Depth=1
	s_or_b64 exec, exec, s[62:63]
	v_and_b32_e32 v101, 0x7f800000, v103
	v_cmp_ne_u32_e32 vcc, s83, v101
                                        ; implicit-def: $vgpr101
	s_and_saveexec_b64 s[62:63], vcc
	s_xor_b64 s[62:63], exec, s[62:63]
; %bb.74:                               ;   in Loop: Header=BB123_6 Depth=1
	v_bfe_u32 v101, v103, 16, 1
	v_add3_u32 v101, v103, v101, s84
                                        ; implicit-def: $vgpr103
; %bb.75:                               ;   in Loop: Header=BB123_6 Depth=1
	s_andn2_saveexec_b64 s[62:63], s[62:63]
; %bb.76:                               ;   in Loop: Header=BB123_6 Depth=1
	v_or_b32_e32 v101, 0x10000, v103
	v_cmp_eq_u32_sdwa vcc, v103, v116 src0_sel:WORD_0 src1_sel:DWORD
	v_cndmask_b32_e32 v101, v101, v103, vcc
; %bb.77:                               ;   in Loop: Header=BB123_6 Depth=1
	s_or_b64 exec, exec, s[62:63]
	v_perm_b32 v100, v101, v100, s85
	ds_write_b32 v113, v100 offset:792
	v_and_b32_e32 v100, 0x7f800000, v96
	v_cmp_ne_u32_e32 vcc, s83, v100
                                        ; implicit-def: $vgpr100
	s_and_saveexec_b64 s[62:63], vcc
	s_xor_b64 s[62:63], exec, s[62:63]
; %bb.78:                               ;   in Loop: Header=BB123_6 Depth=1
	v_bfe_u32 v100, v96, 16, 1
	v_add3_u32 v100, v96, v100, s84
; %bb.79:                               ;   in Loop: Header=BB123_6 Depth=1
	s_andn2_saveexec_b64 s[62:63], s[62:63]
; %bb.80:                               ;   in Loop: Header=BB123_6 Depth=1
	v_or_b32_e32 v100, 0x10000, v96
	v_cmp_eq_u32_sdwa vcc, v96, v116 src0_sel:WORD_0 src1_sel:DWORD
	v_cndmask_b32_e32 v100, v100, v96, vcc
; %bb.81:                               ;   in Loop: Header=BB123_6 Depth=1
	s_or_b64 exec, exec, s[62:63]
	v_and_b32_e32 v96, 0x7f800000, v97
	v_cmp_ne_u32_e32 vcc, s83, v96
                                        ; implicit-def: $vgpr96
	s_and_saveexec_b64 s[62:63], vcc
	s_xor_b64 s[62:63], exec, s[62:63]
; %bb.82:                               ;   in Loop: Header=BB123_6 Depth=1
	v_bfe_u32 v96, v97, 16, 1
	v_add3_u32 v96, v97, v96, s84
                                        ; implicit-def: $vgpr97
; %bb.83:                               ;   in Loop: Header=BB123_6 Depth=1
	s_andn2_saveexec_b64 s[62:63], s[62:63]
; %bb.84:                               ;   in Loop: Header=BB123_6 Depth=1
	v_or_b32_e32 v96, 0x10000, v97
	v_cmp_eq_u32_sdwa vcc, v97, v116 src0_sel:WORD_0 src1_sel:DWORD
	v_cndmask_b32_e32 v96, v96, v97, vcc
; %bb.85:                               ;   in Loop: Header=BB123_6 Depth=1
	s_or_b64 exec, exec, s[62:63]
	v_perm_b32 v96, v96, v100, s85
	ds_write_b32 v113, v96 offset:1056
	v_and_b32_e32 v96, 0x7f800000, v98
	v_cmp_ne_u32_e32 vcc, s83, v96
                                        ; implicit-def: $vgpr96
	s_and_saveexec_b64 s[62:63], vcc
	s_xor_b64 s[62:63], exec, s[62:63]
; %bb.86:                               ;   in Loop: Header=BB123_6 Depth=1
	v_bfe_u32 v96, v98, 16, 1
	v_add3_u32 v96, v98, v96, s84
; %bb.87:                               ;   in Loop: Header=BB123_6 Depth=1
	s_andn2_saveexec_b64 s[62:63], s[62:63]
; %bb.88:                               ;   in Loop: Header=BB123_6 Depth=1
	v_or_b32_e32 v96, 0x10000, v98
	v_cmp_eq_u32_sdwa vcc, v98, v116 src0_sel:WORD_0 src1_sel:DWORD
	v_cndmask_b32_e32 v96, v96, v98, vcc
; %bb.89:                               ;   in Loop: Header=BB123_6 Depth=1
	s_or_b64 exec, exec, s[62:63]
	v_and_b32_e32 v97, 0x7f800000, v99
	v_cmp_ne_u32_e32 vcc, s83, v97
                                        ; implicit-def: $vgpr97
	s_and_saveexec_b64 s[62:63], vcc
	s_xor_b64 s[62:63], exec, s[62:63]
; %bb.90:                               ;   in Loop: Header=BB123_6 Depth=1
	v_bfe_u32 v97, v99, 16, 1
	v_add3_u32 v97, v99, v97, s84
                                        ; implicit-def: $vgpr99
; %bb.91:                               ;   in Loop: Header=BB123_6 Depth=1
	s_andn2_saveexec_b64 s[62:63], s[62:63]
; %bb.92:                               ;   in Loop: Header=BB123_6 Depth=1
	v_or_b32_e32 v97, 0x10000, v99
	v_cmp_eq_u32_sdwa vcc, v99, v116 src0_sel:WORD_0 src1_sel:DWORD
	v_cndmask_b32_e32 v97, v97, v99, vcc
; %bb.93:                               ;   in Loop: Header=BB123_6 Depth=1
	s_or_b64 exec, exec, s[62:63]
	v_perm_b32 v96, v97, v96, s85
	ds_write_b32 v113, v96 offset:1320
	v_and_b32_e32 v96, 0x7f800000, v92
	v_cmp_ne_u32_e32 vcc, s83, v96
                                        ; implicit-def: $vgpr96
	s_and_saveexec_b64 s[62:63], vcc
	s_xor_b64 s[62:63], exec, s[62:63]
; %bb.94:                               ;   in Loop: Header=BB123_6 Depth=1
	v_bfe_u32 v96, v92, 16, 1
	v_add3_u32 v96, v92, v96, s84
; %bb.95:                               ;   in Loop: Header=BB123_6 Depth=1
	s_andn2_saveexec_b64 s[62:63], s[62:63]
; %bb.96:                               ;   in Loop: Header=BB123_6 Depth=1
	v_or_b32_e32 v96, 0x10000, v92
	v_cmp_eq_u32_sdwa vcc, v92, v116 src0_sel:WORD_0 src1_sel:DWORD
	v_cndmask_b32_e32 v96, v96, v92, vcc
; %bb.97:                               ;   in Loop: Header=BB123_6 Depth=1
	s_or_b64 exec, exec, s[62:63]
	v_and_b32_e32 v92, 0x7f800000, v93
	v_cmp_ne_u32_e32 vcc, s83, v92
                                        ; implicit-def: $vgpr92
	s_and_saveexec_b64 s[62:63], vcc
	s_xor_b64 s[62:63], exec, s[62:63]
; %bb.98:                               ;   in Loop: Header=BB123_6 Depth=1
	v_bfe_u32 v92, v93, 16, 1
	v_add3_u32 v92, v93, v92, s84
                                        ; implicit-def: $vgpr93
; %bb.99:                               ;   in Loop: Header=BB123_6 Depth=1
	s_andn2_saveexec_b64 s[62:63], s[62:63]
; %bb.100:                              ;   in Loop: Header=BB123_6 Depth=1
	v_or_b32_e32 v92, 0x10000, v93
	v_cmp_eq_u32_sdwa vcc, v93, v116 src0_sel:WORD_0 src1_sel:DWORD
	v_cndmask_b32_e32 v92, v92, v93, vcc
; %bb.101:                              ;   in Loop: Header=BB123_6 Depth=1
	s_or_b64 exec, exec, s[62:63]
	v_perm_b32 v92, v92, v96, s85
	ds_write_b32 v113, v92 offset:1584
	v_and_b32_e32 v92, 0x7f800000, v94
	v_cmp_ne_u32_e32 vcc, s83, v92
                                        ; implicit-def: $vgpr92
	s_and_saveexec_b64 s[62:63], vcc
	s_xor_b64 s[62:63], exec, s[62:63]
; %bb.102:                              ;   in Loop: Header=BB123_6 Depth=1
	v_bfe_u32 v92, v94, 16, 1
	v_add3_u32 v92, v94, v92, s84
; %bb.103:                              ;   in Loop: Header=BB123_6 Depth=1
	s_andn2_saveexec_b64 s[62:63], s[62:63]
; %bb.104:                              ;   in Loop: Header=BB123_6 Depth=1
	v_or_b32_e32 v92, 0x10000, v94
	v_cmp_eq_u32_sdwa vcc, v94, v116 src0_sel:WORD_0 src1_sel:DWORD
	v_cndmask_b32_e32 v92, v92, v94, vcc
; %bb.105:                              ;   in Loop: Header=BB123_6 Depth=1
	s_or_b64 exec, exec, s[62:63]
	v_and_b32_e32 v93, 0x7f800000, v95
	v_cmp_ne_u32_e32 vcc, s83, v93
                                        ; implicit-def: $vgpr93
	s_and_saveexec_b64 s[62:63], vcc
	s_xor_b64 s[62:63], exec, s[62:63]
; %bb.106:                              ;   in Loop: Header=BB123_6 Depth=1
	v_bfe_u32 v93, v95, 16, 1
	v_add3_u32 v93, v95, v93, s84
                                        ; implicit-def: $vgpr95
; %bb.107:                              ;   in Loop: Header=BB123_6 Depth=1
	s_andn2_saveexec_b64 s[62:63], s[62:63]
; %bb.108:                              ;   in Loop: Header=BB123_6 Depth=1
	v_or_b32_e32 v93, 0x10000, v95
	v_cmp_eq_u32_sdwa vcc, v95, v116 src0_sel:WORD_0 src1_sel:DWORD
	v_cndmask_b32_e32 v93, v93, v95, vcc
; %bb.109:                              ;   in Loop: Header=BB123_6 Depth=1
	s_or_b64 exec, exec, s[62:63]
	v_perm_b32 v92, v93, v92, s85
	ds_write_b32 v113, v92 offset:1848
	v_and_b32_e32 v92, 0x7f800000, v88
	v_cmp_ne_u32_e32 vcc, s83, v92
                                        ; implicit-def: $vgpr92
	s_and_saveexec_b64 s[62:63], vcc
	s_xor_b64 s[62:63], exec, s[62:63]
; %bb.110:                              ;   in Loop: Header=BB123_6 Depth=1
	v_bfe_u32 v92, v88, 16, 1
	v_add3_u32 v92, v88, v92, s84
; %bb.111:                              ;   in Loop: Header=BB123_6 Depth=1
	s_andn2_saveexec_b64 s[62:63], s[62:63]
; %bb.112:                              ;   in Loop: Header=BB123_6 Depth=1
	v_or_b32_e32 v92, 0x10000, v88
	v_cmp_eq_u32_sdwa vcc, v88, v116 src0_sel:WORD_0 src1_sel:DWORD
	v_cndmask_b32_e32 v92, v92, v88, vcc
; %bb.113:                              ;   in Loop: Header=BB123_6 Depth=1
	s_or_b64 exec, exec, s[62:63]
	v_and_b32_e32 v88, 0x7f800000, v89
	v_cmp_ne_u32_e32 vcc, s83, v88
                                        ; implicit-def: $vgpr88
	s_and_saveexec_b64 s[62:63], vcc
	s_xor_b64 s[62:63], exec, s[62:63]
; %bb.114:                              ;   in Loop: Header=BB123_6 Depth=1
	v_bfe_u32 v88, v89, 16, 1
	v_add3_u32 v88, v89, v88, s84
                                        ; implicit-def: $vgpr89
; %bb.115:                              ;   in Loop: Header=BB123_6 Depth=1
	s_andn2_saveexec_b64 s[62:63], s[62:63]
; %bb.116:                              ;   in Loop: Header=BB123_6 Depth=1
	v_or_b32_e32 v88, 0x10000, v89
	v_cmp_eq_u32_sdwa vcc, v89, v116 src0_sel:WORD_0 src1_sel:DWORD
	v_cndmask_b32_e32 v88, v88, v89, vcc
; %bb.117:                              ;   in Loop: Header=BB123_6 Depth=1
	s_or_b64 exec, exec, s[62:63]
	v_perm_b32 v88, v88, v92, s85
	ds_write_b32 v113, v88 offset:2112
	v_and_b32_e32 v88, 0x7f800000, v90
	v_cmp_ne_u32_e32 vcc, s83, v88
                                        ; implicit-def: $vgpr88
	s_and_saveexec_b64 s[62:63], vcc
	s_xor_b64 s[62:63], exec, s[62:63]
; %bb.118:                              ;   in Loop: Header=BB123_6 Depth=1
	v_bfe_u32 v88, v90, 16, 1
	v_add3_u32 v88, v90, v88, s84
; %bb.119:                              ;   in Loop: Header=BB123_6 Depth=1
	s_andn2_saveexec_b64 s[62:63], s[62:63]
; %bb.120:                              ;   in Loop: Header=BB123_6 Depth=1
	v_or_b32_e32 v88, 0x10000, v90
	v_cmp_eq_u32_sdwa vcc, v90, v116 src0_sel:WORD_0 src1_sel:DWORD
	v_cndmask_b32_e32 v88, v88, v90, vcc
; %bb.121:                              ;   in Loop: Header=BB123_6 Depth=1
	s_or_b64 exec, exec, s[62:63]
	v_and_b32_e32 v89, 0x7f800000, v91
	v_cmp_ne_u32_e32 vcc, s83, v89
                                        ; implicit-def: $vgpr89
	s_and_saveexec_b64 s[62:63], vcc
	s_xor_b64 s[62:63], exec, s[62:63]
; %bb.122:                              ;   in Loop: Header=BB123_6 Depth=1
	v_bfe_u32 v89, v91, 16, 1
	v_add3_u32 v89, v91, v89, s84
                                        ; implicit-def: $vgpr91
; %bb.123:                              ;   in Loop: Header=BB123_6 Depth=1
	s_andn2_saveexec_b64 s[62:63], s[62:63]
; %bb.124:                              ;   in Loop: Header=BB123_6 Depth=1
	v_or_b32_e32 v89, 0x10000, v91
	v_cmp_eq_u32_sdwa vcc, v91, v116 src0_sel:WORD_0 src1_sel:DWORD
	v_cndmask_b32_e32 v89, v89, v91, vcc
; %bb.125:                              ;   in Loop: Header=BB123_6 Depth=1
	s_or_b64 exec, exec, s[62:63]
	v_perm_b32 v88, v89, v88, s85
	ds_write_b32 v113, v88 offset:2376
	v_and_b32_e32 v88, 0x7f800000, v84
	v_cmp_ne_u32_e32 vcc, s83, v88
                                        ; implicit-def: $vgpr88
	s_and_saveexec_b64 s[62:63], vcc
	s_xor_b64 s[62:63], exec, s[62:63]
; %bb.126:                              ;   in Loop: Header=BB123_6 Depth=1
	v_bfe_u32 v88, v84, 16, 1
	v_add3_u32 v88, v84, v88, s84
; %bb.127:                              ;   in Loop: Header=BB123_6 Depth=1
	s_andn2_saveexec_b64 s[62:63], s[62:63]
; %bb.128:                              ;   in Loop: Header=BB123_6 Depth=1
	v_or_b32_e32 v88, 0x10000, v84
	v_cmp_eq_u32_sdwa vcc, v84, v116 src0_sel:WORD_0 src1_sel:DWORD
	v_cndmask_b32_e32 v88, v88, v84, vcc
; %bb.129:                              ;   in Loop: Header=BB123_6 Depth=1
	s_or_b64 exec, exec, s[62:63]
	v_and_b32_e32 v84, 0x7f800000, v85
	v_cmp_ne_u32_e32 vcc, s83, v84
                                        ; implicit-def: $vgpr84
	s_and_saveexec_b64 s[62:63], vcc
	s_xor_b64 s[62:63], exec, s[62:63]
; %bb.130:                              ;   in Loop: Header=BB123_6 Depth=1
	v_bfe_u32 v84, v85, 16, 1
	v_add3_u32 v84, v85, v84, s84
                                        ; implicit-def: $vgpr85
; %bb.131:                              ;   in Loop: Header=BB123_6 Depth=1
	s_andn2_saveexec_b64 s[62:63], s[62:63]
; %bb.132:                              ;   in Loop: Header=BB123_6 Depth=1
	v_or_b32_e32 v84, 0x10000, v85
	v_cmp_eq_u32_sdwa vcc, v85, v116 src0_sel:WORD_0 src1_sel:DWORD
	v_cndmask_b32_e32 v84, v84, v85, vcc
; %bb.133:                              ;   in Loop: Header=BB123_6 Depth=1
	s_or_b64 exec, exec, s[62:63]
	v_perm_b32 v84, v84, v88, s85
	ds_write_b32 v113, v84 offset:2640
	v_and_b32_e32 v84, 0x7f800000, v86
	v_cmp_ne_u32_e32 vcc, s83, v84
                                        ; implicit-def: $vgpr84
	s_and_saveexec_b64 s[62:63], vcc
	s_xor_b64 s[62:63], exec, s[62:63]
; %bb.134:                              ;   in Loop: Header=BB123_6 Depth=1
	v_bfe_u32 v84, v86, 16, 1
	v_add3_u32 v84, v86, v84, s84
; %bb.135:                              ;   in Loop: Header=BB123_6 Depth=1
	s_andn2_saveexec_b64 s[62:63], s[62:63]
; %bb.136:                              ;   in Loop: Header=BB123_6 Depth=1
	v_or_b32_e32 v84, 0x10000, v86
	v_cmp_eq_u32_sdwa vcc, v86, v116 src0_sel:WORD_0 src1_sel:DWORD
	v_cndmask_b32_e32 v84, v84, v86, vcc
; %bb.137:                              ;   in Loop: Header=BB123_6 Depth=1
	s_or_b64 exec, exec, s[62:63]
	v_and_b32_e32 v85, 0x7f800000, v87
	v_cmp_ne_u32_e32 vcc, s83, v85
                                        ; implicit-def: $vgpr85
	s_and_saveexec_b64 s[62:63], vcc
	s_xor_b64 s[62:63], exec, s[62:63]
; %bb.138:                              ;   in Loop: Header=BB123_6 Depth=1
	v_bfe_u32 v85, v87, 16, 1
	v_add3_u32 v85, v87, v85, s84
                                        ; implicit-def: $vgpr87
; %bb.139:                              ;   in Loop: Header=BB123_6 Depth=1
	s_andn2_saveexec_b64 s[62:63], s[62:63]
; %bb.140:                              ;   in Loop: Header=BB123_6 Depth=1
	v_or_b32_e32 v85, 0x10000, v87
	v_cmp_eq_u32_sdwa vcc, v87, v116 src0_sel:WORD_0 src1_sel:DWORD
	v_cndmask_b32_e32 v85, v85, v87, vcc
; %bb.141:                              ;   in Loop: Header=BB123_6 Depth=1
	s_or_b64 exec, exec, s[62:63]
	v_perm_b32 v84, v85, v84, s85
	ds_write_b32 v113, v84 offset:2904
	v_and_b32_e32 v84, 0x7f800000, v82
	v_cmp_ne_u32_e32 vcc, s83, v84
                                        ; implicit-def: $vgpr84
	s_and_saveexec_b64 s[62:63], vcc
	s_xor_b64 s[62:63], exec, s[62:63]
; %bb.142:                              ;   in Loop: Header=BB123_6 Depth=1
	v_bfe_u32 v84, v82, 16, 1
	v_add3_u32 v84, v82, v84, s84
; %bb.143:                              ;   in Loop: Header=BB123_6 Depth=1
	s_andn2_saveexec_b64 s[62:63], s[62:63]
; %bb.144:                              ;   in Loop: Header=BB123_6 Depth=1
	v_or_b32_e32 v84, 0x10000, v82
	v_cmp_eq_u32_sdwa vcc, v82, v116 src0_sel:WORD_0 src1_sel:DWORD
	v_cndmask_b32_e32 v84, v84, v82, vcc
; %bb.145:                              ;   in Loop: Header=BB123_6 Depth=1
	s_or_b64 exec, exec, s[62:63]
	v_and_b32_e32 v82, 0x7f800000, v83
	v_cmp_ne_u32_e32 vcc, s83, v82
                                        ; implicit-def: $vgpr82
	s_and_saveexec_b64 s[62:63], vcc
	s_xor_b64 s[62:63], exec, s[62:63]
; %bb.146:                              ;   in Loop: Header=BB123_6 Depth=1
	v_bfe_u32 v82, v83, 16, 1
	v_add3_u32 v82, v83, v82, s84
                                        ; implicit-def: $vgpr83
; %bb.147:                              ;   in Loop: Header=BB123_6 Depth=1
	s_andn2_saveexec_b64 s[62:63], s[62:63]
	s_cbranch_execz .LBB123_5
; %bb.148:                              ;   in Loop: Header=BB123_6 Depth=1
	v_or_b32_e32 v82, 0x10000, v83
	v_cmp_eq_u32_sdwa vcc, v83, v116 src0_sel:WORD_0 src1_sel:DWORD
	v_cndmask_b32_e32 v82, v82, v83, vcc
	s_branch .LBB123_5
.LBB123_149:
	s_or_b64 exec, exec, s[8:9]
	v_readlane_b32 s24, v119, 6
	v_readlane_b32 s26, v119, 9
	;; [unrolled: 1-line block ×5, first 2 shown]
.LBB123_150:
	v_readlane_b32 s0, v119, 4
	v_readlane_b32 s1, v119, 5
	s_or_b64 exec, exec, s[0:1]
	s_lshl_b64 s[0:1], s[26:27], 2
	v_readlane_b32 s4, v119, 0
	v_lshlrev_b32_e32 v0, 2, v110
	v_or_b32_e32 v2, 12, v109
	v_readlane_b32 s5, v119, 1
	s_add_u32 s3, s4, s0
	v_add3_u32 v0, 0, v111, v0
	v_and_b32_e32 v1, 0x3f0, v109
	v_and_b32_e32 v2, 0x3fc, v2
	s_addc_u32 s8, s5, s1
	v_add_u32_e32 v1, v0, v1
	v_add_u32_e32 v0, v0, v2
	ds_write2_b32 v1, a0, a1 offset1:1
	ds_write_b32 v1, a2 offset:8
	ds_write_b32 v0, a3
	ds_write2_b32 v1, a4, a5 offset0:16 offset1:17
	ds_write_b32 v1, a6 offset:72
	ds_write_b32 v0, a7 offset:64
	ds_write2_b32 v1, a8, a9 offset0:32 offset1:33
	ds_write_b32 v1, a10 offset:136
	ds_write_b32 v0, a11 offset:128
	;; [unrolled: 3-line block ×3, first 2 shown]
	s_cmp_gt_i32 s14, 0
	v_add_u32_e32 v0, s6, v108
	s_cselect_b64 s[4:5], -1, 0
	v_cmp_gt_i32_e64 s[0:1], s33, v0
	v_cmp_gt_u32_e32 vcc, 13, v108
	s_and_b64 s[0:1], s[4:5], s[0:1]
	v_lshl_add_u32 v5, v109, 2, 0
	v_add_u32_e32 v4, s7, v109
	v_mul_u32_u24_e32 v6, 0x108, v108
	s_and_b64 s[10:11], vcc, s[0:1]
	s_and_saveexec_b64 s[0:1], s[10:11]
	v_readlane_b32 s14, v119, 2
	v_readlane_b32 s15, v119, 3
	s_cbranch_execz .LBB123_153
; %bb.151:
	v_ashrrev_i32_e32 v1, 31, v0
	v_lshlrev_b64 v[2:3], 2, v[0:1]
	v_mov_b32_e32 v1, s8
	v_add_co_u32_e32 v2, vcc, s3, v2
	v_addc_co_u32_e32 v3, vcc, v1, v3, vcc
	global_load_dword v1, v[2:3], off
	s_waitcnt vmcnt(0)
	v_mul_hi_u32 v2, v1, s19
	v_add_u32_e32 v2, v1, v2
	v_lshrrev_b32_e32 v2, s24, v2
	v_cmp_gt_i32_e32 vcc, s13, v2
	s_and_b64 exec, exec, vcc
	s_cbranch_execz .LBB123_153
; %bb.152:
	v_add_u32_e32 v3, v5, v6
	ds_read_b32 v3, v3
	v_mul_lo_u32 v7, v2, s25
	v_sub_u32_e32 v1, v1, v7
	v_mul_lo_u32 v2, v2, s21
	v_mul_lo_u32 v1, v1, s2
	s_waitcnt lgkmcnt(0)
	v_add_f32_e32 v7, 0, v3
	v_add3_u32 v2, v4, v2, v1
	v_mov_b32_e32 v3, 0
	v_lshlrev_b64 v[2:3], 2, v[2:3]
	v_mov_b32_e32 v1, s15
	v_add_co_u32_e32 v2, vcc, s14, v2
	v_addc_co_u32_e32 v3, vcc, v1, v3, vcc
	global_store_dword v[2:3], v7, off
.LBB123_153:
	s_or_b64 exec, exec, s[0:1]
	v_add_u32_e32 v1, 1, v0
	v_cmp_gt_i32_e64 s[0:1], s33, v1
	v_cmp_gt_u32_e32 vcc, 12, v108
	s_and_b64 s[0:1], s[4:5], s[0:1]
	s_and_b64 s[10:11], vcc, s[0:1]
	s_and_saveexec_b64 s[0:1], s[10:11]
	s_cbranch_execz .LBB123_156
; %bb.154:
	s_ashr_i32 s7, s6, 31
	v_mov_b32_e32 v1, s7
	v_add_co_u32_e32 v2, vcc, s6, v108
	v_addc_co_u32_e32 v3, vcc, 0, v1, vcc
	v_lshlrev_b64 v[2:3], 2, v[2:3]
	v_mov_b32_e32 v1, s8
	v_add_co_u32_e32 v2, vcc, s3, v2
	v_addc_co_u32_e32 v3, vcc, v1, v3, vcc
	global_load_dword v1, v[2:3], off offset:4
	v_mov_b32_e32 v3, 0
	s_waitcnt vmcnt(0)
	v_mul_hi_u32 v2, v1, s19
	v_add_u32_e32 v2, v1, v2
	v_lshrrev_b32_e32 v2, s24, v2
	v_cmp_gt_i32_e32 vcc, s13, v2
	s_and_b64 exec, exec, vcc
	s_cbranch_execz .LBB123_156
; %bb.155:
	v_add_u32_e32 v7, v6, v5
	v_mul_lo_u32 v8, v2, s25
	ds_read_b32 v7, v7 offset:264
	v_sub_u32_e32 v1, v1, v8
	v_mul_lo_u32 v2, v2, s21
	v_mul_lo_u32 v1, v1, s2
	v_add3_u32 v2, v4, v2, v1
	v_lshlrev_b64 v[2:3], 2, v[2:3]
	v_mov_b32_e32 v1, s15
	v_add_co_u32_e32 v2, vcc, s14, v2
	s_waitcnt lgkmcnt(0)
	v_add_f32_e32 v7, 0, v7
	v_addc_co_u32_e32 v3, vcc, v1, v3, vcc
	global_store_dword v[2:3], v7, off
.LBB123_156:
	s_or_b64 exec, exec, s[0:1]
	v_add_u32_e32 v1, 2, v0
	v_cmp_gt_i32_e64 s[0:1], s33, v1
	v_cmp_gt_u32_e32 vcc, 11, v108
	s_and_b64 s[0:1], s[4:5], s[0:1]
	s_and_b64 s[10:11], vcc, s[0:1]
	s_and_saveexec_b64 s[0:1], s[10:11]
	s_cbranch_execz .LBB123_159
; %bb.157:
	s_ashr_i32 s7, s6, 31
	v_mov_b32_e32 v1, s7
	v_add_co_u32_e32 v2, vcc, s6, v108
	v_addc_co_u32_e32 v3, vcc, 0, v1, vcc
	v_lshlrev_b64 v[2:3], 2, v[2:3]
	v_mov_b32_e32 v1, s8
	v_add_co_u32_e32 v2, vcc, s3, v2
	v_addc_co_u32_e32 v3, vcc, v1, v3, vcc
	global_load_dword v1, v[2:3], off offset:8
	v_mov_b32_e32 v3, 0
	s_waitcnt vmcnt(0)
	v_mul_hi_u32 v2, v1, s19
	v_add_u32_e32 v2, v1, v2
	v_lshrrev_b32_e32 v2, s24, v2
	v_cmp_gt_i32_e32 vcc, s13, v2
	s_and_b64 exec, exec, vcc
	s_cbranch_execz .LBB123_159
; %bb.158:
	v_add_u32_e32 v7, v5, v6
	v_mul_lo_u32 v8, v2, s25
	ds_read_b32 v7, v7 offset:528
	v_sub_u32_e32 v1, v1, v8
	v_mul_lo_u32 v2, v2, s21
	v_mul_lo_u32 v1, v1, s2
	v_add3_u32 v2, v4, v2, v1
	v_lshlrev_b64 v[2:3], 2, v[2:3]
	v_mov_b32_e32 v1, s15
	v_add_co_u32_e32 v2, vcc, s14, v2
	s_waitcnt lgkmcnt(0)
	v_add_f32_e32 v7, 0, v7
	v_addc_co_u32_e32 v3, vcc, v1, v3, vcc
	global_store_dword v[2:3], v7, off
.LBB123_159:
	;; [unrolled: 42-line block ×11, first 2 shown]
	s_or_b64 exec, exec, s[0:1]
	v_add_u32_e32 v0, 12, v0
	v_cmp_gt_i32_e64 s[0:1], s33, v0
	v_cmp_eq_u32_e32 vcc, 0, v108
	s_and_b64 s[0:1], s[4:5], s[0:1]
	s_and_b64 s[0:1], vcc, s[0:1]
	s_and_saveexec_b64 s[4:5], s[0:1]
	s_cbranch_execz .LBB123_189
; %bb.187:
	s_ashr_i32 s7, s6, 31
	s_lshl_b64 s[0:1], s[6:7], 2
	s_add_u32 s0, s3, s0
	s_addc_u32 s1, s8, s1
	s_load_dword s0, s[0:1], 0x30
	s_waitcnt lgkmcnt(0)
	s_mul_hi_u32 s1, s0, s19
	s_add_i32 s1, s0, s1
	s_lshr_b32 s1, s1, s24
	s_cmp_ge_i32 s1, s13
	s_cbranch_scc1 .LBB123_189
; %bb.188:
	v_add_u32_e32 v0, v5, v6
	ds_read_b32 v0, v0 offset:3168
	s_mul_i32 s3, s1, s25
	s_sub_i32 s0, s0, s3
	s_mul_i32 s1, s1, s21
	s_mul_i32 s0, s0, s2
	s_add_i32 s0, s0, s1
	s_waitcnt lgkmcnt(0)
	v_add_f32_e32 v2, 0, v0
	v_add_u32_e32 v0, s0, v4
	v_mov_b32_e32 v1, 0
	v_lshlrev_b64 v[0:1], 2, v[0:1]
	v_mov_b32_e32 v3, s15
	v_add_co_u32_e32 v0, vcc, s14, v0
	v_addc_co_u32_e32 v1, vcc, v3, v1, vcc
	global_store_dword v[0:1], v2, off
.LBB123_189:
	s_endpgm
	.section	.rodata,"a",@progbits
	.p2align	6, 0x0
	.amdhsa_kernel _ZL13mul_mat_f_idsI15__hip_bfloat162Li64ELi13ELi1EEvPKT_PKfPKiS7_S7_Pfiiiiiiiiiiiiii15HIP_vector_typeIjLj3EESA_
		.amdhsa_group_segment_fixed_size 0
		.amdhsa_private_segment_fixed_size 0
		.amdhsa_kernarg_size 128
		.amdhsa_user_sgpr_count 6
		.amdhsa_user_sgpr_private_segment_buffer 1
		.amdhsa_user_sgpr_dispatch_ptr 0
		.amdhsa_user_sgpr_queue_ptr 0
		.amdhsa_user_sgpr_kernarg_segment_ptr 1
		.amdhsa_user_sgpr_dispatch_id 0
		.amdhsa_user_sgpr_flat_scratch_init 0
		.amdhsa_user_sgpr_kernarg_preload_length 0
		.amdhsa_user_sgpr_kernarg_preload_offset 0
		.amdhsa_user_sgpr_private_segment_size 0
		.amdhsa_uses_dynamic_stack 0
		.amdhsa_system_sgpr_private_segment_wavefront_offset 0
		.amdhsa_system_sgpr_workgroup_id_x 1
		.amdhsa_system_sgpr_workgroup_id_y 1
		.amdhsa_system_sgpr_workgroup_id_z 1
		.amdhsa_system_sgpr_workgroup_info 0
		.amdhsa_system_vgpr_workitem_id 1
		.amdhsa_next_free_vgpr 136
		.amdhsa_next_free_sgpr 96
		.amdhsa_accum_offset 120
		.amdhsa_reserve_vcc 1
		.amdhsa_reserve_flat_scratch 0
		.amdhsa_float_round_mode_32 0
		.amdhsa_float_round_mode_16_64 0
		.amdhsa_float_denorm_mode_32 3
		.amdhsa_float_denorm_mode_16_64 3
		.amdhsa_dx10_clamp 1
		.amdhsa_ieee_mode 1
		.amdhsa_fp16_overflow 0
		.amdhsa_tg_split 0
		.amdhsa_exception_fp_ieee_invalid_op 0
		.amdhsa_exception_fp_denorm_src 0
		.amdhsa_exception_fp_ieee_div_zero 0
		.amdhsa_exception_fp_ieee_overflow 0
		.amdhsa_exception_fp_ieee_underflow 0
		.amdhsa_exception_fp_ieee_inexact 0
		.amdhsa_exception_int_div_zero 0
	.end_amdhsa_kernel
	.section	.text._ZL13mul_mat_f_idsI15__hip_bfloat162Li64ELi13ELi1EEvPKT_PKfPKiS7_S7_Pfiiiiiiiiiiiiii15HIP_vector_typeIjLj3EESA_,"axG",@progbits,_ZL13mul_mat_f_idsI15__hip_bfloat162Li64ELi13ELi1EEvPKT_PKfPKiS7_S7_Pfiiiiiiiiiiiiii15HIP_vector_typeIjLj3EESA_,comdat
.Lfunc_end123:
	.size	_ZL13mul_mat_f_idsI15__hip_bfloat162Li64ELi13ELi1EEvPKT_PKfPKiS7_S7_Pfiiiiiiiiiiiiii15HIP_vector_typeIjLj3EESA_, .Lfunc_end123-_ZL13mul_mat_f_idsI15__hip_bfloat162Li64ELi13ELi1EEvPKT_PKfPKiS7_S7_Pfiiiiiiiiiiiiii15HIP_vector_typeIjLj3EESA_
                                        ; -- End function
	.section	.AMDGPU.csdata,"",@progbits
; Kernel info:
; codeLenInByte = 11372
; NumSgprs: 100
; NumVgprs: 120
; NumAgprs: 16
; TotalNumVgprs: 136
; ScratchSize: 0
; MemoryBound: 0
; FloatMode: 240
; IeeeMode: 1
; LDSByteSize: 0 bytes/workgroup (compile time only)
; SGPRBlocks: 12
; VGPRBlocks: 16
; NumSGPRsForWavesPerEU: 100
; NumVGPRsForWavesPerEU: 136
; AccumOffset: 120
; Occupancy: 3
; WaveLimiterHint : 1
; COMPUTE_PGM_RSRC2:SCRATCH_EN: 0
; COMPUTE_PGM_RSRC2:USER_SGPR: 6
; COMPUTE_PGM_RSRC2:TRAP_HANDLER: 0
; COMPUTE_PGM_RSRC2:TGID_X_EN: 1
; COMPUTE_PGM_RSRC2:TGID_Y_EN: 1
; COMPUTE_PGM_RSRC2:TGID_Z_EN: 1
; COMPUTE_PGM_RSRC2:TIDIG_COMP_CNT: 1
; COMPUTE_PGM_RSRC3_GFX90A:ACCUM_OFFSET: 29
; COMPUTE_PGM_RSRC3_GFX90A:TG_SPLIT: 0
	.section	.text._ZL9mul_mat_fI15__hip_bfloat162Li64ELi13ELi1ELb1EEvPKT_PKfPKiPfiiiiiiiiiiiiiiii,"axG",@progbits,_ZL9mul_mat_fI15__hip_bfloat162Li64ELi13ELi1ELb1EEvPKT_PKfPKiPfiiiiiiiiiiiiiiii,comdat
	.globl	_ZL9mul_mat_fI15__hip_bfloat162Li64ELi13ELi1ELb1EEvPKT_PKfPKiPfiiiiiiiiiiiiiiii ; -- Begin function _ZL9mul_mat_fI15__hip_bfloat162Li64ELi13ELi1ELb1EEvPKT_PKfPKiPfiiiiiiiiiiiiiiii
	.p2align	8
	.type	_ZL9mul_mat_fI15__hip_bfloat162Li64ELi13ELi1ELb1EEvPKT_PKfPKiPfiiiiiiiiiiiiiiii,@function
_ZL9mul_mat_fI15__hip_bfloat162Li64ELi13ELi1ELb1EEvPKT_PKfPKiPfiiiiiiiiiiiiiiii: ; @_ZL9mul_mat_fI15__hip_bfloat162Li64ELi13ELi1ELb1EEvPKT_PKfPKiPfiiiiiiiiiiiiiiii
; %bb.0:
	s_load_dwordx8 s[40:47], s[4:5], 0x20
	v_and_b32_e32 v16, 0x3ff, v0
	v_bfe_u32 v17, v0, 10, 10
	v_cmp_eq_u32_e32 vcc, 0, v16
	s_waitcnt lgkmcnt(0)
	s_add_i32 s0, s41, 12
	s_mul_hi_i32 s0, s0, 0x4ec4ec4f
	s_lshr_b32 s1, s0, 31
	s_ashr_i32 s0, s0, 2
	s_add_i32 s0, s0, s1
	v_cvt_f32_u32_e32 v1, s0
	s_load_dwordx4 s[48:51], s[4:5], 0x44
	s_load_dword s1, s[4:5], 0x64
	s_add_u32 s52, s4, 0x60
	s_addc_u32 s53, s5, 0
	v_rcp_iflag_f32_e32 v1, v1
	s_sub_i32 s2, 0, s0
	v_mul_f32_e32 v1, 0x4f7ffffe, v1
	v_cvt_u32_f32_e32 v1, v1
	v_readfirstlane_b32 s3, v1
	s_mul_i32 s2, s2, s3
	s_mul_hi_u32 s2, s3, s2
	s_add_i32 s3, s3, s2
	s_waitcnt lgkmcnt(0)
	s_mul_hi_u32 s2, s1, s3
	s_mul_i32 s3, s2, s0
	s_sub_i32 s1, s1, s3
	s_add_i32 s9, s2, 1
	s_sub_i32 s3, s1, s0
	s_cmp_ge_u32 s1, s0
	s_cselect_b32 s2, s9, s2
	s_cselect_b32 s1, s3, s1
	s_add_i32 s3, s2, 1
	s_cmp_ge_u32 s1, s0
	s_cselect_b32 s9, s3, s2
	v_cvt_f32_u32_e32 v1, s9
	s_abs_i32 s27, s51
	v_cvt_f32_u32_e32 v2, s27
	s_load_dwordx2 s[0:1], s[4:5], 0x10
	v_rcp_iflag_f32_e32 v1, v1
	s_sub_i32 s2, 0, s9
	v_rcp_iflag_f32_e32 v2, v2
	v_mul_f32_e32 v1, 0x4f7ffffe, v1
	v_cvt_u32_f32_e32 v1, v1
	v_mul_f32_e32 v2, 0x4f7ffffe, v2
	v_cvt_u32_f32_e32 v2, v2
	v_readfirstlane_b32 s3, v1
	s_mul_i32 s2, s2, s3
	s_mul_hi_u32 s2, s3, s2
	s_add_i32 s3, s3, s2
	v_readfirstlane_b32 s26, v2
	s_mul_hi_u32 s10, s7, s3
	s_and_saveexec_b64 s[2:3], vcc
	s_cbranch_execz .LBB124_2
; %bb.1:
	v_mov_b32_e32 v1, 0x100
	v_lshl_add_u32 v1, v17, 2, v1
	v_mov_b32_e32 v2, -1
	ds_write_b32 v1, v2
.LBB124_2:
	s_or_b64 exec, exec, s[2:3]
	s_mul_i32 s2, s10, s9
	s_sub_i32 s2, s7, s2
	s_add_i32 s3, s10, 1
	s_sub_i32 s11, s2, s9
	s_cmp_ge_u32 s2, s9
	s_cselect_b32 s3, s3, s10
	s_cselect_b32 s2, s11, s2
	s_add_i32 s10, s3, 1
	s_cmp_ge_u32 s2, s9
	s_cselect_b32 s2, s10, s3
	s_mul_i32 s3, s2, s9
	s_mul_i32 s9, s2, 13
	s_sub_i32 s7, s7, s3
	s_mul_hi_i32 s3, s9, s47
	s_mul_i32 s2, s9, s47
	s_lshl_b64 s[2:3], s[2:3], 2
	s_waitcnt lgkmcnt(0)
	s_add_u32 s0, s0, s2
	v_add_u32_e32 v1, s9, v17
	s_addc_u32 s1, s1, s3
	v_cmp_gt_i32_e64 s[28:29], s42, v16
	v_cmp_gt_i32_e64 s[30:31], s41, v1
	v_mov_b32_e32 v1, 0
	s_and_saveexec_b64 s[12:13], s[30:31]
	s_cbranch_execz .LBB124_10
; %bb.3:
	v_mov_b32_e32 v1, 0
	s_and_saveexec_b64 s[14:15], s[28:29]
	s_cbranch_execz .LBB124_9
; %bb.4:
	v_mul_lo_u32 v2, v17, s47
	v_ashrrev_i32_e32 v3, 31, v2
	v_lshlrev_b64 v[2:3], 2, v[2:3]
	v_mov_b32_e32 v1, s1
	v_add_co_u32_e64 v4, s[2:3], s0, v2
	v_addc_co_u32_e64 v5, s[2:3], v1, v3, s[2:3]
	v_mov_b32_e32 v1, 0x100
	v_lshl_add_u32 v6, v17, 2, v1
	v_mul_lo_u32 v2, v16, s46
	s_lshl_b32 s20, s46, 6
	s_mov_b64 s[16:17], 0
	v_mov_b32_e32 v1, 0
	v_mov_b32_e32 v7, v16
	s_branch .LBB124_6
.LBB124_5:                              ;   in Loop: Header=BB124_6 Depth=1
	s_or_b64 exec, exec, s[18:19]
	v_add_u32_e32 v7, 64, v7
	v_cmp_le_i32_e64 s[10:11], s42, v7
	s_xor_b64 s[2:3], s[2:3], -1
	s_or_b64 s[2:3], s[2:3], s[10:11]
	s_and_b64 s[2:3], exec, s[2:3]
	s_or_b64 s[16:17], s[2:3], s[16:17]
	v_add_u32_e32 v2, s20, v2
	s_andn2_b64 exec, exec, s[16:17]
	s_cbranch_execz .LBB124_8
.LBB124_6:                              ; =>This Inner Loop Header: Depth=1
	v_ashrrev_i32_e32 v3, 31, v2
	v_lshlrev_b64 v[8:9], 2, v[2:3]
	v_add_co_u32_e64 v8, s[2:3], v4, v8
	v_addc_co_u32_e64 v9, s[2:3], v5, v9, s[2:3]
	global_load_dword v3, v[8:9], off
	s_waitcnt vmcnt(0)
	v_cmp_ne_u32_e64 s[2:3], s7, v3
	v_cmp_eq_u32_e64 s[10:11], s7, v3
	s_and_saveexec_b64 s[18:19], s[10:11]
	s_cbranch_execz .LBB124_5
; %bb.7:                                ;   in Loop: Header=BB124_6 Depth=1
	v_mov_b32_e32 v1, 1
	ds_write_b32 v6, v7
	s_branch .LBB124_5
.LBB124_8:
	s_or_b64 exec, exec, s[16:17]
.LBB124_9:
	s_or_b64 exec, exec, s[14:15]
.LBB124_10:
	s_or_b64 exec, exec, s[12:13]
	s_and_saveexec_b64 s[2:3], vcc
	s_cbranch_execz .LBB124_12
; %bb.11:
	v_mov_b32_e32 v2, 0x100
	v_lshl_add_u32 v2, v17, 2, v2
	v_mov_b32_e32 v3, -1
	ds_write_b32 v2, v3 offset:4
.LBB124_12:
	s_or_b64 exec, exec, s[2:3]
	v_add_u32_e32 v86, 1, v17
	v_add_u32_e32 v2, s9, v86
	v_cmp_gt_i32_e64 s[2:3], s41, v2
	s_mov_b64 s[14:15], exec
                                        ; implicit-def: $vgpr112 : SGPR spill to VGPR lane
	v_writelane_b32 v112, s2, 0
	v_writelane_b32 v112, s3, 1
	s_and_b64 s[2:3], s[14:15], s[2:3]
	s_mov_b64 exec, s[2:3]
	s_cbranch_execz .LBB124_20
; %bb.13:
	s_and_saveexec_b64 s[16:17], s[28:29]
	s_cbranch_execz .LBB124_19
; %bb.14:
	v_mul_lo_u32 v2, v86, s47
	v_ashrrev_i32_e32 v3, 31, v2
	v_lshlrev_b64 v[2:3], 2, v[2:3]
	v_mov_b32_e32 v5, s1
	v_add_co_u32_e64 v4, s[10:11], s0, v2
	v_mov_b32_e32 v2, 0x100
	v_addc_co_u32_e64 v5, s[10:11], v5, v3, s[10:11]
	v_lshl_add_u32 v6, v17, 2, v2
	v_mul_lo_u32 v2, v16, s46
	s_lshl_b32 s2, s46, 6
	s_mov_b64 s[18:19], 0
	v_mov_b32_e32 v7, v16
	s_branch .LBB124_16
.LBB124_15:                             ;   in Loop: Header=BB124_16 Depth=1
	s_or_b64 exec, exec, s[20:21]
	v_add_u32_e32 v7, 64, v7
	v_cmp_le_i32_e64 s[12:13], s42, v7
	s_xor_b64 s[10:11], s[10:11], -1
	s_or_b64 s[10:11], s[10:11], s[12:13]
	s_and_b64 s[10:11], exec, s[10:11]
	s_or_b64 s[18:19], s[10:11], s[18:19]
	v_add_u32_e32 v2, s2, v2
	s_andn2_b64 exec, exec, s[18:19]
	s_cbranch_execz .LBB124_18
.LBB124_16:                             ; =>This Inner Loop Header: Depth=1
	v_ashrrev_i32_e32 v3, 31, v2
	v_lshlrev_b64 v[8:9], 2, v[2:3]
	v_add_co_u32_e64 v8, s[10:11], v4, v8
	v_addc_co_u32_e64 v9, s[10:11], v5, v9, s[10:11]
	global_load_dword v3, v[8:9], off
	s_waitcnt vmcnt(0)
	v_cmp_ne_u32_e64 s[10:11], s7, v3
	v_cmp_eq_u32_e64 s[12:13], s7, v3
	s_and_saveexec_b64 s[20:21], s[12:13]
	s_cbranch_execz .LBB124_15
; %bb.17:                               ;   in Loop: Header=BB124_16 Depth=1
	v_mov_b32_e32 v1, 1
	ds_write_b32 v6, v7 offset:4
	s_branch .LBB124_15
.LBB124_18:
	s_or_b64 exec, exec, s[18:19]
.LBB124_19:
	s_or_b64 exec, exec, s[16:17]
.LBB124_20:
	s_or_b64 exec, exec, s[14:15]
	s_and_saveexec_b64 s[10:11], vcc
	s_cbranch_execz .LBB124_22
; %bb.21:
	v_mov_b32_e32 v2, 0x100
	v_lshl_add_u32 v2, v17, 2, v2
	v_mov_b32_e32 v3, -1
	ds_write_b32 v2, v3 offset:8
.LBB124_22:
	s_or_b64 exec, exec, s[10:11]
	v_add_u32_e32 v87, 2, v17
	v_add_u32_e32 v2, s9, v87
	v_cmp_gt_i32_e64 s[2:3], s41, v2
	s_mov_b64 s[14:15], exec
	v_writelane_b32 v112, s2, 2
	v_writelane_b32 v112, s3, 3
	s_and_b64 s[2:3], s[14:15], s[2:3]
	s_mov_b64 exec, s[2:3]
	s_cbranch_execz .LBB124_30
; %bb.23:
	s_and_saveexec_b64 s[16:17], s[28:29]
	s_cbranch_execz .LBB124_29
; %bb.24:
	v_mul_lo_u32 v2, v87, s47
	v_ashrrev_i32_e32 v3, 31, v2
	v_lshlrev_b64 v[2:3], 2, v[2:3]
	v_mov_b32_e32 v5, s1
	v_add_co_u32_e64 v4, s[10:11], s0, v2
	v_mov_b32_e32 v2, 0x100
	v_addc_co_u32_e64 v5, s[10:11], v5, v3, s[10:11]
	v_lshl_add_u32 v6, v17, 2, v2
	v_mul_lo_u32 v2, v16, s46
	s_lshl_b32 s2, s46, 6
	s_mov_b64 s[18:19], 0
	v_mov_b32_e32 v7, v16
	s_branch .LBB124_26
.LBB124_25:                             ;   in Loop: Header=BB124_26 Depth=1
	s_or_b64 exec, exec, s[20:21]
	v_add_u32_e32 v7, 64, v7
	v_cmp_le_i32_e64 s[12:13], s42, v7
	s_xor_b64 s[10:11], s[10:11], -1
	s_or_b64 s[10:11], s[10:11], s[12:13]
	s_and_b64 s[10:11], exec, s[10:11]
	s_or_b64 s[18:19], s[10:11], s[18:19]
	v_add_u32_e32 v2, s2, v2
	s_andn2_b64 exec, exec, s[18:19]
	s_cbranch_execz .LBB124_28
.LBB124_26:                             ; =>This Inner Loop Header: Depth=1
	v_ashrrev_i32_e32 v3, 31, v2
	v_lshlrev_b64 v[8:9], 2, v[2:3]
	v_add_co_u32_e64 v8, s[10:11], v4, v8
	v_addc_co_u32_e64 v9, s[10:11], v5, v9, s[10:11]
	global_load_dword v3, v[8:9], off
	s_waitcnt vmcnt(0)
	v_cmp_ne_u32_e64 s[10:11], s7, v3
	v_cmp_eq_u32_e64 s[12:13], s7, v3
	s_and_saveexec_b64 s[20:21], s[12:13]
	s_cbranch_execz .LBB124_25
; %bb.27:                               ;   in Loop: Header=BB124_26 Depth=1
	v_mov_b32_e32 v1, 1
	ds_write_b32 v6, v7 offset:8
	s_branch .LBB124_25
.LBB124_28:
	s_or_b64 exec, exec, s[18:19]
.LBB124_29:
	s_or_b64 exec, exec, s[16:17]
.LBB124_30:
	s_or_b64 exec, exec, s[14:15]
	s_and_saveexec_b64 s[10:11], vcc
	s_cbranch_execz .LBB124_32
; %bb.31:
	v_mov_b32_e32 v2, 0x100
	v_lshl_add_u32 v2, v17, 2, v2
	v_mov_b32_e32 v3, -1
	ds_write_b32 v2, v3 offset:12
.LBB124_32:
	s_or_b64 exec, exec, s[10:11]
	v_add_u32_e32 v88, 3, v17
	v_add_u32_e32 v2, s9, v88
	v_cmp_gt_i32_e64 s[2:3], s41, v2
	s_mov_b64 s[14:15], exec
	v_writelane_b32 v112, s2, 4
	v_writelane_b32 v112, s3, 5
	s_and_b64 s[2:3], s[14:15], s[2:3]
	s_mov_b64 exec, s[2:3]
	s_cbranch_execz .LBB124_40
; %bb.33:
	s_and_saveexec_b64 s[16:17], s[28:29]
	s_cbranch_execz .LBB124_39
; %bb.34:
	v_mul_lo_u32 v2, v88, s47
	v_ashrrev_i32_e32 v3, 31, v2
	v_lshlrev_b64 v[2:3], 2, v[2:3]
	v_mov_b32_e32 v5, s1
	v_add_co_u32_e64 v4, s[10:11], s0, v2
	v_mov_b32_e32 v2, 0x100
	v_addc_co_u32_e64 v5, s[10:11], v5, v3, s[10:11]
	v_lshl_add_u32 v6, v17, 2, v2
	v_mul_lo_u32 v2, v16, s46
	s_lshl_b32 s2, s46, 6
	s_mov_b64 s[18:19], 0
	v_mov_b32_e32 v7, v16
	s_branch .LBB124_36
.LBB124_35:                             ;   in Loop: Header=BB124_36 Depth=1
	s_or_b64 exec, exec, s[20:21]
	v_add_u32_e32 v7, 64, v7
	v_cmp_le_i32_e64 s[12:13], s42, v7
	s_xor_b64 s[10:11], s[10:11], -1
	s_or_b64 s[10:11], s[10:11], s[12:13]
	s_and_b64 s[10:11], exec, s[10:11]
	s_or_b64 s[18:19], s[10:11], s[18:19]
	v_add_u32_e32 v2, s2, v2
	s_andn2_b64 exec, exec, s[18:19]
	s_cbranch_execz .LBB124_38
.LBB124_36:                             ; =>This Inner Loop Header: Depth=1
	v_ashrrev_i32_e32 v3, 31, v2
	v_lshlrev_b64 v[8:9], 2, v[2:3]
	v_add_co_u32_e64 v8, s[10:11], v4, v8
	v_addc_co_u32_e64 v9, s[10:11], v5, v9, s[10:11]
	global_load_dword v3, v[8:9], off
	s_waitcnt vmcnt(0)
	v_cmp_ne_u32_e64 s[10:11], s7, v3
	v_cmp_eq_u32_e64 s[12:13], s7, v3
	s_and_saveexec_b64 s[20:21], s[12:13]
	s_cbranch_execz .LBB124_35
; %bb.37:                               ;   in Loop: Header=BB124_36 Depth=1
	v_mov_b32_e32 v1, 1
	ds_write_b32 v6, v7 offset:12
	s_branch .LBB124_35
.LBB124_38:
	s_or_b64 exec, exec, s[18:19]
.LBB124_39:
	s_or_b64 exec, exec, s[16:17]
.LBB124_40:
	s_or_b64 exec, exec, s[14:15]
	s_and_saveexec_b64 s[10:11], vcc
	s_cbranch_execz .LBB124_42
; %bb.41:
	v_mov_b32_e32 v2, 0x100
	v_lshl_add_u32 v2, v17, 2, v2
	v_mov_b32_e32 v3, -1
	ds_write_b32 v2, v3 offset:16
.LBB124_42:
	s_or_b64 exec, exec, s[10:11]
	v_add_u32_e32 v89, 4, v17
	v_add_u32_e32 v2, s9, v89
	v_cmp_gt_i32_e64 s[2:3], s41, v2
	s_mov_b64 s[14:15], exec
	v_writelane_b32 v112, s2, 6
	v_writelane_b32 v112, s3, 7
	s_and_b64 s[2:3], s[14:15], s[2:3]
	s_mov_b64 exec, s[2:3]
	s_cbranch_execz .LBB124_50
; %bb.43:
	s_and_saveexec_b64 s[16:17], s[28:29]
	s_cbranch_execz .LBB124_49
; %bb.44:
	v_mul_lo_u32 v2, v89, s47
	v_ashrrev_i32_e32 v3, 31, v2
	v_lshlrev_b64 v[2:3], 2, v[2:3]
	v_mov_b32_e32 v5, s1
	v_add_co_u32_e64 v4, s[10:11], s0, v2
	v_mov_b32_e32 v2, 0x100
	v_addc_co_u32_e64 v5, s[10:11], v5, v3, s[10:11]
	v_lshl_add_u32 v6, v17, 2, v2
	v_mul_lo_u32 v2, v16, s46
	s_lshl_b32 s2, s46, 6
	s_mov_b64 s[18:19], 0
	v_mov_b32_e32 v7, v16
	s_branch .LBB124_46
.LBB124_45:                             ;   in Loop: Header=BB124_46 Depth=1
	s_or_b64 exec, exec, s[20:21]
	v_add_u32_e32 v7, 64, v7
	v_cmp_le_i32_e64 s[12:13], s42, v7
	s_xor_b64 s[10:11], s[10:11], -1
	s_or_b64 s[10:11], s[10:11], s[12:13]
	s_and_b64 s[10:11], exec, s[10:11]
	s_or_b64 s[18:19], s[10:11], s[18:19]
	v_add_u32_e32 v2, s2, v2
	s_andn2_b64 exec, exec, s[18:19]
	s_cbranch_execz .LBB124_48
.LBB124_46:                             ; =>This Inner Loop Header: Depth=1
	v_ashrrev_i32_e32 v3, 31, v2
	v_lshlrev_b64 v[8:9], 2, v[2:3]
	v_add_co_u32_e64 v8, s[10:11], v4, v8
	v_addc_co_u32_e64 v9, s[10:11], v5, v9, s[10:11]
	global_load_dword v3, v[8:9], off
	s_waitcnt vmcnt(0)
	v_cmp_ne_u32_e64 s[10:11], s7, v3
	v_cmp_eq_u32_e64 s[12:13], s7, v3
	s_and_saveexec_b64 s[20:21], s[12:13]
	s_cbranch_execz .LBB124_45
; %bb.47:                               ;   in Loop: Header=BB124_46 Depth=1
	v_mov_b32_e32 v1, 1
	ds_write_b32 v6, v7 offset:16
	s_branch .LBB124_45
.LBB124_48:
	s_or_b64 exec, exec, s[18:19]
.LBB124_49:
	s_or_b64 exec, exec, s[16:17]
.LBB124_50:
	s_or_b64 exec, exec, s[14:15]
	s_and_saveexec_b64 s[10:11], vcc
	s_cbranch_execz .LBB124_52
; %bb.51:
	v_mov_b32_e32 v2, 0x100
	v_lshl_add_u32 v2, v17, 2, v2
	v_mov_b32_e32 v3, -1
	ds_write_b32 v2, v3 offset:20
.LBB124_52:
	s_or_b64 exec, exec, s[10:11]
	v_add_u32_e32 v90, 5, v17
	v_add_u32_e32 v2, s9, v90
	v_cmp_gt_i32_e64 s[2:3], s41, v2
	s_mov_b64 s[16:17], exec
	v_writelane_b32 v112, s2, 8
	v_writelane_b32 v112, s3, 9
	s_and_b64 s[2:3], s[16:17], s[2:3]
	s_mov_b64 exec, s[2:3]
	s_cbranch_execz .LBB124_60
; %bb.53:
	s_and_saveexec_b64 s[18:19], s[28:29]
	s_cbranch_execz .LBB124_59
; %bb.54:
	v_mul_lo_u32 v2, v90, s47
	v_ashrrev_i32_e32 v3, 31, v2
	v_lshlrev_b64 v[2:3], 2, v[2:3]
	v_mov_b32_e32 v5, s1
	v_add_co_u32_e64 v4, s[12:13], s0, v2
	v_mov_b32_e32 v2, 0x100
	v_addc_co_u32_e64 v5, s[12:13], v5, v3, s[12:13]
	v_lshl_add_u32 v6, v17, 2, v2
	v_mul_lo_u32 v2, v16, s46
	s_lshl_b32 s2, s46, 6
	s_mov_b64 s[20:21], 0
	v_mov_b32_e32 v7, v16
	s_branch .LBB124_56
.LBB124_55:                             ;   in Loop: Header=BB124_56 Depth=1
	s_or_b64 exec, exec, s[22:23]
	v_add_u32_e32 v7, 64, v7
	v_cmp_le_i32_e64 s[14:15], s42, v7
	s_xor_b64 s[10:11], s[12:13], -1
	s_or_b64 s[10:11], s[10:11], s[14:15]
	s_and_b64 s[10:11], exec, s[10:11]
	s_or_b64 s[20:21], s[10:11], s[20:21]
	v_add_u32_e32 v2, s2, v2
	s_andn2_b64 exec, exec, s[20:21]
	s_cbranch_execz .LBB124_58
.LBB124_56:                             ; =>This Inner Loop Header: Depth=1
	v_ashrrev_i32_e32 v3, 31, v2
	v_lshlrev_b64 v[8:9], 2, v[2:3]
	v_add_co_u32_e64 v8, s[12:13], v4, v8
	v_addc_co_u32_e64 v9, s[12:13], v5, v9, s[12:13]
	global_load_dword v3, v[8:9], off
	s_waitcnt vmcnt(0)
	v_cmp_ne_u32_e64 s[12:13], s7, v3
	v_cmp_eq_u32_e64 s[14:15], s7, v3
	s_and_saveexec_b64 s[22:23], s[14:15]
	s_cbranch_execz .LBB124_55
; %bb.57:                               ;   in Loop: Header=BB124_56 Depth=1
	v_mov_b32_e32 v1, 1
	ds_write_b32 v6, v7 offset:20
	s_branch .LBB124_55
.LBB124_58:
	s_or_b64 exec, exec, s[20:21]
.LBB124_59:
	s_or_b64 exec, exec, s[18:19]
.LBB124_60:
	s_or_b64 exec, exec, s[16:17]
	s_and_saveexec_b64 s[12:13], vcc
	s_cbranch_execz .LBB124_62
; %bb.61:
	v_mov_b32_e32 v2, 0x100
	v_lshl_add_u32 v2, v17, 2, v2
	v_mov_b32_e32 v3, -1
	ds_write_b32 v2, v3 offset:24
.LBB124_62:
	s_or_b64 exec, exec, s[12:13]
	v_add_u32_e32 v91, 6, v17
	v_add_u32_e32 v2, s9, v91
	v_cmp_gt_i32_e64 s[2:3], s41, v2
	s_mov_b64 s[18:19], exec
	v_writelane_b32 v112, s2, 10
	v_writelane_b32 v112, s3, 11
	s_and_b64 s[2:3], s[18:19], s[2:3]
	s_mov_b64 exec, s[2:3]
	s_cbranch_execz .LBB124_70
; %bb.63:
	s_and_saveexec_b64 s[20:21], s[28:29]
	s_cbranch_execz .LBB124_69
; %bb.64:
	v_mul_lo_u32 v2, v91, s47
	v_ashrrev_i32_e32 v3, 31, v2
	v_lshlrev_b64 v[2:3], 2, v[2:3]
	v_mov_b32_e32 v5, s1
	v_add_co_u32_e64 v4, s[14:15], s0, v2
	v_mov_b32_e32 v2, 0x100
	v_addc_co_u32_e64 v5, s[14:15], v5, v3, s[14:15]
	v_lshl_add_u32 v6, v17, 2, v2
	v_mul_lo_u32 v2, v16, s46
	s_lshl_b32 s2, s46, 6
	s_mov_b64 s[22:23], 0
	v_mov_b32_e32 v7, v16
	s_branch .LBB124_66
.LBB124_65:                             ;   in Loop: Header=BB124_66 Depth=1
	s_or_b64 exec, exec, s[24:25]
	v_add_u32_e32 v7, 64, v7
	v_cmp_le_i32_e64 s[16:17], s42, v7
	s_xor_b64 s[10:11], s[14:15], -1
	s_or_b64 s[10:11], s[10:11], s[16:17]
	s_and_b64 s[10:11], exec, s[10:11]
	s_or_b64 s[22:23], s[10:11], s[22:23]
	v_add_u32_e32 v2, s2, v2
	s_andn2_b64 exec, exec, s[22:23]
	s_cbranch_execz .LBB124_68
.LBB124_66:                             ; =>This Inner Loop Header: Depth=1
	v_ashrrev_i32_e32 v3, 31, v2
	v_lshlrev_b64 v[8:9], 2, v[2:3]
	v_add_co_u32_e64 v8, s[14:15], v4, v8
	v_addc_co_u32_e64 v9, s[14:15], v5, v9, s[14:15]
	global_load_dword v3, v[8:9], off
	s_waitcnt vmcnt(0)
	v_cmp_ne_u32_e64 s[14:15], s7, v3
	v_cmp_eq_u32_e64 s[16:17], s7, v3
	s_and_saveexec_b64 s[24:25], s[16:17]
	s_cbranch_execz .LBB124_65
; %bb.67:                               ;   in Loop: Header=BB124_66 Depth=1
	v_mov_b32_e32 v1, 1
	ds_write_b32 v6, v7 offset:24
	s_branch .LBB124_65
.LBB124_68:
	s_or_b64 exec, exec, s[22:23]
.LBB124_69:
	s_or_b64 exec, exec, s[20:21]
.LBB124_70:
	s_or_b64 exec, exec, s[18:19]
	s_and_saveexec_b64 s[14:15], vcc
	s_cbranch_execz .LBB124_72
; %bb.71:
	v_mov_b32_e32 v2, 0x100
	v_lshl_add_u32 v2, v17, 2, v2
	v_mov_b32_e32 v3, -1
	ds_write_b32 v2, v3 offset:28
.LBB124_72:
	s_or_b64 exec, exec, s[14:15]
	v_add_u32_e32 v92, 7, v17
	v_add_u32_e32 v2, s9, v92
	v_cmp_gt_i32_e64 s[2:3], s41, v2
	s_mov_b64 s[20:21], exec
	v_writelane_b32 v112, s2, 12
	v_writelane_b32 v112, s3, 13
	s_and_b64 s[2:3], s[20:21], s[2:3]
	s_mov_b64 exec, s[2:3]
	s_cbranch_execz .LBB124_80
; %bb.73:
	s_and_saveexec_b64 s[22:23], s[28:29]
	s_cbranch_execz .LBB124_79
; %bb.74:
	v_mul_lo_u32 v2, v92, s47
	v_ashrrev_i32_e32 v3, 31, v2
	v_lshlrev_b64 v[2:3], 2, v[2:3]
	v_mov_b32_e32 v5, s1
	v_add_co_u32_e64 v4, s[16:17], s0, v2
	v_mov_b32_e32 v2, 0x100
	v_addc_co_u32_e64 v5, s[16:17], v5, v3, s[16:17]
	v_lshl_add_u32 v6, v17, 2, v2
	v_mul_lo_u32 v2, v16, s46
	s_lshl_b32 s2, s46, 6
	s_mov_b64 s[24:25], 0
	v_mov_b32_e32 v7, v16
	s_branch .LBB124_76
.LBB124_75:                             ;   in Loop: Header=BB124_76 Depth=1
	s_or_b64 exec, exec, s[36:37]
	v_add_u32_e32 v7, 64, v7
	v_cmp_le_i32_e64 s[18:19], s42, v7
	s_xor_b64 s[10:11], s[16:17], -1
	s_or_b64 s[10:11], s[10:11], s[18:19]
	s_and_b64 s[10:11], exec, s[10:11]
	s_or_b64 s[24:25], s[10:11], s[24:25]
	v_add_u32_e32 v2, s2, v2
	s_andn2_b64 exec, exec, s[24:25]
	s_cbranch_execz .LBB124_78
.LBB124_76:                             ; =>This Inner Loop Header: Depth=1
	v_ashrrev_i32_e32 v3, 31, v2
	v_lshlrev_b64 v[8:9], 2, v[2:3]
	v_add_co_u32_e64 v8, s[16:17], v4, v8
	v_addc_co_u32_e64 v9, s[16:17], v5, v9, s[16:17]
	global_load_dword v3, v[8:9], off
	s_waitcnt vmcnt(0)
	v_cmp_ne_u32_e64 s[16:17], s7, v3
	v_cmp_eq_u32_e64 s[18:19], s7, v3
	s_and_saveexec_b64 s[36:37], s[18:19]
	s_cbranch_execz .LBB124_75
; %bb.77:                               ;   in Loop: Header=BB124_76 Depth=1
	v_mov_b32_e32 v1, 1
	ds_write_b32 v6, v7 offset:28
	s_branch .LBB124_75
.LBB124_78:
	s_or_b64 exec, exec, s[24:25]
.LBB124_79:
	s_or_b64 exec, exec, s[22:23]
.LBB124_80:
	s_or_b64 exec, exec, s[20:21]
	s_and_saveexec_b64 s[16:17], vcc
	s_cbranch_execz .LBB124_82
; %bb.81:
	v_mov_b32_e32 v2, 0x100
	v_lshl_add_u32 v2, v17, 2, v2
	v_mov_b32_e32 v3, -1
	ds_write_b32 v2, v3 offset:32
.LBB124_82:
	s_or_b64 exec, exec, s[16:17]
	v_add_u32_e32 v93, 8, v17
	v_add_u32_e32 v2, s9, v93
	v_cmp_gt_i32_e64 s[2:3], s41, v2
	s_mov_b64 s[22:23], exec
	v_writelane_b32 v112, s2, 14
	v_writelane_b32 v112, s3, 15
	s_and_b64 s[2:3], s[22:23], s[2:3]
	s_mov_b64 exec, s[2:3]
	s_cbranch_execz .LBB124_90
; %bb.83:
	s_and_saveexec_b64 s[24:25], s[28:29]
	s_cbranch_execz .LBB124_89
; %bb.84:
	v_mul_lo_u32 v2, v93, s47
	v_ashrrev_i32_e32 v3, 31, v2
	v_lshlrev_b64 v[2:3], 2, v[2:3]
	v_mov_b32_e32 v5, s1
	v_add_co_u32_e64 v4, s[18:19], s0, v2
	v_mov_b32_e32 v2, 0x100
	v_addc_co_u32_e64 v5, s[18:19], v5, v3, s[18:19]
	v_lshl_add_u32 v6, v17, 2, v2
	v_mul_lo_u32 v2, v16, s46
	s_lshl_b32 s2, s46, 6
	s_mov_b64 s[36:37], 0
	v_mov_b32_e32 v7, v16
	s_branch .LBB124_86
.LBB124_85:                             ;   in Loop: Header=BB124_86 Depth=1
	s_or_b64 exec, exec, s[38:39]
	v_add_u32_e32 v7, 64, v7
	v_cmp_le_i32_e64 s[20:21], s42, v7
	s_xor_b64 s[10:11], s[18:19], -1
	s_or_b64 s[10:11], s[10:11], s[20:21]
	s_and_b64 s[10:11], exec, s[10:11]
	s_or_b64 s[36:37], s[10:11], s[36:37]
	v_add_u32_e32 v2, s2, v2
	s_andn2_b64 exec, exec, s[36:37]
	s_cbranch_execz .LBB124_88
.LBB124_86:                             ; =>This Inner Loop Header: Depth=1
	v_ashrrev_i32_e32 v3, 31, v2
	v_lshlrev_b64 v[8:9], 2, v[2:3]
	v_add_co_u32_e64 v8, s[18:19], v4, v8
	v_addc_co_u32_e64 v9, s[18:19], v5, v9, s[18:19]
	global_load_dword v3, v[8:9], off
	s_waitcnt vmcnt(0)
	v_cmp_ne_u32_e64 s[18:19], s7, v3
	v_cmp_eq_u32_e64 s[20:21], s7, v3
	s_and_saveexec_b64 s[38:39], s[20:21]
	s_cbranch_execz .LBB124_85
; %bb.87:                               ;   in Loop: Header=BB124_86 Depth=1
	v_mov_b32_e32 v1, 1
	ds_write_b32 v6, v7 offset:32
	s_branch .LBB124_85
.LBB124_88:
	s_or_b64 exec, exec, s[36:37]
.LBB124_89:
	s_or_b64 exec, exec, s[24:25]
.LBB124_90:
	s_or_b64 exec, exec, s[22:23]
	s_and_saveexec_b64 s[18:19], vcc
	s_cbranch_execz .LBB124_92
; %bb.91:
	v_mov_b32_e32 v2, 0x100
	v_lshl_add_u32 v2, v17, 2, v2
	v_mov_b32_e32 v3, -1
	ds_write_b32 v2, v3 offset:36
.LBB124_92:
	s_or_b64 exec, exec, s[18:19]
	v_add_u32_e32 v94, 9, v17
	v_add_u32_e32 v2, s9, v94
	v_cmp_gt_i32_e64 s[2:3], s41, v2
	s_mov_b64 s[24:25], exec
	v_writelane_b32 v112, s2, 16
	v_writelane_b32 v112, s3, 17
	s_and_b64 s[2:3], s[24:25], s[2:3]
	s_mov_b64 exec, s[2:3]
	s_cbranch_execz .LBB124_100
; %bb.93:
	s_and_saveexec_b64 s[36:37], s[28:29]
	s_cbranch_execz .LBB124_99
; %bb.94:
	v_mul_lo_u32 v2, v94, s47
	v_ashrrev_i32_e32 v3, 31, v2
	v_lshlrev_b64 v[2:3], 2, v[2:3]
	v_mov_b32_e32 v5, s1
	v_add_co_u32_e64 v4, s[20:21], s0, v2
	v_mov_b32_e32 v2, 0x100
	v_addc_co_u32_e64 v5, s[20:21], v5, v3, s[20:21]
	v_lshl_add_u32 v6, v17, 2, v2
	v_mul_lo_u32 v2, v16, s46
	s_lshl_b32 s2, s46, 6
	s_mov_b64 s[38:39], 0
	v_mov_b32_e32 v7, v16
	s_branch .LBB124_96
.LBB124_95:                             ;   in Loop: Header=BB124_96 Depth=1
	s_or_b64 exec, exec, s[54:55]
	v_add_u32_e32 v7, 64, v7
	v_cmp_le_i32_e64 s[22:23], s42, v7
	s_xor_b64 s[10:11], s[20:21], -1
	s_or_b64 s[10:11], s[10:11], s[22:23]
	s_and_b64 s[10:11], exec, s[10:11]
	s_or_b64 s[38:39], s[10:11], s[38:39]
	v_add_u32_e32 v2, s2, v2
	s_andn2_b64 exec, exec, s[38:39]
	s_cbranch_execz .LBB124_98
.LBB124_96:                             ; =>This Inner Loop Header: Depth=1
	v_ashrrev_i32_e32 v3, 31, v2
	v_lshlrev_b64 v[8:9], 2, v[2:3]
	v_add_co_u32_e64 v8, s[20:21], v4, v8
	v_addc_co_u32_e64 v9, s[20:21], v5, v9, s[20:21]
	global_load_dword v3, v[8:9], off
	s_waitcnt vmcnt(0)
	v_cmp_ne_u32_e64 s[20:21], s7, v3
	v_cmp_eq_u32_e64 s[22:23], s7, v3
	s_and_saveexec_b64 s[54:55], s[22:23]
	s_cbranch_execz .LBB124_95
; %bb.97:                               ;   in Loop: Header=BB124_96 Depth=1
	v_mov_b32_e32 v1, 1
	ds_write_b32 v6, v7 offset:36
	s_branch .LBB124_95
.LBB124_98:
	s_or_b64 exec, exec, s[38:39]
.LBB124_99:
	s_or_b64 exec, exec, s[36:37]
.LBB124_100:
	s_or_b64 exec, exec, s[24:25]
	s_and_saveexec_b64 s[20:21], vcc
	s_cbranch_execz .LBB124_102
; %bb.101:
	v_mov_b32_e32 v2, 0x100
	v_lshl_add_u32 v2, v17, 2, v2
	v_mov_b32_e32 v3, -1
	ds_write_b32 v2, v3 offset:40
.LBB124_102:
	s_or_b64 exec, exec, s[20:21]
	v_add_u32_e32 v95, 10, v17
	v_add_u32_e32 v2, s9, v95
	v_cmp_gt_i32_e64 s[2:3], s41, v2
	s_mov_b64 s[36:37], exec
	v_writelane_b32 v112, s2, 18
	v_writelane_b32 v112, s3, 19
	s_and_b64 s[2:3], s[36:37], s[2:3]
	s_mov_b64 exec, s[2:3]
	s_cbranch_execz .LBB124_110
; %bb.103:
	s_and_saveexec_b64 s[38:39], s[28:29]
	s_cbranch_execz .LBB124_109
; %bb.104:
	v_mul_lo_u32 v2, v95, s47
	v_ashrrev_i32_e32 v3, 31, v2
	v_lshlrev_b64 v[2:3], 2, v[2:3]
	v_mov_b32_e32 v5, s1
	v_add_co_u32_e64 v4, s[22:23], s0, v2
	v_mov_b32_e32 v2, 0x100
	v_addc_co_u32_e64 v5, s[22:23], v5, v3, s[22:23]
	v_lshl_add_u32 v6, v17, 2, v2
	v_mul_lo_u32 v2, v16, s46
	s_lshl_b32 s2, s46, 6
	s_mov_b64 s[54:55], 0
	v_mov_b32_e32 v7, v16
	s_branch .LBB124_106
.LBB124_105:                            ;   in Loop: Header=BB124_106 Depth=1
	s_or_b64 exec, exec, s[56:57]
	v_add_u32_e32 v7, 64, v7
	v_cmp_le_i32_e64 s[24:25], s42, v7
	s_xor_b64 s[10:11], s[22:23], -1
	s_or_b64 s[10:11], s[10:11], s[24:25]
	s_and_b64 s[10:11], exec, s[10:11]
	s_or_b64 s[54:55], s[10:11], s[54:55]
	v_add_u32_e32 v2, s2, v2
	s_andn2_b64 exec, exec, s[54:55]
	s_cbranch_execz .LBB124_108
.LBB124_106:                            ; =>This Inner Loop Header: Depth=1
	v_ashrrev_i32_e32 v3, 31, v2
	v_lshlrev_b64 v[8:9], 2, v[2:3]
	v_add_co_u32_e64 v8, s[22:23], v4, v8
	v_addc_co_u32_e64 v9, s[22:23], v5, v9, s[22:23]
	global_load_dword v3, v[8:9], off
	s_waitcnt vmcnt(0)
	v_cmp_ne_u32_e64 s[22:23], s7, v3
	v_cmp_eq_u32_e64 s[24:25], s7, v3
	s_and_saveexec_b64 s[56:57], s[24:25]
	s_cbranch_execz .LBB124_105
; %bb.107:                              ;   in Loop: Header=BB124_106 Depth=1
	v_mov_b32_e32 v1, 1
	ds_write_b32 v6, v7 offset:40
	s_branch .LBB124_105
.LBB124_108:
	s_or_b64 exec, exec, s[54:55]
.LBB124_109:
	s_or_b64 exec, exec, s[38:39]
.LBB124_110:
	s_or_b64 exec, exec, s[36:37]
	s_sub_i32 s2, 0, s27
	s_and_saveexec_b64 s[22:23], vcc
	s_cbranch_execz .LBB124_112
; %bb.111:
	v_mov_b32_e32 v2, 0x100
	v_lshl_add_u32 v2, v17, 2, v2
	v_mov_b32_e32 v3, -1
	ds_write_b32 v2, v3 offset:44
.LBB124_112:
	s_or_b64 exec, exec, s[22:23]
	v_add_u32_e32 v96, 11, v17
	s_mul_i32 s2, s2, s26
	v_add_u32_e32 v2, s9, v96
	v_cmp_gt_i32_e64 s[10:11], s41, v2
	s_mov_b64 s[38:39], exec
	v_writelane_b32 v112, s10, 20
	v_writelane_b32 v112, s11, 21
	s_and_b64 s[10:11], s[38:39], s[10:11]
	s_mov_b64 exec, s[10:11]
	s_cbranch_execz .LBB124_120
; %bb.113:
	s_and_saveexec_b64 s[54:55], s[28:29]
	s_cbranch_execz .LBB124_119
; %bb.114:
	v_mul_lo_u32 v2, v96, s47
	v_ashrrev_i32_e32 v3, 31, v2
	v_lshlrev_b64 v[2:3], 2, v[2:3]
	v_mov_b32_e32 v5, s1
	v_add_co_u32_e64 v4, s[24:25], s0, v2
	v_mov_b32_e32 v2, 0x100
	v_addc_co_u32_e64 v5, s[24:25], v5, v3, s[24:25]
	v_lshl_add_u32 v6, v17, 2, v2
	v_mul_lo_u32 v2, v16, s46
	s_lshl_b32 s3, s46, 6
	s_mov_b64 s[56:57], 0
	v_mov_b32_e32 v7, v16
	s_branch .LBB124_116
.LBB124_115:                            ;   in Loop: Header=BB124_116 Depth=1
	s_or_b64 exec, exec, s[58:59]
	v_add_u32_e32 v7, 64, v7
	v_cmp_le_i32_e64 s[36:37], s42, v7
	s_xor_b64 s[10:11], s[24:25], -1
	s_or_b64 s[10:11], s[10:11], s[36:37]
	s_and_b64 s[10:11], exec, s[10:11]
	s_or_b64 s[56:57], s[10:11], s[56:57]
	v_add_u32_e32 v2, s3, v2
	s_andn2_b64 exec, exec, s[56:57]
	s_cbranch_execz .LBB124_118
.LBB124_116:                            ; =>This Inner Loop Header: Depth=1
	v_ashrrev_i32_e32 v3, 31, v2
	v_lshlrev_b64 v[8:9], 2, v[2:3]
	v_add_co_u32_e64 v8, s[24:25], v4, v8
	v_addc_co_u32_e64 v9, s[24:25], v5, v9, s[24:25]
	global_load_dword v3, v[8:9], off
	s_waitcnt vmcnt(0)
	v_cmp_ne_u32_e64 s[24:25], s7, v3
	v_cmp_eq_u32_e64 s[36:37], s7, v3
	s_and_saveexec_b64 s[58:59], s[36:37]
	s_cbranch_execz .LBB124_115
; %bb.117:                              ;   in Loop: Header=BB124_116 Depth=1
	v_mov_b32_e32 v1, 1
	ds_write_b32 v6, v7 offset:44
	s_branch .LBB124_115
.LBB124_118:
	s_or_b64 exec, exec, s[56:57]
.LBB124_119:
	s_or_b64 exec, exec, s[54:55]
.LBB124_120:
	s_or_b64 exec, exec, s[38:39]
	s_mul_hi_u32 s3, s26, s2
	s_and_saveexec_b64 s[24:25], vcc
	s_cbranch_execz .LBB124_122
; %bb.121:
	v_mov_b32_e32 v2, 0x100
	v_lshl_add_u32 v2, v17, 2, v2
	v_mov_b32_e32 v3, -1
	ds_write_b32 v2, v3 offset:48
.LBB124_122:
	s_or_b64 exec, exec, s[24:25]
	s_load_dwordx4 s[16:19], s[4:5], 0x54
	v_add_u32_e32 v97, 12, v17
	s_abs_i32 s2, s8
	s_add_i32 s26, s26, s3
	v_add_u32_e32 v2, s9, v97
	v_cmp_gt_i32_e64 s[10:11], s41, v2
	s_mov_b64 s[54:55], exec
	v_writelane_b32 v112, s10, 22
	v_writelane_b32 v112, s11, 23
	s_and_b64 s[10:11], s[54:55], s[10:11]
	s_mov_b64 exec, s[10:11]
	s_cbranch_execz .LBB124_130
; %bb.123:
	s_and_saveexec_b64 s[56:57], s[28:29]
	s_cbranch_execz .LBB124_129
; %bb.124:
	v_mul_lo_u32 v2, v97, s47
	v_ashrrev_i32_e32 v3, 31, v2
	v_lshlrev_b64 v[2:3], 2, v[2:3]
	v_mov_b32_e32 v5, s1
	v_add_co_u32_e32 v4, vcc, s0, v2
	v_mov_b32_e32 v2, 0x100
	v_addc_co_u32_e32 v5, vcc, v5, v3, vcc
	v_lshl_add_u32 v6, v17, 2, v2
	v_mul_lo_u32 v2, v16, s46
	s_lshl_b32 s0, s46, 6
	s_mov_b64 s[46:47], 0
	v_mov_b32_e32 v7, v16
	s_branch .LBB124_126
.LBB124_125:                            ;   in Loop: Header=BB124_126 Depth=1
	s_or_b64 exec, exec, s[58:59]
	v_add_u32_e32 v7, 64, v7
	v_cmp_le_i32_e64 s[28:29], s42, v7
	s_xor_b64 s[10:11], vcc, -1
	s_or_b64 s[10:11], s[10:11], s[28:29]
	s_and_b64 s[10:11], exec, s[10:11]
	s_or_b64 s[46:47], s[10:11], s[46:47]
	v_add_u32_e32 v2, s0, v2
	s_andn2_b64 exec, exec, s[46:47]
	s_cbranch_execz .LBB124_128
.LBB124_126:                            ; =>This Inner Loop Header: Depth=1
	v_ashrrev_i32_e32 v3, 31, v2
	v_lshlrev_b64 v[8:9], 2, v[2:3]
	v_add_co_u32_e32 v8, vcc, v4, v8
	v_addc_co_u32_e32 v9, vcc, v5, v9, vcc
	global_load_dword v3, v[8:9], off
	s_waitcnt vmcnt(0)
	v_cmp_ne_u32_e32 vcc, s7, v3
	v_cmp_eq_u32_e64 s[28:29], s7, v3
	s_and_saveexec_b64 s[58:59], s[28:29]
	s_cbranch_execz .LBB124_125
; %bb.127:                              ;   in Loop: Header=BB124_126 Depth=1
	v_mov_b32_e32 v1, 1
	ds_write_b32 v6, v7 offset:48
	s_branch .LBB124_125
.LBB124_128:
	s_or_b64 exec, exec, s[46:47]
.LBB124_129:
	s_or_b64 exec, exec, s[56:57]
.LBB124_130:
	s_or_b64 exec, exec, s[54:55]
	s_load_dwordx2 s[10:11], s[52:53], 0xc
	s_nop 0
	s_load_dwordx4 s[52:55], s[4:5], 0x0
	s_load_dwordx2 s[0:1], s[4:5], 0x18
	v_cmp_ne_u32_e32 vcc, 0, v1
	v_cndmask_b32_e64 v1, 0, 1, vcc
	s_waitcnt lgkmcnt(0)
	s_lshr_b32 s4, s10, 16
	s_and_b32 s3, s10, 0xffff
	v_or_b32_dpp v1, v1, v1 row_shl:1 row_mask:0xf bank_mask:0xf bound_ctrl:1
	v_writelane_b32 v112, s0, 24
	s_mul_i32 s5, s4, s3
	v_or_b32_dpp v1, v1, v1 row_shl:2 row_mask:0xf bank_mask:0xf bound_ctrl:1
	v_writelane_b32 v112, s1, 25
	s_and_b32 s1, s11, 0xffff
	v_or_b32_dpp v1, v1, v1 row_shl:4 row_mask:0xf bank_mask:0xf bound_ctrl:1
	s_bfe_i32 s5, s5, 0x180000
	s_mul_i32 s1, s5, s1
	v_or_b32_dpp v1, v1, v1 row_shl:8 row_mask:0xf bank_mask:0xf bound_ctrl:1
	s_add_i32 s5, s1, 63
	s_bitcmp1_b32 exec_hi, 0
	v_mov_b32_dpp v2, v1 wave_shl:1 row_mask:0xf bank_mask:0xf bound_ctrl:1
	s_mul_hi_u32 s0, s2, s26
	s_nop 0
	v_or_b32_dpp v1, v2, v1 row_mirror row_mask:0xf bank_mask:0xf bound_ctrl:1
	v_readlane_b32 s1, v1, 32
	s_cselect_b32 s1, s1, 0
	v_readlane_b32 s10, v1, 0
	s_or_b32 s1, s1, s10
	s_andn2_b32 s5, s5, 63
	s_cmp_lg_u32 s5, 64
	v_mov_b32_e32 v1, s1
	s_cbranch_scc0 .LBB124_137
; %bb.131:
	v_bfe_u32 v0, v0, 20, 10
	v_mbcnt_lo_u32_b32 v1, -1, 0
	v_mad_u32_u24 v0, v0, s4, v17
	v_mbcnt_hi_u32_b32 v2, -1, v1
	v_mad_u64_u32 v[0:1], s[4:5], v0, s3, v[16:17]
	v_lshrrev_b32_e32 v1, 6, v0
	v_or_b32_e32 v1, v2, v1
	v_cmp_eq_u32_e32 vcc, 0, v1
	s_and_saveexec_b64 s[4:5], vcc
	s_cbranch_execz .LBB124_133
; %bb.132:
	v_mov_b32_e32 v1, 0
	v_mov_b32_e32 v3, s1
	ds_write_b32 v1, v3
.LBB124_133:
	s_or_b64 exec, exec, s[4:5]
	v_cmp_eq_u32_e32 vcc, 0, v2
	v_cmp_lt_u32_e64 s[4:5], 63, v0
	s_and_b64 s[10:11], s[4:5], vcc
	s_waitcnt lgkmcnt(0)
	; wave barrier
	s_waitcnt lgkmcnt(0)
	s_and_saveexec_b64 s[4:5], s[10:11]
	s_cbranch_execz .LBB124_136
; %bb.134:
	v_mbcnt_lo_u32_b32 v0, exec_lo, 0
	v_mbcnt_hi_u32_b32 v0, exec_hi, v0
	v_cmp_eq_u32_e32 vcc, 0, v0
	s_and_b64 exec, exec, vcc
	s_cbranch_execz .LBB124_136
; %bb.135:
	v_mov_b32_e32 v0, 0
	v_mov_b32_e32 v1, s1
	ds_or_b32 v0, v1
.LBB124_136:
	s_or_b64 exec, exec, s[4:5]
	v_mov_b32_e32 v0, 0
	s_waitcnt lgkmcnt(0)
	; wave barrier
	s_waitcnt lgkmcnt(0)
	ds_read_b32 v1, v0
	s_waitcnt lgkmcnt(0)
	; wave barrier
	s_waitcnt lgkmcnt(0)
.LBB124_137:
	v_cmp_ne_u32_e32 vcc, 0, v1
	s_ashr_i32 s1, s8, 31
	s_ashr_i32 s3, s51, 31
	s_cbranch_vccz .LBB124_339
; %bb.138:
	v_lshlrev_b32_e32 v98, 6, v17
	v_add_u32_e32 v99, v98, v16
	v_cmp_le_i32_e32 vcc, s40, v99
	v_and_b32_e32 v0, 15, v16
                                        ; implicit-def: $sgpr10
                                        ; implicit-def: $vgpr100
	s_and_saveexec_b64 s[4:5], vcc
	s_xor_b64 s[4:5], exec, s[4:5]
; %bb.139:
	v_mul_u32_u24_e32 v100, 0x108, v0
	s_mov_b32 s10, 0
                                        ; implicit-def: $vgpr99
                                        ; implicit-def: $vgpr0
; %bb.140:
	s_or_saveexec_b64 s[4:5], s[4:5]
	s_lshl_b32 s6, s6, 6
	v_accvgpr_write_b32 a8, s10
	v_accvgpr_write_b32 a9, s10
	;; [unrolled: 1-line block ×16, first 2 shown]
	v_writelane_b32 v112, s4, 26
	v_writelane_b32 v112, s5, 27
	s_xor_b64 exec, exec, s[4:5]
	s_cbranch_execz .LBB124_287
; %bb.141:
	s_xor_b32 s1, s1, s3
	s_mul_i32 s3, s0, s27
	s_sub_i32 s2, s2, s3
	s_add_i32 s3, s0, 1
	s_sub_i32 s4, s2, s27
	s_cmp_ge_u32 s2, s27
	s_cselect_b32 s0, s3, s0
	s_cselect_b32 s2, s4, s2
	s_add_i32 s3, s0, 1
	s_cmp_ge_u32 s2, s27
	s_cselect_b32 s0, s3, s0
	s_xor_b32 s0, s0, s1
	s_sub_i32 s0, s0, s1
	s_mul_hi_i32 s1, s0, s16
	s_mul_i32 s0, s0, s16
	s_mul_i32 s2, s7, s48
	v_writelane_b32 v112, s30, 28
	s_ashr_i32 s3, s2, 31
	s_lshl_b64 s[0:1], s[0:1], 2
	v_writelane_b32 v112, s31, 29
	s_add_u32 s5, s52, s0
	v_writelane_b32 v112, s6, 30
	s_mul_i32 s4, s6, s43
	s_addc_u32 s6, s53, s1
	s_lshl_b64 s[2:3], s[2:3], 2
	s_add_u32 s7, s5, s2
	s_addc_u32 s6, s6, s3
	s_ashr_i32 s5, s4, 31
	s_lshl_b64 s[4:5], s[4:5], 2
	s_add_u32 s39, s7, s4
	s_addc_u32 s12, s6, s5
	s_movk_i32 s6, 0x1080
	v_mov_b32_e32 v101, 0x100
	v_writelane_b32 v112, s8, 31
	v_mad_u32_u24 v1, v17, s6, v101
	s_mul_hi_i32 s7, s17, s8
	v_writelane_b32 v112, s16, 32
	s_mul_i32 s6, s17, s8
	s_mul_hi_i32 s11, s44, s9
	s_mul_i32 s10, s44, s9
	s_lshl_b64 s[10:11], s[10:11], 3
	s_lshl_b64 s[6:7], s[6:7], 2
	s_add_u32 s6, s54, s6
	s_addc_u32 s7, s55, s7
	s_add_u32 s48, s6, s10
	s_addc_u32 s51, s7, s11
	s_cmp_lt_i32 s9, s41
	s_cselect_b64 s[6:7], -1, 0
	s_add_i32 s10, s9, 1
	s_cmp_lt_i32 s10, s41
	s_cselect_b64 s[36:37], -1, 0
	s_add_i32 s10, s9, 2
	s_cmp_lt_i32 s10, s41
	s_cselect_b64 s[46:47], -1, 0
	s_lshl_b32 s8, s44, 2
	s_add_i32 s10, s9, 3
	v_writelane_b32 v112, s17, 33
	s_cmp_lt_i32 s10, s41
	v_writelane_b32 v112, s18, 34
	s_cselect_b64 s[54:55], -1, 0
	s_add_i32 s10, s9, 4
	v_writelane_b32 v112, s19, 35
	s_cmp_lt_i32 s10, s41
	v_writelane_b32 v112, s8, 36
	s_cselect_b64 s[56:57], -1, 0
	s_lshl_b32 s8, s44, 3
	s_add_i32 s10, s9, 5
	s_cmp_lt_i32 s10, s41
	s_cselect_b64 s[58:59], -1, 0
	s_add_i32 s10, s9, 6
	s_cmp_lt_i32 s10, s41
	s_cselect_b64 s[60:61], -1, 0
	;; [unrolled: 3-line block ×3, first 2 shown]
	s_add_i32 s10, s9, 8
	v_writelane_b32 v112, s8, 37
	s_mul_i32 s8, s44, 6
	s_cmp_lt_i32 s10, s41
	v_writelane_b32 v112, s8, 38
	s_cselect_b64 s[64:65], -1, 0
	s_lshl_b32 s8, s44, 4
	s_add_i32 s10, s9, 9
	s_cmp_lt_i32 s10, s41
	s_cselect_b64 s[66:67], -1, 0
	s_add_i32 s10, s9, 10
	s_cmp_lt_i32 s10, s41
	s_cselect_b64 s[68:69], -1, 0
	;; [unrolled: 3-line block ×4, first 2 shown]
	s_ashr_i32 s11, s43, 31
	s_mov_b32 s10, s43
	s_lshl_b64 s[74:75], s[10:11], 2
	s_add_u32 s0, s0, s4
	v_mul_u32_u24_e32 v100, 0x108, v0
	v_lshrrev_b32_e32 v0, 1, v16
	s_addc_u32 s1, s1, s5
	v_and_b32_e32 v0, 0x1f8, v0
	s_add_u32 s0, s0, s2
	v_add3_u32 v103, v1, v100, v0
	v_writelane_b32 v112, s8, 39
	s_mul_i32 s8, s44, 10
	v_lshlrev_b32_e32 v0, 1, v16
	s_addc_u32 s1, s1, s3
	v_writelane_b32 v112, s8, 40
	s_mul_i32 s8, s44, 12
	v_lshl_add_u32 v104, v17, 7, v0
	v_lshlrev_b32_e32 v0, 2, v99
	s_add_u32 s0, s52, s0
	v_writelane_b32 v112, s8, 41
	v_add_co_u32_e32 v18, vcc, s0, v0
	s_mul_i32 s0, s44, 24
	v_writelane_b32 v112, s0, 42
	s_mul_i32 s0, s44, 22
	v_writelane_b32 v112, s0, 43
	s_mul_i32 s0, s44, 20
	v_writelane_b32 v112, s0, 44
	s_mul_i32 s0, s44, 18
	v_writelane_b32 v112, s0, 45
	s_mul_i32 s0, s44, 14
	s_addc_u32 s1, s53, s1
	v_writelane_b32 v112, s0, 46
	s_lshl_b32 s0, s44, 1
	v_writelane_b32 v112, s0, 47
	s_mul_i32 s0, s43, 3
	v_writelane_b32 v112, s0, 48
	s_mul_i32 s0, s43, 5
	;; [unrolled: 2-line block ×8, first 2 shown]
	v_lshl_add_u32 v102, v16, 2, v1
	v_mov_b32_e32 v1, s1
	v_writelane_b32 v112, s0, 55
	s_mul_i32 s0, s43, 13
	v_addc_co_u32_e32 v19, vcc, 0, v1, vcc
	s_lshl_b32 s86, s43, 1
	s_lshl_b32 s88, s43, 2
	;; [unrolled: 1-line block ×3, first 2 shown]
	v_writelane_b32 v112, s0, 56
	s_mul_i32 s33, s43, 14
	s_mul_i32 s38, s43, 15
	s_lshl_b32 s0, s43, 4
	v_mov_b32_e32 v105, s12
	s_mul_i32 s1, s43, 17
	v_mov_b32_e32 v106, 0
	v_accvgpr_write_b32 a15, 0
	v_accvgpr_write_b32 a14, 0
	;; [unrolled: 1-line block ×16, first 2 shown]
	v_mov_b32_e32 v107, s75
	s_mul_i32 s75, s43, 18
	s_mul_i32 s2, s43, 19
	;; [unrolled: 1-line block ×14, first 2 shown]
	s_lshl_b32 s81, s43, 5
	s_mul_i32 s82, s43, 33
	s_mul_i32 s83, s43, 34
	;; [unrolled: 1-line block ×31, first 2 shown]
	s_mov_b32 s95, 0x7f800000
	s_movk_i32 s28, 0x7fff
	s_mov_b32 s29, 0x7060302
	s_mov_b64 s[42:43], 0
	s_branch .LBB124_143
.LBB124_142:                            ;   in Loop: Header=BB124_143 Depth=1
	s_or_b64 exec, exec, s[52:53]
	v_perm_b32 v84, v84, v108, s29
	v_add_u32_e32 v85, 0xc00, v102
	ds_write2_b32 v85, v84, v106 offset0:40 offset1:106
	ds_write2_b32 v85, v106, v106 offset0:172 offset1:238
	ds_read2_b64 v[108:111], v103 offset0:8 offset1:12
	v_accvgpr_write_b32 a0, v0
	v_accvgpr_write_b32 a4, v4
	;; [unrolled: 1-line block ×16, first 2 shown]
	s_waitcnt lgkmcnt(0)
	v_mfma_f32_16x16x16bf16_1k a[0:3], v[34:35], v[108:109], a[0:3]
	ds_read2_b64 v[0:3], v103 offset0:16 offset1:20
	v_add_co_u32_e32 v18, vcc, 0x100, v18
	v_add_u32_e32 v99, 64, v99
	v_addc_co_u32_e32 v19, vcc, 0, v19, vcc
	v_cmp_le_i32_e32 vcc, s40, v99
	v_mfma_f32_16x16x16bf16_1k a[4:7], v[52:53], v[108:109], a[4:7]
	v_add_u32_e32 v104, 0x80, v104
	s_or_b64 s[42:43], vcc, s[42:43]
	v_mfma_f32_16x16x16bf16_1k a[8:11], v[66:67], v[108:109], a[8:11]
	v_mfma_f32_16x16x16bf16_1k a[12:15], v[82:83], v[108:109], a[12:15]
	;; [unrolled: 1-line block ×6, first 2 shown]
	s_waitcnt lgkmcnt(0)
	v_mfma_f32_16x16x16bf16_1k a[0:3], v[28:29], v[0:1], a[0:3]
	v_mfma_f32_16x16x16bf16_1k a[4:7], v[46:47], v[0:1], a[4:7]
	;; [unrolled: 1-line block ×8, first 2 shown]
	ds_read2_b64 v[0:3], v103 offset0:24 offset1:28
	s_waitcnt lgkmcnt(0)
	v_mfma_f32_16x16x16bf16_1k a[0:3], v[30:31], v[0:1], a[0:3]
	v_mfma_f32_16x16x16bf16_1k a[4:7], v[42:43], v[0:1], a[4:7]
	;; [unrolled: 1-line block ×8, first 2 shown]
	ds_read2_b64 v[0:3], v103 offset0:32 offset1:36
	s_waitcnt lgkmcnt(0)
	v_mfma_f32_16x16x16bf16_1k a[0:3], v[22:23], v[0:1], a[0:3]
	v_mfma_f32_16x16x16bf16_1k a[4:7], v[38:39], v[0:1], a[4:7]
	;; [unrolled: 1-line block ×8, first 2 shown]
	s_andn2_b64 exec, exec, s[42:43]
	s_cbranch_execz .LBB124_286
.LBB124_143:                            ; =>This Inner Loop Header: Depth=1
	v_add_co_u32_e32 v0, vcc, s74, v18
	v_addc_co_u32_e32 v1, vcc, v19, v107, vcc
	global_load_dword v20, v[18:19], off
	global_load_dword v21, v[0:1], off
	v_add_u32_e32 v0, s86, v99
	v_ashrrev_i32_e32 v1, 31, v0
	v_readlane_b32 s52, v112, 48
	v_lshlrev_b64 v[0:1], 2, v[0:1]
	v_add_u32_e32 v2, s52, v99
	v_add_co_u32_e32 v0, vcc, s39, v0
	v_ashrrev_i32_e32 v3, 31, v2
	v_addc_co_u32_e32 v1, vcc, v105, v1, vcc
	v_lshlrev_b64 v[2:3], 2, v[2:3]
	v_add_u32_e32 v4, s88, v99
	v_add_co_u32_e32 v2, vcc, s39, v2
	v_ashrrev_i32_e32 v5, 31, v4
	v_readlane_b32 s52, v112, 49
	v_addc_co_u32_e32 v3, vcc, v105, v3, vcc
	v_lshlrev_b64 v[4:5], 2, v[4:5]
	v_add_u32_e32 v6, s52, v99
	v_add_co_u32_e32 v4, vcc, s39, v4
	v_ashrrev_i32_e32 v7, 31, v6
	v_readlane_b32 s52, v112, 50
	;; [unrolled: 6-line block ×3, first 2 shown]
	v_addc_co_u32_e32 v7, vcc, v105, v7, vcc
	v_lshlrev_b64 v[8:9], 2, v[8:9]
	v_add_u32_e32 v10, s52, v99
	v_add_co_u32_e32 v8, vcc, s39, v8
	v_ashrrev_i32_e32 v11, 31, v10
	v_addc_co_u32_e32 v9, vcc, v105, v9, vcc
	v_lshlrev_b64 v[10:11], 2, v[10:11]
	v_add_u32_e32 v12, s92, v99
	v_add_co_u32_e32 v10, vcc, s39, v10
	v_ashrrev_i32_e32 v13, 31, v12
	v_readlane_b32 s52, v112, 52
	v_addc_co_u32_e32 v11, vcc, v105, v11, vcc
	v_lshlrev_b64 v[12:13], 2, v[12:13]
	v_add_u32_e32 v14, s52, v99
	v_add_co_u32_e32 v12, vcc, s39, v12
	v_ashrrev_i32_e32 v15, 31, v14
	v_addc_co_u32_e32 v13, vcc, v105, v13, vcc
	v_lshlrev_b64 v[14:15], 2, v[14:15]
	v_add_co_u32_e32 v14, vcc, s39, v14
	v_readlane_b32 s52, v112, 53
	v_addc_co_u32_e32 v15, vcc, v105, v15, vcc
	global_load_dword v22, v[0:1], off
	global_load_dword v23, v[2:3], off
	;; [unrolled: 1-line block ×6, first 2 shown]
	s_nop 0
	global_load_dword v12, v[12:13], off
	s_nop 0
	global_load_dword v13, v[14:15], off
	v_add_u32_e32 v0, s52, v99
	v_ashrrev_i32_e32 v1, 31, v0
	v_readlane_b32 s52, v112, 54
	v_lshlrev_b64 v[0:1], 2, v[0:1]
	v_add_u32_e32 v2, s52, v99
	v_add_co_u32_e32 v0, vcc, s39, v0
	v_ashrrev_i32_e32 v3, 31, v2
	v_readlane_b32 s52, v112, 55
	v_addc_co_u32_e32 v1, vcc, v105, v1, vcc
	v_lshlrev_b64 v[2:3], 2, v[2:3]
	v_add_u32_e32 v4, s52, v99
	v_add_co_u32_e32 v2, vcc, s39, v2
	v_ashrrev_i32_e32 v5, 31, v4
	v_readlane_b32 s52, v112, 56
	v_addc_co_u32_e32 v3, vcc, v105, v3, vcc
	v_lshlrev_b64 v[4:5], 2, v[4:5]
	v_add_u32_e32 v6, s52, v99
	v_add_co_u32_e32 v4, vcc, s39, v4
	v_ashrrev_i32_e32 v7, 31, v6
	v_addc_co_u32_e32 v5, vcc, v105, v5, vcc
	v_lshlrev_b64 v[6:7], 2, v[6:7]
	v_add_u32_e32 v8, s33, v99
	v_add_co_u32_e32 v6, vcc, s39, v6
	v_ashrrev_i32_e32 v9, 31, v8
	;; [unrolled: 5-line block ×3, first 2 shown]
	v_addc_co_u32_e32 v9, vcc, v105, v9, vcc
	v_lshlrev_b64 v[10:11], 2, v[10:11]
	v_add_co_u32_e32 v10, vcc, s39, v10
	v_addc_co_u32_e32 v11, vcc, v105, v11, vcc
	global_load_dword v14, v[0:1], off
	global_load_dword v15, v[2:3], off
	s_nop 0
	global_load_dword v4, v[4:5], off
	s_nop 0
	global_load_dword v5, v[6:7], off
	s_nop 0
	global_load_dword v6, v[8:9], off
	global_load_dword v7, v[10:11], off
	v_add_u32_e32 v0, s0, v99
	v_ashrrev_i32_e32 v1, 31, v0
	v_lshlrev_b64 v[0:1], 2, v[0:1]
	v_add_u32_e32 v2, s1, v99
	v_add_co_u32_e32 v0, vcc, s39, v0
	v_ashrrev_i32_e32 v3, 31, v2
	v_addc_co_u32_e32 v1, vcc, v105, v1, vcc
	v_lshlrev_b64 v[2:3], 2, v[2:3]
	s_waitcnt vmcnt(15)
	ds_write_b32 v102, v20 offset:64
	s_waitcnt vmcnt(14)
	ds_write_b32 v102, v21 offset:328
	;; [unrolled: 2-line block ×10, first 2 shown]
	v_add_co_u32_e32 v2, vcc, s39, v2
	v_addc_co_u32_e32 v3, vcc, v105, v3, vcc
	global_load_dword v0, v[0:1], off
	s_nop 0
	global_load_dword v1, v[2:3], off
	v_add_u32_e32 v2, s75, v99
	v_ashrrev_i32_e32 v3, 31, v2
	s_waitcnt vmcnt(7)
	ds_write_b32 v102, v14 offset:2704
	s_waitcnt vmcnt(6)
	ds_write_b32 v102, v15 offset:2968
	;; [unrolled: 2-line block ×6, first 2 shown]
	v_lshlrev_b64 v[2:3], 2, v[2:3]
	v_add_u32_e32 v4, s2, v99
	v_add_co_u32_e32 v2, vcc, s39, v2
	v_ashrrev_i32_e32 v5, 31, v4
	v_addc_co_u32_e32 v3, vcc, v105, v3, vcc
	v_lshlrev_b64 v[4:5], 2, v[4:5]
	v_add_u32_e32 v6, s3, v99
	v_add_co_u32_e32 v4, vcc, s39, v4
	v_ashrrev_i32_e32 v7, 31, v6
	v_addc_co_u32_e32 v5, vcc, v105, v5, vcc
	v_lshlrev_b64 v[6:7], 2, v[6:7]
	v_add_u32_e32 v8, s26, v99
	v_add_co_u32_e32 v6, vcc, s39, v6
	v_ashrrev_i32_e32 v9, 31, v8
	v_addc_co_u32_e32 v7, vcc, v105, v7, vcc
	v_lshlrev_b64 v[8:9], 2, v[8:9]
	v_add_u32_e32 v10, s27, v99
	v_add_co_u32_e32 v8, vcc, s39, v8
	v_ashrrev_i32_e32 v11, 31, v10
	v_addc_co_u32_e32 v9, vcc, v105, v9, vcc
	v_lshlrev_b64 v[10:11], 2, v[10:11]
	v_add_u32_e32 v12, s34, v99
	v_add_co_u32_e32 v10, vcc, s39, v10
	v_ashrrev_i32_e32 v13, 31, v12
	v_addc_co_u32_e32 v11, vcc, v105, v11, vcc
	v_lshlrev_b64 v[12:13], 2, v[12:13]
	v_add_u32_e32 v14, s35, v99
	v_add_co_u32_e32 v12, vcc, s39, v12
	v_ashrrev_i32_e32 v15, 31, v14
	v_addc_co_u32_e32 v13, vcc, v105, v13, vcc
	v_lshlrev_b64 v[14:15], 2, v[14:15]
	v_add_u32_e32 v20, s30, v99
	v_add_co_u32_e32 v14, vcc, s39, v14
	v_ashrrev_i32_e32 v21, 31, v20
	v_addc_co_u32_e32 v15, vcc, v105, v15, vcc
	v_lshlrev_b64 v[20:21], 2, v[20:21]
	v_add_co_u32_e32 v20, vcc, s39, v20
	v_addc_co_u32_e32 v21, vcc, v105, v21, vcc
	global_load_dword v36, v[2:3], off
	global_load_dword v37, v[4:5], off
	global_load_dword v38, v[6:7], off
	global_load_dword v39, v[8:9], off
	global_load_dword v40, v[10:11], off
	global_load_dword v41, v[12:13], off
	global_load_dword v42, v[14:15], off
	global_load_dword v43, v[20:21], off
	v_add_u32_e32 v2, s31, v99
	v_ashrrev_i32_e32 v3, 31, v2
	v_lshlrev_b64 v[2:3], 2, v[2:3]
	v_add_u32_e32 v4, s78, v99
	v_add_co_u32_e32 v2, vcc, s39, v2
	v_ashrrev_i32_e32 v5, 31, v4
	v_addc_co_u32_e32 v3, vcc, v105, v3, vcc
	v_lshlrev_b64 v[4:5], 2, v[4:5]
	v_add_u32_e32 v6, s80, v99
	v_add_co_u32_e32 v4, vcc, s39, v4
	v_ashrrev_i32_e32 v7, 31, v6
	v_addc_co_u32_e32 v5, vcc, v105, v5, vcc
	v_lshlrev_b64 v[6:7], 2, v[6:7]
	v_add_u32_e32 v8, s41, v99
	v_add_co_u32_e32 v6, vcc, s39, v6
	v_ashrrev_i32_e32 v9, 31, v8
	v_addc_co_u32_e32 v7, vcc, v105, v7, vcc
	v_lshlrev_b64 v[8:9], 2, v[8:9]
	v_add_u32_e32 v10, s10, v99
	v_add_co_u32_e32 v8, vcc, s39, v8
	v_ashrrev_i32_e32 v11, 31, v10
	v_addc_co_u32_e32 v9, vcc, v105, v9, vcc
	v_lshlrev_b64 v[10:11], 2, v[10:11]
	v_add_u32_e32 v12, s11, v99
	v_add_co_u32_e32 v10, vcc, s39, v10
	v_ashrrev_i32_e32 v13, 31, v12
	v_addc_co_u32_e32 v11, vcc, v105, v11, vcc
	v_lshlrev_b64 v[12:13], 2, v[12:13]
	v_add_u32_e32 v14, s81, v99
	v_add_co_u32_e32 v12, vcc, s39, v12
	v_ashrrev_i32_e32 v15, 31, v14
	v_addc_co_u32_e32 v13, vcc, v105, v13, vcc
	v_lshlrev_b64 v[14:15], 2, v[14:15]
	v_add_u32_e32 v20, s82, v99
	v_add_co_u32_e32 v14, vcc, s39, v14
	v_ashrrev_i32_e32 v21, 31, v20
	v_addc_co_u32_e32 v15, vcc, v105, v15, vcc
	v_lshlrev_b64 v[20:21], 2, v[20:21]
	v_add_co_u32_e32 v20, vcc, s39, v20
	v_addc_co_u32_e32 v21, vcc, v105, v21, vcc
	global_load_dword v44, v[2:3], off
	global_load_dword v45, v[4:5], off
	global_load_dword v46, v[6:7], off
	global_load_dword v47, v[8:9], off
	global_load_dword v48, v[10:11], off
	global_load_dword v49, v[12:13], off
	global_load_dword v54, v[14:15], off
	global_load_dword v55, v[20:21], off
	v_add_u32_e32 v2, s83, v99
	v_ashrrev_i32_e32 v3, 31, v2
	;; [unrolled: 48-line block ×5, first 2 shown]
	v_lshlrev_b64 v[2:3], 2, v[2:3]
	v_add_u32_e32 v4, s89, v99
	v_add_co_u32_e32 v2, vcc, s39, v2
	v_ashrrev_i32_e32 v5, 31, v4
	v_addc_co_u32_e32 v3, vcc, v105, v3, vcc
	v_lshlrev_b64 v[4:5], 2, v[4:5]
	v_add_u32_e32 v6, s90, v99
	v_add_co_u32_e32 v4, vcc, s39, v4
	v_ashrrev_i32_e32 v7, 31, v6
	v_addc_co_u32_e32 v5, vcc, v105, v5, vcc
	v_lshlrev_b64 v[6:7], 2, v[6:7]
	v_add_u32_e32 v8, s91, v99
	v_add_co_u32_e32 v6, vcc, s39, v6
	v_ashrrev_i32_e32 v9, 31, v8
	v_addc_co_u32_e32 v7, vcc, v105, v7, vcc
	v_lshlrev_b64 v[8:9], 2, v[8:9]
	v_add_u32_e32 v10, s93, v99
	v_add_co_u32_e32 v8, vcc, s39, v8
	v_ashrrev_i32_e32 v11, 31, v10
	v_addc_co_u32_e32 v9, vcc, v105, v9, vcc
	v_lshlrev_b64 v[10:11], 2, v[10:11]
	v_add_u32_e32 v12, s94, v99
	v_add_co_u32_e32 v10, vcc, s39, v10
	v_ashrrev_i32_e32 v13, 31, v12
	v_addc_co_u32_e32 v11, vcc, v105, v11, vcc
	v_lshlrev_b64 v[12:13], 2, v[12:13]
	v_add_co_u32_e32 v12, vcc, s39, v12
	v_addc_co_u32_e32 v13, vcc, v105, v13, vcc
	ds_read_b64 v[34:35], v103 offset:64
	ds_read_b64 v[32:33], v103 offset:96
	;; [unrolled: 1-line block ×4, first 2 shown]
	global_load_dword v80, v[2:3], off
	global_load_dword v81, v[4:5], off
	global_load_dword v82, v[6:7], off
	global_load_dword v83, v[8:9], off
	global_load_dword v84, v[10:11], off
	global_load_dword v85, v[12:13], off
	ds_read_b64 v[30:31], v103 offset:192
	ds_read_b64 v[26:27], v103 offset:224
	ds_read_b64 v[22:23], v103 offset:256
	ds_read_b64 v[20:21], v103 offset:288
	s_waitcnt vmcnt(47)
	ds_write_b32 v102, v0 offset:64
	s_waitcnt vmcnt(46)
	ds_write_b32 v102, v1 offset:328
	s_waitcnt vmcnt(45)
	ds_write_b32 v102, v36 offset:592
	s_waitcnt vmcnt(44)
	ds_write_b32 v102, v37 offset:856
	s_waitcnt vmcnt(43)
	ds_write_b32 v102, v38 offset:1120
	s_waitcnt vmcnt(42)
	ds_write_b32 v102, v39 offset:1384
	s_waitcnt vmcnt(41)
	ds_write_b32 v102, v40 offset:1648
	s_waitcnt vmcnt(40)
	ds_write_b32 v102, v41 offset:1912
	s_waitcnt vmcnt(39)
	ds_write_b32 v102, v42 offset:2176
	s_waitcnt vmcnt(38)
	ds_write_b32 v102, v43 offset:2440
	s_waitcnt vmcnt(37)
	ds_write_b32 v102, v44 offset:2704
	s_waitcnt vmcnt(36)
	ds_write_b32 v102, v45 offset:2968
	s_waitcnt vmcnt(35)
	ds_write_b32 v102, v46 offset:3232
	s_waitcnt vmcnt(34)
	ds_write_b32 v102, v47 offset:3496
	s_waitcnt vmcnt(33)
	ds_write_b32 v102, v48 offset:3760
	s_waitcnt vmcnt(32)
	ds_write_b32 v102, v49 offset:4024
	ds_read_b64 v[52:53], v103 offset:64
	ds_read_b64 v[50:51], v103 offset:96
	ds_read_b64 v[46:47], v103 offset:128
	ds_read_b64 v[44:45], v103 offset:160
	ds_read_b64 v[42:43], v103 offset:192
	ds_read_b64 v[40:41], v103 offset:224
	ds_read_b64 v[38:39], v103 offset:256
	ds_read_b64 v[36:37], v103 offset:288
	s_waitcnt vmcnt(31)
	ds_write_b32 v102, v54 offset:64
	s_waitcnt vmcnt(30)
	ds_write_b32 v102, v55 offset:328
	s_waitcnt vmcnt(29)
	ds_write_b32 v102, v56 offset:592
	s_waitcnt vmcnt(28)
	ds_write_b32 v102, v57 offset:856
	s_waitcnt vmcnt(27)
	ds_write_b32 v102, v58 offset:1120
	s_waitcnt vmcnt(26)
	ds_write_b32 v102, v59 offset:1384
	s_waitcnt vmcnt(25)
	ds_write_b32 v102, v60 offset:1648
	s_waitcnt vmcnt(24)
	ds_write_b32 v102, v61 offset:1912
	s_waitcnt vmcnt(23)
	ds_write_b32 v102, v62 offset:2176
	s_waitcnt vmcnt(22)
	ds_write_b32 v102, v63 offset:2440
	s_waitcnt vmcnt(21)
	ds_write_b32 v102, v64 offset:2704
	s_waitcnt vmcnt(20)
	ds_write_b32 v102, v65 offset:2968
	s_waitcnt vmcnt(19)
	ds_write_b32 v102, v66 offset:3232
	s_waitcnt vmcnt(18)
	ds_write_b32 v102, v67 offset:3496
	s_waitcnt vmcnt(17)
	ds_write_b32 v102, v68 offset:3760
	s_waitcnt vmcnt(16)
	ds_write_b32 v102, v69 offset:4024
	ds_read_b64 v[66:67], v103 offset:64
	ds_read_b64 v[64:65], v103 offset:96
	ds_read_b64 v[62:63], v103 offset:128
	ds_read_b64 v[60:61], v103 offset:160
	;; [unrolled: 40-line block ×3, first 2 shown]
	ds_read_b64 v[78:79], v103 offset:192
	ds_read_b64 v[74:75], v103 offset:224
	;; [unrolled: 1-line block ×4, first 2 shown]
	v_accvgpr_read_b32 v3, a15
	v_accvgpr_read_b32 v2, a14
	;; [unrolled: 1-line block ×16, first 2 shown]
	s_andn2_b64 vcc, exec, s[6:7]
	v_mov_b32_e32 v84, 0
	v_mov_b32_e32 v85, 0
	s_cbranch_vccnz .LBB124_146
; %bb.144:                              ;   in Loop: Header=BB124_143 Depth=1
	ds_read_b32 v108, v101
	v_mov_b32_e32 v85, 0
	v_mov_b32_e32 v84, 0
	s_waitcnt lgkmcnt(0)
	v_cmp_gt_i32_e32 vcc, 0, v108
	s_cbranch_vccnz .LBB124_146
; %bb.145:                              ;   in Loop: Header=BB124_143 Depth=1
	v_mul_lo_u32 v84, v108, s49
	v_add_u32_e32 v84, v104, v84
	v_ashrrev_i32_e32 v85, 31, v84
	v_lshlrev_b64 v[84:85], 2, v[84:85]
	v_mov_b32_e32 v108, s51
	v_add_co_u32_e32 v84, vcc, s48, v84
	v_addc_co_u32_e32 v85, vcc, v108, v85, vcc
	global_load_dwordx2 v[84:85], v[84:85], off
.LBB124_146:                            ;   in Loop: Header=BB124_143 Depth=1
	s_waitcnt vmcnt(0)
	v_and_b32_e32 v108, 0x7f800000, v84
	v_cmp_ne_u32_e32 vcc, s95, v108
                                        ; implicit-def: $vgpr108
	s_and_saveexec_b64 s[52:53], vcc
	s_xor_b64 s[52:53], exec, s[52:53]
; %bb.147:                              ;   in Loop: Header=BB124_143 Depth=1
	v_bfe_u32 v108, v84, 16, 1
	v_add3_u32 v108, v84, v108, s28
; %bb.148:                              ;   in Loop: Header=BB124_143 Depth=1
	s_andn2_saveexec_b64 s[52:53], s[52:53]
; %bb.149:                              ;   in Loop: Header=BB124_143 Depth=1
	v_or_b32_e32 v108, 0x10000, v84
	v_cmp_eq_u32_sdwa vcc, v84, v106 src0_sel:WORD_0 src1_sel:DWORD
	v_cndmask_b32_e32 v108, v108, v84, vcc
; %bb.150:                              ;   in Loop: Header=BB124_143 Depth=1
	s_or_b64 exec, exec, s[52:53]
	v_and_b32_e32 v84, 0x7f800000, v85
	v_cmp_ne_u32_e32 vcc, s95, v84
                                        ; implicit-def: $vgpr84
	s_and_saveexec_b64 s[52:53], vcc
	s_xor_b64 s[52:53], exec, s[52:53]
; %bb.151:                              ;   in Loop: Header=BB124_143 Depth=1
	v_bfe_u32 v84, v85, 16, 1
	v_add3_u32 v84, v85, v84, s28
                                        ; implicit-def: $vgpr85
; %bb.152:                              ;   in Loop: Header=BB124_143 Depth=1
	s_andn2_saveexec_b64 s[52:53], s[52:53]
; %bb.153:                              ;   in Loop: Header=BB124_143 Depth=1
	v_or_b32_e32 v84, 0x10000, v85
	v_cmp_eq_u32_sdwa vcc, v85, v106 src0_sel:WORD_0 src1_sel:DWORD
	v_cndmask_b32_e32 v84, v84, v85, vcc
; %bb.154:                              ;   in Loop: Header=BB124_143 Depth=1
	s_or_b64 exec, exec, s[52:53]
	v_perm_b32 v84, v84, v108, s29
	ds_write_b32 v102, v84 offset:64
	s_andn2_b64 vcc, exec, s[36:37]
	v_mov_b32_e32 v84, 0
	v_mov_b32_e32 v85, 0
	s_cbranch_vccnz .LBB124_157
; %bb.155:                              ;   in Loop: Header=BB124_143 Depth=1
	ds_read_b32 v108, v101 offset:4
	v_mov_b32_e32 v85, 0
	v_mov_b32_e32 v84, 0
	s_waitcnt lgkmcnt(0)
	v_cmp_gt_i32_e32 vcc, 0, v108
	s_cbranch_vccnz .LBB124_157
; %bb.156:                              ;   in Loop: Header=BB124_143 Depth=1
	v_mul_lo_u32 v84, v108, s49
	v_readlane_b32 s52, v112, 47
	v_add_u32_e32 v84, s52, v84
	v_add_u32_e32 v84, v84, v104
	v_ashrrev_i32_e32 v85, 31, v84
	v_lshlrev_b64 v[84:85], 2, v[84:85]
	v_mov_b32_e32 v108, s51
	v_add_co_u32_e32 v84, vcc, s48, v84
	v_addc_co_u32_e32 v85, vcc, v108, v85, vcc
	global_load_dwordx2 v[84:85], v[84:85], off
.LBB124_157:                            ;   in Loop: Header=BB124_143 Depth=1
	s_waitcnt vmcnt(0)
	v_and_b32_e32 v108, 0x7f800000, v84
	v_cmp_ne_u32_e32 vcc, s95, v108
                                        ; implicit-def: $vgpr108
	s_and_saveexec_b64 s[52:53], vcc
	s_xor_b64 s[52:53], exec, s[52:53]
; %bb.158:                              ;   in Loop: Header=BB124_143 Depth=1
	v_bfe_u32 v108, v84, 16, 1
	v_add3_u32 v108, v84, v108, s28
; %bb.159:                              ;   in Loop: Header=BB124_143 Depth=1
	s_andn2_saveexec_b64 s[52:53], s[52:53]
; %bb.160:                              ;   in Loop: Header=BB124_143 Depth=1
	v_or_b32_e32 v108, 0x10000, v84
	v_cmp_eq_u32_sdwa vcc, v84, v106 src0_sel:WORD_0 src1_sel:DWORD
	v_cndmask_b32_e32 v108, v108, v84, vcc
; %bb.161:                              ;   in Loop: Header=BB124_143 Depth=1
	s_or_b64 exec, exec, s[52:53]
	v_and_b32_e32 v84, 0x7f800000, v85
	v_cmp_ne_u32_e32 vcc, s95, v84
                                        ; implicit-def: $vgpr84
	s_and_saveexec_b64 s[52:53], vcc
	s_xor_b64 s[52:53], exec, s[52:53]
; %bb.162:                              ;   in Loop: Header=BB124_143 Depth=1
	v_bfe_u32 v84, v85, 16, 1
	v_add3_u32 v84, v85, v84, s28
                                        ; implicit-def: $vgpr85
; %bb.163:                              ;   in Loop: Header=BB124_143 Depth=1
	s_andn2_saveexec_b64 s[52:53], s[52:53]
; %bb.164:                              ;   in Loop: Header=BB124_143 Depth=1
	v_or_b32_e32 v84, 0x10000, v85
	v_cmp_eq_u32_sdwa vcc, v85, v106 src0_sel:WORD_0 src1_sel:DWORD
	v_cndmask_b32_e32 v84, v84, v85, vcc
; %bb.165:                              ;   in Loop: Header=BB124_143 Depth=1
	s_or_b64 exec, exec, s[52:53]
	v_perm_b32 v84, v84, v108, s29
	ds_write_b32 v102, v84 offset:328
	s_andn2_b64 vcc, exec, s[46:47]
	v_mov_b32_e32 v84, 0
	v_mov_b32_e32 v85, 0
	s_cbranch_vccnz .LBB124_168
; %bb.166:                              ;   in Loop: Header=BB124_143 Depth=1
	ds_read_b32 v108, v101 offset:8
	v_mov_b32_e32 v85, 0
	v_mov_b32_e32 v84, 0
	s_waitcnt lgkmcnt(0)
	v_cmp_gt_i32_e32 vcc, 0, v108
	s_cbranch_vccnz .LBB124_168
; %bb.167:                              ;   in Loop: Header=BB124_143 Depth=1
	v_mul_lo_u32 v84, v108, s49
	v_readlane_b32 s52, v112, 36
	v_add_u32_e32 v84, s52, v84
	v_add_u32_e32 v84, v84, v104
	v_ashrrev_i32_e32 v85, 31, v84
	v_lshlrev_b64 v[84:85], 2, v[84:85]
	v_mov_b32_e32 v108, s51
	v_add_co_u32_e32 v84, vcc, s48, v84
	v_addc_co_u32_e32 v85, vcc, v108, v85, vcc
	global_load_dwordx2 v[84:85], v[84:85], off
.LBB124_168:                            ;   in Loop: Header=BB124_143 Depth=1
	;; [unrolled: 59-line block ×12, first 2 shown]
	s_waitcnt vmcnt(0)
	v_and_b32_e32 v108, 0x7f800000, v84
	v_cmp_ne_u32_e32 vcc, s95, v108
                                        ; implicit-def: $vgpr108
	s_and_saveexec_b64 s[52:53], vcc
	s_xor_b64 s[52:53], exec, s[52:53]
; %bb.279:                              ;   in Loop: Header=BB124_143 Depth=1
	v_bfe_u32 v108, v84, 16, 1
	v_add3_u32 v108, v84, v108, s28
; %bb.280:                              ;   in Loop: Header=BB124_143 Depth=1
	s_andn2_saveexec_b64 s[52:53], s[52:53]
; %bb.281:                              ;   in Loop: Header=BB124_143 Depth=1
	v_or_b32_e32 v108, 0x10000, v84
	v_cmp_eq_u32_sdwa vcc, v84, v106 src0_sel:WORD_0 src1_sel:DWORD
	v_cndmask_b32_e32 v108, v108, v84, vcc
; %bb.282:                              ;   in Loop: Header=BB124_143 Depth=1
	s_or_b64 exec, exec, s[52:53]
	v_and_b32_e32 v84, 0x7f800000, v85
	v_cmp_ne_u32_e32 vcc, s95, v84
                                        ; implicit-def: $vgpr84
	s_and_saveexec_b64 s[52:53], vcc
	s_xor_b64 s[52:53], exec, s[52:53]
; %bb.283:                              ;   in Loop: Header=BB124_143 Depth=1
	v_bfe_u32 v84, v85, 16, 1
	v_add3_u32 v84, v85, v84, s28
                                        ; implicit-def: $vgpr85
; %bb.284:                              ;   in Loop: Header=BB124_143 Depth=1
	s_andn2_saveexec_b64 s[52:53], s[52:53]
	s_cbranch_execz .LBB124_142
; %bb.285:                              ;   in Loop: Header=BB124_143 Depth=1
	v_or_b32_e32 v84, 0x10000, v85
	v_cmp_eq_u32_sdwa vcc, v85, v106 src0_sel:WORD_0 src1_sel:DWORD
	v_cndmask_b32_e32 v84, v84, v85, vcc
	s_branch .LBB124_142
.LBB124_286:
	s_or_b64 exec, exec, s[42:43]
	v_readlane_b32 s30, v112, 28
	v_readlane_b32 s16, v112, 32
	;; [unrolled: 1-line block ×8, first 2 shown]
.LBB124_287:
	v_readlane_b32 s0, v112, 26
	v_readlane_b32 s1, v112, 27
	s_or_b64 exec, exec, s[0:1]
	s_movk_i32 s0, 0x100
	v_lshlrev_b32_e32 v0, 2, v98
	v_add3_u32 v0, s0, v100, v0
	v_and_b32_e32 v2, 0x3f0, v16
	v_add_u32_e32 v3, v0, v2
	ds_write2_b32 v3, a12, a13 offset0:16 offset1:17
	v_or_b32_e32 v3, 12, v16
	v_add_u32_e32 v1, 64, v0
	v_and_b32_e32 v3, 0x3fc, v3
	v_add_u32_e32 v2, v1, v2
	v_add_u32_e32 v0, v0, v3
	ds_write_b32 v2, a14 offset:8
	ds_write_b32 v0, a15 offset:64
	ds_write2_b32 v2, a4, a5 offset0:16 offset1:17
	ds_write_b32 v2, a6 offset:72
	v_add_u32_e32 v0, v1, v3
	ds_write_b32 v0, a7 offset:64
	ds_write2_b32 v2, a0, a1 offset0:32 offset1:33
	ds_write_b32 v2, a2 offset:136
	ds_write_b32 v0, a3 offset:128
	ds_write2_b32 v2, a8, a9 offset0:48 offset1:49
	ds_write_b32 v2, a10 offset:200
	ds_write_b32 v0, a11 offset:192
	v_mov_b32_e32 v0, 0x100
	v_lshl_add_u32 v1, v16, 2, v0
	s_movk_i32 s0, 0x108
	v_mad_u32_u24 v2, v17, s0, v1
	ds_read_b32 v3, v2 offset:64
	v_cmp_gt_u32_e32 vcc, 13, v17
	v_mov_b32_e32 v4, -1
	s_and_saveexec_b64 s[4:5], vcc
	s_cbranch_execz .LBB124_289
; %bb.288:
	v_lshl_add_u32 v0, v17, 2, v0
	ds_read_b32 v4, v0
.LBB124_289:
	s_or_b64 exec, exec, s[4:5]
	s_mul_hi_i32 s1, s18, s8
	s_mul_i32 s0, s18, s8
	s_lshl_b64 s[0:1], s[0:1], 2
	v_readlane_b32 s4, v112, 24
	s_mul_hi_i32 s3, s9, s45
	s_mul_i32 s2, s9, s45
	v_readlane_b32 s5, v112, 25
	s_add_u32 s4, s4, s0
	s_addc_u32 s5, s5, s1
	s_lshl_b64 s[0:1], s[2:3], 2
	s_add_u32 s2, s4, s0
	s_waitcnt lgkmcnt(0)
	v_cmp_lt_i32_e32 vcc, -1, v4
	v_mul_u32_u24_e32 v2, 0x108, v17
	v_add_u32_e32 v0, s6, v16
	s_addc_u32 s3, s5, s1
	s_and_b64 s[4:5], vcc, s[30:31]
	s_and_saveexec_b64 s[0:1], s[4:5]
	s_cbranch_execz .LBB124_291
; %bb.290:
	v_mul_lo_u32 v4, v4, s50
	v_mul_lo_u32 v5, v17, s45
	v_add3_u32 v4, v0, v5, v4
	v_mov_b32_e32 v5, 0
	v_lshlrev_b64 v[4:5], 2, v[4:5]
	v_mov_b32_e32 v6, s3
	v_add_co_u32_e32 v4, vcc, s2, v4
	v_add_f32_e32 v3, 0, v3
	v_addc_co_u32_e32 v5, vcc, v6, v5, vcc
	global_store_dword v[4:5], v3, off
.LBB124_291:
	s_or_b64 exec, exec, s[0:1]
	v_add_u32_e32 v1, v2, v1
	ds_read_b32 v2, v1 offset:328
	v_cmp_gt_u32_e32 vcc, 12, v17
	v_mov_b32_e32 v3, -1
	s_and_saveexec_b64 s[0:1], vcc
	s_cbranch_execz .LBB124_293
; %bb.292:
	v_mov_b32_e32 v3, 0x100
	v_lshl_add_u32 v3, v17, 2, v3
	ds_read_b32 v3, v3 offset:4
.LBB124_293:
	s_or_b64 exec, exec, s[0:1]
	v_readlane_b32 s0, v112, 0
	s_waitcnt lgkmcnt(0)
	v_cmp_lt_i32_e32 vcc, -1, v3
	v_readlane_b32 s1, v112, 1
	s_and_b64 s[4:5], vcc, s[0:1]
	s_and_saveexec_b64 s[0:1], s[4:5]
	s_cbranch_execz .LBB124_295
; %bb.294:
	v_add_f32_e32 v4, 0, v2
	v_mul_lo_u32 v2, v3, s50
	v_mul_lo_u32 v3, v86, s45
	v_add3_u32 v2, v0, v3, v2
	v_mov_b32_e32 v3, 0
	v_lshlrev_b64 v[2:3], 2, v[2:3]
	v_mov_b32_e32 v5, s3
	v_add_co_u32_e32 v2, vcc, s2, v2
	v_addc_co_u32_e32 v3, vcc, v5, v3, vcc
	global_store_dword v[2:3], v4, off
.LBB124_295:
	s_or_b64 exec, exec, s[0:1]
	ds_read_b32 v2, v1 offset:592
	v_cmp_gt_u32_e32 vcc, 11, v17
	v_mov_b32_e32 v3, -1
	s_and_saveexec_b64 s[0:1], vcc
	s_cbranch_execz .LBB124_297
; %bb.296:
	v_mov_b32_e32 v3, 0x100
	v_lshl_add_u32 v3, v17, 2, v3
	ds_read_b32 v3, v3 offset:8
.LBB124_297:
	s_or_b64 exec, exec, s[0:1]
	v_readlane_b32 s0, v112, 2
	s_waitcnt lgkmcnt(0)
	v_cmp_lt_i32_e32 vcc, -1, v3
	v_readlane_b32 s1, v112, 3
	s_and_b64 s[4:5], vcc, s[0:1]
	s_and_saveexec_b64 s[0:1], s[4:5]
	s_cbranch_execz .LBB124_299
; %bb.298:
	v_add_f32_e32 v4, 0, v2
	v_mul_lo_u32 v2, v3, s50
	v_mul_lo_u32 v3, v87, s45
	v_add3_u32 v2, v0, v3, v2
	v_mov_b32_e32 v3, 0
	v_lshlrev_b64 v[2:3], 2, v[2:3]
	v_mov_b32_e32 v5, s3
	v_add_co_u32_e32 v2, vcc, s2, v2
	v_addc_co_u32_e32 v3, vcc, v5, v3, vcc
	global_store_dword v[2:3], v4, off
.LBB124_299:
	s_or_b64 exec, exec, s[0:1]
	;; [unrolled: 31-line block ×11, first 2 shown]
	ds_read_b32 v1, v1 offset:3232
	v_cmp_eq_u32_e32 vcc, 0, v17
	v_mov_b32_e32 v2, -1
	s_and_saveexec_b64 s[0:1], vcc
	s_cbranch_execz .LBB124_337
; %bb.336:
	v_mov_b32_e32 v2, 0x100
	ds_read_b32 v2, v2 offset:48
.LBB124_337:
	s_or_b64 exec, exec, s[0:1]
	v_readlane_b32 s0, v112, 22
	s_waitcnt lgkmcnt(0)
	v_cmp_lt_i32_e32 vcc, -1, v2
	v_readlane_b32 s1, v112, 23
	s_and_b64 s[0:1], vcc, s[0:1]
	s_and_saveexec_b64 s[4:5], s[0:1]
	s_cbranch_execz .LBB124_339
; %bb.338:
	v_add_f32_e32 v3, 0, v1
	v_mul_lo_u32 v1, v2, s50
	v_mul_lo_u32 v2, v97, s45
	v_add3_u32 v0, v0, v2, v1
	v_mov_b32_e32 v1, 0
	v_lshlrev_b64 v[0:1], 2, v[0:1]
	v_mov_b32_e32 v2, s3
	v_add_co_u32_e32 v0, vcc, s2, v0
	v_addc_co_u32_e32 v1, vcc, v2, v1, vcc
	global_store_dword v[0:1], v3, off
.LBB124_339:
	s_endpgm
	.section	.rodata,"a",@progbits
	.p2align	6, 0x0
	.amdhsa_kernel _ZL9mul_mat_fI15__hip_bfloat162Li64ELi13ELi1ELb1EEvPKT_PKfPKiPfiiiiiiiiiiiiiiii
		.amdhsa_group_segment_fixed_size 256
		.amdhsa_private_segment_fixed_size 0
		.amdhsa_kernarg_size 352
		.amdhsa_user_sgpr_count 6
		.amdhsa_user_sgpr_private_segment_buffer 1
		.amdhsa_user_sgpr_dispatch_ptr 0
		.amdhsa_user_sgpr_queue_ptr 0
		.amdhsa_user_sgpr_kernarg_segment_ptr 1
		.amdhsa_user_sgpr_dispatch_id 0
		.amdhsa_user_sgpr_flat_scratch_init 0
		.amdhsa_user_sgpr_kernarg_preload_length 0
		.amdhsa_user_sgpr_kernarg_preload_offset 0
		.amdhsa_user_sgpr_private_segment_size 0
		.amdhsa_uses_dynamic_stack 0
		.amdhsa_system_sgpr_private_segment_wavefront_offset 0
		.amdhsa_system_sgpr_workgroup_id_x 1
		.amdhsa_system_sgpr_workgroup_id_y 1
		.amdhsa_system_sgpr_workgroup_id_z 1
		.amdhsa_system_sgpr_workgroup_info 0
		.amdhsa_system_vgpr_workitem_id 2
		.amdhsa_next_free_vgpr 136
		.amdhsa_next_free_sgpr 96
		.amdhsa_accum_offset 116
		.amdhsa_reserve_vcc 1
		.amdhsa_reserve_flat_scratch 0
		.amdhsa_float_round_mode_32 0
		.amdhsa_float_round_mode_16_64 0
		.amdhsa_float_denorm_mode_32 3
		.amdhsa_float_denorm_mode_16_64 3
		.amdhsa_dx10_clamp 1
		.amdhsa_ieee_mode 1
		.amdhsa_fp16_overflow 0
		.amdhsa_tg_split 0
		.amdhsa_exception_fp_ieee_invalid_op 0
		.amdhsa_exception_fp_denorm_src 0
		.amdhsa_exception_fp_ieee_div_zero 0
		.amdhsa_exception_fp_ieee_overflow 0
		.amdhsa_exception_fp_ieee_underflow 0
		.amdhsa_exception_fp_ieee_inexact 0
		.amdhsa_exception_int_div_zero 0
	.end_amdhsa_kernel
	.section	.text._ZL9mul_mat_fI15__hip_bfloat162Li64ELi13ELi1ELb1EEvPKT_PKfPKiPfiiiiiiiiiiiiiiii,"axG",@progbits,_ZL9mul_mat_fI15__hip_bfloat162Li64ELi13ELi1ELb1EEvPKT_PKfPKiPfiiiiiiiiiiiiiiii,comdat
.Lfunc_end124:
	.size	_ZL9mul_mat_fI15__hip_bfloat162Li64ELi13ELi1ELb1EEvPKT_PKfPKiPfiiiiiiiiiiiiiiii, .Lfunc_end124-_ZL9mul_mat_fI15__hip_bfloat162Li64ELi13ELi1ELb1EEvPKT_PKfPKiPfiiiiiiiiiiiiiiii
                                        ; -- End function
	.section	.AMDGPU.csdata,"",@progbits
; Kernel info:
; codeLenInByte = 15352
; NumSgprs: 100
; NumVgprs: 113
; NumAgprs: 20
; TotalNumVgprs: 136
; ScratchSize: 0
; MemoryBound: 0
; FloatMode: 240
; IeeeMode: 1
; LDSByteSize: 256 bytes/workgroup (compile time only)
; SGPRBlocks: 12
; VGPRBlocks: 16
; NumSGPRsForWavesPerEU: 100
; NumVGPRsForWavesPerEU: 136
; AccumOffset: 116
; Occupancy: 3
; WaveLimiterHint : 0
; COMPUTE_PGM_RSRC2:SCRATCH_EN: 0
; COMPUTE_PGM_RSRC2:USER_SGPR: 6
; COMPUTE_PGM_RSRC2:TRAP_HANDLER: 0
; COMPUTE_PGM_RSRC2:TGID_X_EN: 1
; COMPUTE_PGM_RSRC2:TGID_Y_EN: 1
; COMPUTE_PGM_RSRC2:TGID_Z_EN: 1
; COMPUTE_PGM_RSRC2:TIDIG_COMP_CNT: 2
; COMPUTE_PGM_RSRC3_GFX90A:ACCUM_OFFSET: 28
; COMPUTE_PGM_RSRC3_GFX90A:TG_SPLIT: 0
	.section	.text._ZL9mul_mat_fI15__hip_bfloat162Li64ELi13ELi1ELb0EEvPKT_PKfPKiPfiiiiiiiiiiiiiiii,"axG",@progbits,_ZL9mul_mat_fI15__hip_bfloat162Li64ELi13ELi1ELb0EEvPKT_PKfPKiPfiiiiiiiiiiiiiiii,comdat
	.globl	_ZL9mul_mat_fI15__hip_bfloat162Li64ELi13ELi1ELb0EEvPKT_PKfPKiPfiiiiiiiiiiiiiiii ; -- Begin function _ZL9mul_mat_fI15__hip_bfloat162Li64ELi13ELi1ELb0EEvPKT_PKfPKiPfiiiiiiiiiiiiiiii
	.p2align	8
	.type	_ZL9mul_mat_fI15__hip_bfloat162Li64ELi13ELi1ELb0EEvPKT_PKfPKiPfiiiiiiiiiiiiiiii,@function
_ZL9mul_mat_fI15__hip_bfloat162Li64ELi13ELi1ELb0EEvPKT_PKfPKiPfiiiiiiiiiiiiiiii: ; @_ZL9mul_mat_fI15__hip_bfloat162Li64ELi13ELi1ELb0EEvPKT_PKfPKiPfiiiiiiiiiiiiiiii
; %bb.0:
	s_load_dwordx8 s[12:19], s[4:5], 0x40
	s_load_dword s9, s[4:5], 0x20
	s_load_dwordx4 s[0:3], s[4:5], 0x2c
	v_bfe_u32 v86, v0, 10, 10
	v_lshlrev_b32_e32 v88, 6, v86
	v_and_b32_e32 v87, 0x3ff, v0
	s_waitcnt lgkmcnt(0)
	s_abs_i32 s27, s12
	s_abs_i32 s26, s16
	v_cvt_f32_u32_e32 v1, s27
	v_cvt_f32_u32_e32 v2, s26
	v_or_b32_e32 v90, v88, v87
	s_mov_b32 s22, 0
	v_rcp_iflag_f32_e32 v1, v1
	v_rcp_iflag_f32_e32 v2, v2
	s_ashr_i32 s28, s8, 31
	v_cmp_le_i32_e32 vcc, s9, v90
	v_mul_f32_e32 v1, 0x4f7ffffe, v1
	v_mul_f32_e32 v2, 0x4f7ffffe, v2
	v_cvt_u32_f32_e32 v1, v1
	v_cvt_u32_f32_e32 v2, v2
	v_and_b32_e32 v0, 15, v87
                                        ; implicit-def: $vgpr91
	v_readfirstlane_b32 s21, v1
	v_readfirstlane_b32 s20, v2
	s_and_saveexec_b64 s[10:11], vcc
	s_xor_b64 s[10:11], exec, s[10:11]
; %bb.1:
	v_mul_u32_u24_e32 v91, 0x108, v0
                                        ; implicit-def: $vgpr90
                                        ; implicit-def: $vgpr0
; %bb.2:
	s_or_saveexec_b64 s[24:25], s[10:11]
	s_load_dwordx2 s[10:11], s[4:5], 0x18
	s_lshl_b32 s3, s6, 6
	v_accvgpr_write_b32 a0, s22
	v_accvgpr_write_b32 a1, s22
	;; [unrolled: 1-line block ×16, first 2 shown]
	v_lshlrev_b32_e32 v89, 2, v87
	s_xor_b64 exec, exec, s[24:25]
	s_cbranch_execz .LBB125_110
; %bb.3:
                                        ; implicit-def: $vgpr102 : SGPR spill to VGPR lane
	s_sub_i32 s6, 0, s27
	s_waitcnt lgkmcnt(0)
	v_writelane_b32 v102, s10, 0
	v_writelane_b32 v102, s11, 1
	s_sub_i32 s10, 0, s26
	s_mul_i32 s6, s6, s21
	s_mul_i32 s10, s10, s20
	s_mul_hi_u32 s6, s21, s6
	s_mul_hi_u32 s10, s20, s10
	s_abs_i32 s11, s7
	s_add_i32 s6, s21, s6
	s_abs_i32 s29, s8
	s_add_i32 s10, s20, s10
	s_load_dwordx4 s[20:23], s[4:5], 0x0
	s_mul_hi_u32 s4, s11, s6
	s_mul_hi_u32 s5, s29, s10
	s_ashr_i32 s6, s7, 31
	s_ashr_i32 s10, s12, 31
	s_xor_b32 s6, s6, s10
	s_mul_i32 s10, s4, s27
	s_sub_i32 s10, s11, s10
	s_ashr_i32 s12, s16, 31
	s_add_i32 s11, s4, 1
	s_sub_i32 s16, s10, s27
	s_cmp_ge_u32 s10, s27
	s_cselect_b32 s4, s11, s4
	s_cselect_b32 s10, s16, s10
	s_add_i32 s11, s4, 1
	s_cmp_ge_u32 s10, s27
	s_cselect_b32 s4, s11, s4
	s_mul_i32 s10, s5, s26
	s_xor_b32 s4, s4, s6
	s_sub_i32 s10, s29, s10
	s_sub_i32 s6, s4, s6
	s_xor_b32 s4, s28, s12
	s_add_i32 s11, s5, 1
	s_sub_i32 s12, s10, s26
	s_cmp_ge_u32 s10, s26
	s_cselect_b32 s5, s11, s5
	s_cselect_b32 s10, s12, s10
	s_add_i32 s11, s5, 1
	s_cmp_ge_u32 s10, s26
	s_cselect_b32 s5, s11, s5
	s_xor_b32 s5, s5, s4
	s_sub_i32 s4, s5, s4
	s_mul_hi_i32 s5, s4, s17
	s_mul_i32 s4, s4, s17
	s_mul_i32 s10, s6, s13
	s_ashr_i32 s11, s10, 31
	s_lshl_b64 s[16:17], s[4:5], 2
	s_mul_i32 s12, s3, s0
	s_waitcnt lgkmcnt(0)
	s_add_u32 s6, s20, s16
	s_addc_u32 s27, s21, s17
	s_ashr_i32 s13, s12, 31
	s_lshl_b64 s[12:13], s[12:13], 2
	s_lshl_b64 s[10:11], s[10:11], 2
	s_add_u32 s28, s10, s12
	s_addc_u32 s29, s11, s13
	s_mul_i32 s26, s7, s14
	s_add_u32 s6, s28, s6
	s_mul_hi_i32 s5, s18, s8
	s_mul_i32 s4, s18, s8
	s_addc_u32 s76, s29, s27
	s_ashr_i32 s27, s26, 31
	s_lshl_b64 s[10:11], s[4:5], 2
	s_lshl_b64 s[4:5], s[26:27], 2
	s_add_u32 s22, s22, s4
	s_addc_u32 s23, s23, s5
	s_add_u32 s14, s22, s10
	s_movk_i32 s4, 0x1080
	s_addc_u32 s18, s23, s11
	v_mad_u32_u24 v1, v86, s4, 0
	s_ashr_i32 s5, s0, 31
	s_mov_b32 s4, s0
	v_mul_u32_u24_e32 v91, 0x108, v0
	v_lshrrev_b32_e32 v0, 1, v87
	s_ashr_i32 s13, s1, 31
	s_lshl_b64 s[4:5], s[4:5], 2
	v_and_b32_e32 v0, 0x1f8, v0
	s_add_u32 s16, s28, s16
	v_add3_u32 v93, v1, v91, v0
	v_lshlrev_b32_e32 v0, 8, v86
	s_addc_u32 s17, s29, s17
	v_add_u32_e32 v92, v1, v89
	v_mov_b32_e32 v1, s17
	v_add_co_u32_e32 v0, vcc, s16, v0
	v_addc_co_u32_e32 v1, vcc, 0, v1, vcc
	v_add_co_u32_e32 v0, vcc, v0, v89
	v_addc_co_u32_e32 v1, vcc, 0, v1, vcc
	v_mov_b32_e32 v2, s21
	v_add_co_u32_e32 v16, vcc, s20, v0
	v_addc_co_u32_e32 v17, vcc, v2, v1, vcc
	v_lshlrev_b32_e32 v0, 9, v86
	v_mov_b32_e32 v1, s11
	v_add_co_u32_e32 v0, vcc, s10, v0
	v_addc_co_u32_e32 v1, vcc, 0, v1, vcc
	v_lshlrev_b32_e32 v2, 3, v87
	v_add_co_u32_e32 v0, vcc, v0, v2
	v_addc_co_u32_e32 v1, vcc, 0, v1, vcc
	s_mov_b32 s12, s1
	v_mov_b32_e32 v2, s23
	v_add_co_u32_e32 v18, vcc, s22, v0
	s_lshl_b64 s[12:13], s[12:13], 3
	v_addc_co_u32_e32 v19, vcc, v2, v1, vcc
	s_mul_i32 s20, s0, 63
	s_lshl_b32 s21, s1, 1
	s_mul_i32 s22, s1, 3
	s_lshl_b32 s23, s1, 2
	s_mul_i32 s26, s1, 5
	s_mul_i32 s27, s1, 6
	;; [unrolled: 1-line block ×3, first 2 shown]
	s_lshl_b32 s29, s1, 3
	s_mul_i32 s30, s1, 9
	s_mul_i32 s31, s1, 10
	;; [unrolled: 1-line block ×4, first 2 shown]
	s_lshl_b32 s35, s0, 1
	s_mul_i32 s36, s0, 3
	s_lshl_b32 s37, s0, 2
	s_mul_i32 s38, s0, 5
	s_mul_i32 s39, s0, 6
	;; [unrolled: 1-line block ×3, first 2 shown]
	s_lshl_b32 s41, s0, 3
	s_mul_i32 s42, s0, 9
	s_mul_i32 s43, s0, 10
	;; [unrolled: 1-line block ×7, first 2 shown]
	s_lshl_b32 s49, s0, 4
	s_mul_i32 s50, s0, 17
	s_mul_i32 s51, s0, 18
	;; [unrolled: 1-line block ×15, first 2 shown]
	s_lshl_b32 s65, s0, 5
	s_mul_i32 s66, s0, 33
	s_mul_i32 s67, s0, 34
	;; [unrolled: 1-line block ×10, first 2 shown]
	v_mov_b32_e32 v94, s76
	s_mul_i32 s76, s0, 43
	v_mov_b32_e32 v95, 0
	v_accvgpr_write_b32 a15, 0
	v_accvgpr_write_b32 a14, 0
	v_accvgpr_write_b32 a13, 0
	v_accvgpr_write_b32 a12, 0
	v_accvgpr_write_b32 a11, 0
	v_accvgpr_write_b32 a10, 0
	v_accvgpr_write_b32 a9, 0
	v_accvgpr_write_b32 a8, 0
	v_accvgpr_write_b32 a7, 0
	v_accvgpr_write_b32 a6, 0
	v_accvgpr_write_b32 a5, 0
	v_accvgpr_write_b32 a4, 0
	v_accvgpr_write_b32 a3, 0
	v_accvgpr_write_b32 a2, 0
	v_accvgpr_write_b32 a1, 0
	v_accvgpr_write_b32 a0, 0
	v_mov_b32_e32 v96, s5
	s_mul_i32 s5, s0, 44
	s_mul_i32 s77, s0, 45
	;; [unrolled: 1-line block ×19, first 2 shown]
	s_mov_b32 s95, 0x7f800000
	s_movk_i32 s10, 0x7fff
	s_mov_b32 s11, 0x7060302
	s_mov_b64 s[0:1], 0
	s_branch .LBB125_5
.LBB125_4:                              ;   in Loop: Header=BB125_5 Depth=1
	s_or_b64 exec, exec, s[16:17]
	v_perm_b32 v84, v98, v97, s11
	v_add_u32_e32 v85, 0xc00, v92
	ds_write2_b32 v85, v84, v95 offset0:24 offset1:90
	ds_write2_b32 v85, v95, v95 offset0:156 offset1:222
	ds_read2_b64 v[98:101], v93 offset1:4
	v_accvgpr_write_b32 a0, v0
	v_accvgpr_write_b32 a4, v4
	;; [unrolled: 1-line block ×16, first 2 shown]
	s_waitcnt lgkmcnt(0)
	v_mfma_f32_16x16x16bf16_1k a[0:3], v[38:39], v[98:99], a[0:3]
	ds_read2_b64 v[0:3], v93 offset0:8 offset1:12
	v_add_co_u32_e32 v16, vcc, 0x100, v16
	v_addc_co_u32_e32 v17, vcc, 0, v17, vcc
	v_add_co_u32_e32 v18, vcc, 0x200, v18
	v_mfma_f32_16x16x16bf16_1k a[4:7], v[52:53], v[98:99], a[4:7]
	v_add_u32_e32 v90, 64, v90
	v_addc_co_u32_e32 v19, vcc, 0, v19, vcc
	v_cmp_le_i32_e32 vcc, s9, v90
	s_or_b64 s[0:1], vcc, s[0:1]
	v_mfma_f32_16x16x16bf16_1k a[8:11], v[68:69], v[98:99], a[8:11]
	v_mfma_f32_16x16x16bf16_1k a[12:15], v[82:83], v[98:99], a[12:15]
	;; [unrolled: 1-line block ×6, first 2 shown]
	s_waitcnt lgkmcnt(0)
	v_mfma_f32_16x16x16bf16_1k a[0:3], v[30:31], v[0:1], a[0:3]
	v_mfma_f32_16x16x16bf16_1k a[4:7], v[46:47], v[0:1], a[4:7]
	;; [unrolled: 1-line block ×8, first 2 shown]
	ds_read2_b64 v[0:3], v93 offset0:16 offset1:20
	s_waitcnt lgkmcnt(0)
	v_mfma_f32_16x16x16bf16_1k a[0:3], v[26:27], v[0:1], a[0:3]
	v_mfma_f32_16x16x16bf16_1k a[4:7], v[42:43], v[0:1], a[4:7]
	;; [unrolled: 1-line block ×8, first 2 shown]
	ds_read2_b64 v[0:3], v93 offset0:24 offset1:28
	s_waitcnt lgkmcnt(0)
	v_mfma_f32_16x16x16bf16_1k a[0:3], v[22:23], v[0:1], a[0:3]
	v_mfma_f32_16x16x16bf16_1k a[4:7], v[36:37], v[0:1], a[4:7]
	;; [unrolled: 1-line block ×8, first 2 shown]
	s_andn2_b64 exec, exec, s[0:1]
	s_cbranch_execz .LBB125_109
.LBB125_5:                              ; =>This Inner Loop Header: Depth=1
	v_add_co_u32_e32 v0, vcc, s4, v16
	v_addc_co_u32_e32 v1, vcc, v17, v96, vcc
	global_load_dword v20, v[16:17], off
	global_load_dword v21, v[0:1], off
	v_add_u32_e32 v0, s35, v90
	v_ashrrev_i32_e32 v1, 31, v0
	v_lshlrev_b64 v[0:1], 2, v[0:1]
	v_add_u32_e32 v2, s36, v90
	v_add_co_u32_e32 v0, vcc, s6, v0
	v_ashrrev_i32_e32 v3, 31, v2
	v_addc_co_u32_e32 v1, vcc, v94, v1, vcc
	v_lshlrev_b64 v[2:3], 2, v[2:3]
	v_add_u32_e32 v4, s37, v90
	v_add_co_u32_e32 v2, vcc, s6, v2
	v_ashrrev_i32_e32 v5, 31, v4
	v_addc_co_u32_e32 v3, vcc, v94, v3, vcc
	;; [unrolled: 5-line block ×6, first 2 shown]
	v_lshlrev_b64 v[12:13], 2, v[12:13]
	v_add_co_u32_e32 v12, vcc, s6, v12
	v_addc_co_u32_e32 v13, vcc, v94, v13, vcc
	global_load_dword v22, v[0:1], off
	global_load_dword v23, v[2:3], off
	;; [unrolled: 1-line block ×7, first 2 shown]
	v_add_u32_e32 v12, s42, v90
	v_ashrrev_i32_e32 v13, 31, v12
	v_lshlrev_b64 v[12:13], 2, v[12:13]
	v_add_co_u32_e32 v12, vcc, s6, v12
	v_addc_co_u32_e32 v13, vcc, v94, v13, vcc
	v_add_u32_e32 v30, s48, v90
	v_ashrrev_i32_e32 v31, 31, v30
	v_lshlrev_b64 v[30:31], 2, v[30:31]
	v_add_u32_e32 v32, s49, v90
	v_ashrrev_i32_e32 v33, 31, v32
	v_lshlrev_b64 v[32:33], 2, v[32:33]
	;; [unrolled: 3-line block ×6, first 2 shown]
	s_waitcnt vmcnt(8)
	ds_write_b32 v92, v20
	s_waitcnt vmcnt(7)
	ds_write_b32 v92, v21 offset:264
	v_add_u32_e32 v20, s43, v90
	v_ashrrev_i32_e32 v21, 31, v20
	global_load_dword v12, v[12:13], off
	v_lshlrev_b64 v[20:21], 2, v[20:21]
	v_add_co_u32_e32 v20, vcc, s6, v20
	v_addc_co_u32_e32 v21, vcc, v94, v21, vcc
	v_add_u32_e32 v42, s58, v90
	v_ashrrev_i32_e32 v43, 31, v42
	v_lshlrev_b64 v[42:43], 2, v[42:43]
	v_accvgpr_read_b32 v3, a15
	v_accvgpr_read_b32 v2, a14
	s_waitcnt vmcnt(7)
	ds_write_b32 v92, v22 offset:528
	s_waitcnt vmcnt(6)
	ds_write_b32 v92, v23 offset:792
	;; [unrolled: 2-line block ×7, first 2 shown]
	v_add_u32_e32 v22, s44, v90
	v_ashrrev_i32_e32 v23, 31, v22
	v_lshlrev_b64 v[22:23], 2, v[22:23]
	v_add_u32_e32 v24, s45, v90
	v_add_co_u32_e32 v22, vcc, s6, v22
	v_ashrrev_i32_e32 v25, 31, v24
	v_addc_co_u32_e32 v23, vcc, v94, v23, vcc
	v_lshlrev_b64 v[24:25], 2, v[24:25]
	v_add_u32_e32 v26, s46, v90
	v_add_co_u32_e32 v24, vcc, s6, v24
	v_ashrrev_i32_e32 v27, 31, v26
	v_addc_co_u32_e32 v25, vcc, v94, v25, vcc
	;; [unrolled: 5-line block ×3, first 2 shown]
	v_lshlrev_b64 v[28:29], 2, v[28:29]
	v_add_co_u32_e32 v28, vcc, s6, v28
	v_addc_co_u32_e32 v29, vcc, v94, v29, vcc
	v_add_co_u32_e32 v30, vcc, s6, v30
	v_addc_co_u32_e32 v31, vcc, v94, v31, vcc
	;; [unrolled: 2-line block ×4, first 2 shown]
	global_load_dword v20, v[20:21], off
	s_nop 0
	global_load_dword v21, v[22:23], off
	s_nop 0
	global_load_dword v22, v[24:25], off
	global_load_dword v23, v[26:27], off
	s_nop 0
	global_load_dword v24, v[28:29], off
	global_load_dword v25, v[30:31], off
	;; [unrolled: 1-line block ×3, first 2 shown]
	s_nop 0
	global_load_dword v34, v[34:35], off
	v_add_u32_e32 v26, s51, v90
	v_ashrrev_i32_e32 v27, 31, v26
	v_lshlrev_b64 v[26:27], 2, v[26:27]
	v_add_u32_e32 v28, s52, v90
	v_add_co_u32_e32 v26, vcc, s6, v26
	v_ashrrev_i32_e32 v29, 31, v28
	v_addc_co_u32_e32 v27, vcc, v94, v27, vcc
	v_lshlrev_b64 v[28:29], 2, v[28:29]
	v_add_u32_e32 v30, s53, v90
	v_add_co_u32_e32 v28, vcc, s6, v28
	v_ashrrev_i32_e32 v31, 31, v30
	v_addc_co_u32_e32 v29, vcc, v94, v29, vcc
	;; [unrolled: 5-line block ×3, first 2 shown]
	v_lshlrev_b64 v[32:33], 2, v[32:33]
	v_add_co_u32_e32 v32, vcc, s6, v32
	v_addc_co_u32_e32 v33, vcc, v94, v33, vcc
	v_add_co_u32_e32 v36, vcc, s6, v36
	v_addc_co_u32_e32 v37, vcc, v94, v37, vcc
	;; [unrolled: 2-line block ×5, first 2 shown]
	global_load_dword v35, v[26:27], off
	global_load_dword v44, v[28:29], off
	global_load_dword v45, v[30:31], off
	global_load_dword v46, v[32:33], off
	global_load_dword v47, v[36:37], off
	global_load_dword v48, v[38:39], off
	global_load_dword v49, v[40:41], off
	global_load_dword v50, v[42:43], off
	v_add_u32_e32 v26, s59, v90
	v_ashrrev_i32_e32 v27, 31, v26
	v_lshlrev_b64 v[26:27], 2, v[26:27]
	v_add_u32_e32 v28, s60, v90
	v_add_co_u32_e32 v26, vcc, s6, v26
	v_ashrrev_i32_e32 v29, 31, v28
	v_addc_co_u32_e32 v27, vcc, v94, v27, vcc
	v_lshlrev_b64 v[28:29], 2, v[28:29]
	v_add_u32_e32 v30, s61, v90
	v_add_co_u32_e32 v28, vcc, s6, v28
	v_ashrrev_i32_e32 v31, 31, v30
	v_addc_co_u32_e32 v29, vcc, v94, v29, vcc
	v_lshlrev_b64 v[30:31], 2, v[30:31]
	v_add_u32_e32 v32, s62, v90
	v_add_co_u32_e32 v30, vcc, s6, v30
	v_ashrrev_i32_e32 v33, 31, v32
	v_addc_co_u32_e32 v31, vcc, v94, v31, vcc
	v_lshlrev_b64 v[32:33], 2, v[32:33]
	v_add_u32_e32 v36, s63, v90
	v_add_co_u32_e32 v32, vcc, s6, v32
	v_ashrrev_i32_e32 v37, 31, v36
	v_addc_co_u32_e32 v33, vcc, v94, v33, vcc
	v_lshlrev_b64 v[36:37], 2, v[36:37]
	v_add_u32_e32 v38, s64, v90
	v_add_co_u32_e32 v36, vcc, s6, v36
	v_ashrrev_i32_e32 v39, 31, v38
	v_addc_co_u32_e32 v37, vcc, v94, v37, vcc
	v_lshlrev_b64 v[38:39], 2, v[38:39]
	v_add_u32_e32 v40, s65, v90
	v_add_co_u32_e32 v38, vcc, s6, v38
	v_ashrrev_i32_e32 v41, 31, v40
	v_addc_co_u32_e32 v39, vcc, v94, v39, vcc
	v_lshlrev_b64 v[40:41], 2, v[40:41]
	v_add_u32_e32 v42, s66, v90
	v_add_co_u32_e32 v40, vcc, s6, v40
	v_ashrrev_i32_e32 v43, 31, v42
	v_addc_co_u32_e32 v41, vcc, v94, v41, vcc
	v_lshlrev_b64 v[42:43], 2, v[42:43]
	v_add_co_u32_e32 v42, vcc, s6, v42
	v_addc_co_u32_e32 v43, vcc, v94, v43, vcc
	global_load_dword v51, v[26:27], off
	global_load_dword v52, v[28:29], off
	global_load_dword v53, v[30:31], off
	global_load_dword v54, v[32:33], off
	global_load_dword v55, v[36:37], off
	global_load_dword v56, v[38:39], off
	global_load_dword v57, v[40:41], off
	global_load_dword v58, v[42:43], off
	v_add_u32_e32 v26, s67, v90
	v_ashrrev_i32_e32 v27, 31, v26
	v_lshlrev_b64 v[26:27], 2, v[26:27]
	v_add_u32_e32 v28, s68, v90
	v_add_co_u32_e32 v26, vcc, s6, v26
	v_ashrrev_i32_e32 v29, 31, v28
	v_addc_co_u32_e32 v27, vcc, v94, v27, vcc
	v_lshlrev_b64 v[28:29], 2, v[28:29]
	v_add_u32_e32 v30, s69, v90
	v_add_co_u32_e32 v28, vcc, s6, v28
	v_ashrrev_i32_e32 v31, 31, v30
	v_addc_co_u32_e32 v29, vcc, v94, v29, vcc
	v_lshlrev_b64 v[30:31], 2, v[30:31]
	v_add_u32_e32 v32, s70, v90
	v_add_co_u32_e32 v30, vcc, s6, v30
	v_ashrrev_i32_e32 v33, 31, v32
	v_addc_co_u32_e32 v31, vcc, v94, v31, vcc
	v_lshlrev_b64 v[32:33], 2, v[32:33]
	v_add_u32_e32 v36, s71, v90
	v_add_co_u32_e32 v32, vcc, s6, v32
	v_ashrrev_i32_e32 v37, 31, v36
	v_addc_co_u32_e32 v33, vcc, v94, v33, vcc
	v_lshlrev_b64 v[36:37], 2, v[36:37]
	v_add_u32_e32 v38, s72, v90
	v_add_co_u32_e32 v36, vcc, s6, v36
	v_ashrrev_i32_e32 v39, 31, v38
	v_addc_co_u32_e32 v37, vcc, v94, v37, vcc
	v_lshlrev_b64 v[38:39], 2, v[38:39]
	v_add_u32_e32 v40, s73, v90
	v_add_co_u32_e32 v38, vcc, s6, v38
	v_ashrrev_i32_e32 v41, 31, v40
	v_addc_co_u32_e32 v39, vcc, v94, v39, vcc
	v_lshlrev_b64 v[40:41], 2, v[40:41]
	v_add_u32_e32 v42, s74, v90
	v_add_co_u32_e32 v40, vcc, s6, v40
	v_ashrrev_i32_e32 v43, 31, v42
	v_addc_co_u32_e32 v41, vcc, v94, v41, vcc
	v_lshlrev_b64 v[42:43], 2, v[42:43]
	v_add_co_u32_e32 v42, vcc, s6, v42
	v_addc_co_u32_e32 v43, vcc, v94, v43, vcc
	;; [unrolled: 48-line block ×4, first 2 shown]
	global_load_dword v75, v[26:27], off
	global_load_dword v76, v[28:29], off
	;; [unrolled: 1-line block ×8, first 2 shown]
	v_add_u32_e32 v26, s90, v90
	v_ashrrev_i32_e32 v27, 31, v26
	v_lshlrev_b64 v[26:27], 2, v[26:27]
	v_add_u32_e32 v28, s91, v90
	v_add_co_u32_e32 v26, vcc, s6, v26
	v_ashrrev_i32_e32 v29, 31, v28
	v_addc_co_u32_e32 v27, vcc, v94, v27, vcc
	v_lshlrev_b64 v[28:29], 2, v[28:29]
	v_add_u32_e32 v30, s92, v90
	v_add_co_u32_e32 v28, vcc, s6, v28
	v_ashrrev_i32_e32 v31, 31, v30
	v_addc_co_u32_e32 v29, vcc, v94, v29, vcc
	;; [unrolled: 5-line block ×5, first 2 shown]
	v_lshlrev_b64 v[38:39], 2, v[38:39]
	v_add_co_u32_e32 v38, vcc, s6, v38
	v_addc_co_u32_e32 v39, vcc, v94, v39, vcc
	global_load_dword v83, v[26:27], off
	global_load_dword v97, v[28:29], off
	;; [unrolled: 1-line block ×6, first 2 shown]
	s_waitcnt vmcnt(54)
	ds_write_b32 v92, v12 offset:2376
	s_waitcnt vmcnt(53)
	ds_write_b32 v92, v20 offset:2640
	s_waitcnt vmcnt(52)
	ds_write_b32 v92, v21 offset:2904
	s_waitcnt vmcnt(51)
	ds_write_b32 v92, v22 offset:3168
	s_waitcnt vmcnt(50)
	ds_write_b32 v92, v23 offset:3432
	s_waitcnt vmcnt(49)
	ds_write_b32 v92, v24 offset:3696
	s_waitcnt vmcnt(48)
	ds_write_b32 v92, v25 offset:3960
	global_load_dwordx2 v[84:85], v[18:19], off
	ds_read_b64 v[38:39], v93
	ds_read_b64 v[32:33], v93 offset:32
	ds_read_b64 v[30:31], v93 offset:64
	ds_read_b64 v[28:29], v93 offset:96
	ds_read_b64 v[26:27], v93 offset:128
	ds_read_b64 v[24:25], v93 offset:160
	ds_read_b64 v[22:23], v93 offset:192
	ds_read_b64 v[20:21], v93 offset:224
	s_waitcnt vmcnt(48)
	ds_write_b32 v92, v13
	s_waitcnt vmcnt(47)
	ds_write_b32 v92, v34 offset:264
	s_waitcnt vmcnt(46)
	ds_write_b32 v92, v35 offset:528
	s_waitcnt vmcnt(45)
	ds_write_b32 v92, v44 offset:792
	s_waitcnt vmcnt(44)
	ds_write_b32 v92, v45 offset:1056
	s_waitcnt vmcnt(43)
	ds_write_b32 v92, v46 offset:1320
	s_waitcnt vmcnt(42)
	ds_write_b32 v92, v47 offset:1584
	s_waitcnt vmcnt(41)
	ds_write_b32 v92, v48 offset:1848
	s_waitcnt vmcnt(40)
	ds_write_b32 v92, v49 offset:2112
	s_waitcnt vmcnt(39)
	ds_write_b32 v92, v50 offset:2376
	s_waitcnt vmcnt(38)
	ds_write_b32 v92, v51 offset:2640
	s_waitcnt vmcnt(37)
	ds_write_b32 v92, v52 offset:2904
	s_waitcnt vmcnt(36)
	ds_write_b32 v92, v53 offset:3168
	s_waitcnt vmcnt(35)
	ds_write_b32 v92, v54 offset:3432
	s_waitcnt vmcnt(34)
	ds_write_b32 v92, v55 offset:3696
	s_waitcnt vmcnt(33)
	ds_write_b32 v92, v56 offset:3960
	ds_read_b64 v[52:53], v93
	ds_read_b64 v[50:51], v93 offset:32
	ds_read_b64 v[46:47], v93 offset:64
	ds_read_b64 v[44:45], v93 offset:96
	ds_read_b64 v[42:43], v93 offset:128
	ds_read_b64 v[40:41], v93 offset:160
	ds_read_b64 v[36:37], v93 offset:192
	ds_read_b64 v[34:35], v93 offset:224
	s_waitcnt vmcnt(32)
	ds_write_b32 v92, v57
	s_waitcnt vmcnt(31)
	ds_write_b32 v92, v58 offset:264
	s_waitcnt vmcnt(30)
	ds_write_b32 v92, v59 offset:528
	s_waitcnt vmcnt(29)
	ds_write_b32 v92, v60 offset:792
	s_waitcnt vmcnt(28)
	ds_write_b32 v92, v61 offset:1056
	s_waitcnt vmcnt(27)
	ds_write_b32 v92, v62 offset:1320
	s_waitcnt vmcnt(26)
	ds_write_b32 v92, v63 offset:1584
	s_waitcnt vmcnt(25)
	ds_write_b32 v92, v64 offset:1848
	s_waitcnt vmcnt(24)
	ds_write_b32 v92, v65 offset:2112
	s_waitcnt vmcnt(23)
	ds_write_b32 v92, v66 offset:2376
	s_waitcnt vmcnt(22)
	ds_write_b32 v92, v67 offset:2640
	s_waitcnt vmcnt(21)
	ds_write_b32 v92, v68 offset:2904
	s_waitcnt vmcnt(20)
	ds_write_b32 v92, v69 offset:3168
	s_waitcnt vmcnt(19)
	ds_write_b32 v92, v70 offset:3432
	s_waitcnt vmcnt(18)
	ds_write_b32 v92, v71 offset:3696
	s_waitcnt vmcnt(17)
	ds_write_b32 v92, v72 offset:3960
	ds_read_b64 v[68:69], v93
	ds_read_b64 v[66:67], v93 offset:32
	ds_read_b64 v[64:65], v93 offset:64
	ds_read_b64 v[62:63], v93 offset:96
	ds_read_b64 v[60:61], v93 offset:128
	ds_read_b64 v[58:59], v93 offset:160
	ds_read_b64 v[54:55], v93 offset:192
	ds_read_b64 v[48:49], v93 offset:224
	s_waitcnt vmcnt(16)
	ds_write_b32 v92, v73
	s_waitcnt vmcnt(15)
	ds_write_b32 v92, v74 offset:264
	s_waitcnt vmcnt(14)
	ds_write_b32 v92, v75 offset:528
	s_waitcnt vmcnt(13)
	ds_write_b32 v92, v76 offset:792
	s_waitcnt vmcnt(12)
	ds_write_b32 v92, v77 offset:1056
	s_waitcnt vmcnt(11)
	ds_write_b32 v92, v78 offset:1320
	s_waitcnt vmcnt(10)
	ds_write_b32 v92, v79 offset:1584
	s_waitcnt vmcnt(9)
	ds_write_b32 v92, v80 offset:1848
	s_waitcnt vmcnt(8)
	ds_write_b32 v92, v81 offset:2112
	s_waitcnt vmcnt(7)
	ds_write_b32 v92, v82 offset:2376
	s_waitcnt vmcnt(6)
	ds_write_b32 v92, v83 offset:2640
	s_waitcnt vmcnt(5)
	ds_write_b32 v92, v97 offset:2904
	s_waitcnt vmcnt(4)
	ds_write_b32 v92, v98 offset:3168
	s_waitcnt vmcnt(3)
	ds_write_b32 v92, v99 offset:3432
	s_waitcnt vmcnt(2)
	ds_write_b32 v92, v100 offset:3696
	s_waitcnt vmcnt(1)
	ds_write_b32 v92, v101 offset:3960
	ds_read_b64 v[82:83], v93
	ds_read_b64 v[80:81], v93 offset:32
	ds_read_b64 v[78:79], v93 offset:64
	;; [unrolled: 1-line block ×7, first 2 shown]
	s_waitcnt vmcnt(0)
	v_and_b32_e32 v97, 0x7f800000, v84
	v_accvgpr_read_b32 v1, a13
	v_accvgpr_read_b32 v0, a12
	;; [unrolled: 1-line block ×14, first 2 shown]
	v_cmp_ne_u32_e32 vcc, s95, v97
                                        ; implicit-def: $vgpr97
	s_and_saveexec_b64 s[16:17], vcc
	s_xor_b64 s[16:17], exec, s[16:17]
; %bb.6:                                ;   in Loop: Header=BB125_5 Depth=1
	v_bfe_u32 v97, v84, 16, 1
	v_add3_u32 v97, v84, v97, s10
; %bb.7:                                ;   in Loop: Header=BB125_5 Depth=1
	s_andn2_saveexec_b64 s[16:17], s[16:17]
; %bb.8:                                ;   in Loop: Header=BB125_5 Depth=1
	v_or_b32_e32 v97, 0x10000, v84
	v_cmp_eq_u32_sdwa vcc, v84, v95 src0_sel:WORD_0 src1_sel:DWORD
	v_cndmask_b32_e32 v97, v97, v84, vcc
; %bb.9:                                ;   in Loop: Header=BB125_5 Depth=1
	s_or_b64 exec, exec, s[16:17]
	v_and_b32_e32 v84, 0x7f800000, v85
	v_cmp_ne_u32_e32 vcc, s95, v84
                                        ; implicit-def: $vgpr98
	s_and_saveexec_b64 s[16:17], vcc
	s_xor_b64 s[16:17], exec, s[16:17]
; %bb.10:                               ;   in Loop: Header=BB125_5 Depth=1
	v_bfe_u32 v84, v85, 16, 1
	v_add3_u32 v98, v85, v84, s10
                                        ; implicit-def: $vgpr84_vgpr85
; %bb.11:                               ;   in Loop: Header=BB125_5 Depth=1
	s_andn2_saveexec_b64 s[16:17], s[16:17]
; %bb.12:                               ;   in Loop: Header=BB125_5 Depth=1
	v_or_b32_e32 v84, 0x10000, v85
	v_cmp_eq_u32_sdwa vcc, v85, v95 src0_sel:WORD_0 src1_sel:DWORD
	v_cndmask_b32_e32 v98, v84, v85, vcc
; %bb.13:                               ;   in Loop: Header=BB125_5 Depth=1
	s_or_b64 exec, exec, s[16:17]
	v_mov_b32_e32 v85, s13
	v_add_co_u32_e32 v84, vcc, s12, v18
	v_addc_co_u32_e32 v85, vcc, v19, v85, vcc
	global_load_dwordx2 v[84:85], v[84:85], off
	v_perm_b32 v97, v98, v97, s11
	ds_write_b32 v92, v97
	s_waitcnt vmcnt(0)
	v_and_b32_e32 v97, 0x7f800000, v84
	v_cmp_ne_u32_e32 vcc, s95, v97
                                        ; implicit-def: $vgpr97
	s_and_saveexec_b64 s[16:17], vcc
	s_xor_b64 s[16:17], exec, s[16:17]
; %bb.14:                               ;   in Loop: Header=BB125_5 Depth=1
	v_bfe_u32 v97, v84, 16, 1
	v_add3_u32 v97, v84, v97, s10
; %bb.15:                               ;   in Loop: Header=BB125_5 Depth=1
	s_andn2_saveexec_b64 s[16:17], s[16:17]
; %bb.16:                               ;   in Loop: Header=BB125_5 Depth=1
	v_or_b32_e32 v97, 0x10000, v84
	v_cmp_eq_u32_sdwa vcc, v84, v95 src0_sel:WORD_0 src1_sel:DWORD
	v_cndmask_b32_e32 v97, v97, v84, vcc
; %bb.17:                               ;   in Loop: Header=BB125_5 Depth=1
	s_or_b64 exec, exec, s[16:17]
	v_and_b32_e32 v84, 0x7f800000, v85
	v_cmp_ne_u32_e32 vcc, s95, v84
                                        ; implicit-def: $vgpr98
	s_and_saveexec_b64 s[16:17], vcc
	s_xor_b64 s[16:17], exec, s[16:17]
; %bb.18:                               ;   in Loop: Header=BB125_5 Depth=1
	v_bfe_u32 v84, v85, 16, 1
	v_add3_u32 v98, v85, v84, s10
                                        ; implicit-def: $vgpr84_vgpr85
; %bb.19:                               ;   in Loop: Header=BB125_5 Depth=1
	s_andn2_saveexec_b64 s[16:17], s[16:17]
; %bb.20:                               ;   in Loop: Header=BB125_5 Depth=1
	v_or_b32_e32 v84, 0x10000, v85
	v_cmp_eq_u32_sdwa vcc, v85, v95 src0_sel:WORD_0 src1_sel:DWORD
	v_cndmask_b32_e32 v98, v84, v85, vcc
; %bb.21:                               ;   in Loop: Header=BB125_5 Depth=1
	s_or_b64 exec, exec, s[16:17]
	v_add_u32_e32 v84, s21, v90
	v_ashrrev_i32_e32 v85, 31, v84
	v_lshlrev_b64 v[84:85], 3, v[84:85]
	v_mov_b32_e32 v99, s18
	v_add_co_u32_e32 v84, vcc, s14, v84
	v_addc_co_u32_e32 v85, vcc, v99, v85, vcc
	global_load_dwordx2 v[84:85], v[84:85], off
	v_perm_b32 v97, v98, v97, s11
	ds_write_b32 v92, v97 offset:264
	s_waitcnt vmcnt(0)
	v_and_b32_e32 v97, 0x7f800000, v84
	v_cmp_ne_u32_e32 vcc, s95, v97
                                        ; implicit-def: $vgpr97
	s_and_saveexec_b64 s[16:17], vcc
	s_xor_b64 s[16:17], exec, s[16:17]
; %bb.22:                               ;   in Loop: Header=BB125_5 Depth=1
	v_bfe_u32 v97, v84, 16, 1
	v_add3_u32 v97, v84, v97, s10
; %bb.23:                               ;   in Loop: Header=BB125_5 Depth=1
	s_andn2_saveexec_b64 s[16:17], s[16:17]
; %bb.24:                               ;   in Loop: Header=BB125_5 Depth=1
	v_or_b32_e32 v97, 0x10000, v84
	v_cmp_eq_u32_sdwa vcc, v84, v95 src0_sel:WORD_0 src1_sel:DWORD
	v_cndmask_b32_e32 v97, v97, v84, vcc
; %bb.25:                               ;   in Loop: Header=BB125_5 Depth=1
	s_or_b64 exec, exec, s[16:17]
	v_and_b32_e32 v84, 0x7f800000, v85
	v_cmp_ne_u32_e32 vcc, s95, v84
                                        ; implicit-def: $vgpr98
	s_and_saveexec_b64 s[16:17], vcc
	s_xor_b64 s[16:17], exec, s[16:17]
; %bb.26:                               ;   in Loop: Header=BB125_5 Depth=1
	v_bfe_u32 v84, v85, 16, 1
	v_add3_u32 v98, v85, v84, s10
                                        ; implicit-def: $vgpr84_vgpr85
; %bb.27:                               ;   in Loop: Header=BB125_5 Depth=1
	s_andn2_saveexec_b64 s[16:17], s[16:17]
; %bb.28:                               ;   in Loop: Header=BB125_5 Depth=1
	v_or_b32_e32 v84, 0x10000, v85
	v_cmp_eq_u32_sdwa vcc, v85, v95 src0_sel:WORD_0 src1_sel:DWORD
	v_cndmask_b32_e32 v98, v84, v85, vcc
; %bb.29:                               ;   in Loop: Header=BB125_5 Depth=1
	s_or_b64 exec, exec, s[16:17]
	v_add_u32_e32 v84, s22, v90
	v_ashrrev_i32_e32 v85, 31, v84
	v_lshlrev_b64 v[84:85], 3, v[84:85]
	v_mov_b32_e32 v99, s18
	v_add_co_u32_e32 v84, vcc, s14, v84
	v_addc_co_u32_e32 v85, vcc, v99, v85, vcc
	global_load_dwordx2 v[84:85], v[84:85], off
	v_perm_b32 v97, v98, v97, s11
	ds_write_b32 v92, v97 offset:528
	;; [unrolled: 43-line block ×10, first 2 shown]
	s_waitcnt vmcnt(0)
	v_and_b32_e32 v97, 0x7f800000, v84
	v_cmp_ne_u32_e32 vcc, s95, v97
                                        ; implicit-def: $vgpr97
	s_and_saveexec_b64 s[16:17], vcc
	s_xor_b64 s[16:17], exec, s[16:17]
; %bb.94:                               ;   in Loop: Header=BB125_5 Depth=1
	v_bfe_u32 v97, v84, 16, 1
	v_add3_u32 v97, v84, v97, s10
; %bb.95:                               ;   in Loop: Header=BB125_5 Depth=1
	s_andn2_saveexec_b64 s[16:17], s[16:17]
; %bb.96:                               ;   in Loop: Header=BB125_5 Depth=1
	v_or_b32_e32 v97, 0x10000, v84
	v_cmp_eq_u32_sdwa vcc, v84, v95 src0_sel:WORD_0 src1_sel:DWORD
	v_cndmask_b32_e32 v97, v97, v84, vcc
; %bb.97:                               ;   in Loop: Header=BB125_5 Depth=1
	s_or_b64 exec, exec, s[16:17]
	v_and_b32_e32 v84, 0x7f800000, v85
	v_cmp_ne_u32_e32 vcc, s95, v84
                                        ; implicit-def: $vgpr98
	s_and_saveexec_b64 s[16:17], vcc
	s_xor_b64 s[16:17], exec, s[16:17]
; %bb.98:                               ;   in Loop: Header=BB125_5 Depth=1
	v_bfe_u32 v84, v85, 16, 1
	v_add3_u32 v98, v85, v84, s10
                                        ; implicit-def: $vgpr84_vgpr85
; %bb.99:                               ;   in Loop: Header=BB125_5 Depth=1
	s_andn2_saveexec_b64 s[16:17], s[16:17]
; %bb.100:                              ;   in Loop: Header=BB125_5 Depth=1
	v_or_b32_e32 v84, 0x10000, v85
	v_cmp_eq_u32_sdwa vcc, v85, v95 src0_sel:WORD_0 src1_sel:DWORD
	v_cndmask_b32_e32 v98, v84, v85, vcc
; %bb.101:                              ;   in Loop: Header=BB125_5 Depth=1
	s_or_b64 exec, exec, s[16:17]
	v_add_u32_e32 v84, s34, v90
	v_ashrrev_i32_e32 v85, 31, v84
	v_lshlrev_b64 v[84:85], 3, v[84:85]
	v_mov_b32_e32 v99, s18
	v_add_co_u32_e32 v84, vcc, s14, v84
	v_addc_co_u32_e32 v85, vcc, v99, v85, vcc
	global_load_dwordx2 v[84:85], v[84:85], off
	v_perm_b32 v97, v98, v97, s11
	ds_write_b32 v92, v97 offset:2904
	s_waitcnt vmcnt(0)
	v_and_b32_e32 v97, 0x7f800000, v84
	v_cmp_ne_u32_e32 vcc, s95, v97
                                        ; implicit-def: $vgpr97
	s_and_saveexec_b64 s[16:17], vcc
	s_xor_b64 s[16:17], exec, s[16:17]
; %bb.102:                              ;   in Loop: Header=BB125_5 Depth=1
	v_bfe_u32 v97, v84, 16, 1
	v_add3_u32 v97, v84, v97, s10
; %bb.103:                              ;   in Loop: Header=BB125_5 Depth=1
	s_andn2_saveexec_b64 s[16:17], s[16:17]
; %bb.104:                              ;   in Loop: Header=BB125_5 Depth=1
	v_or_b32_e32 v97, 0x10000, v84
	v_cmp_eq_u32_sdwa vcc, v84, v95 src0_sel:WORD_0 src1_sel:DWORD
	v_cndmask_b32_e32 v97, v97, v84, vcc
; %bb.105:                              ;   in Loop: Header=BB125_5 Depth=1
	s_or_b64 exec, exec, s[16:17]
	v_and_b32_e32 v84, 0x7f800000, v85
	v_cmp_ne_u32_e32 vcc, s95, v84
                                        ; implicit-def: $vgpr98
	s_and_saveexec_b64 s[16:17], vcc
	s_xor_b64 s[16:17], exec, s[16:17]
; %bb.106:                              ;   in Loop: Header=BB125_5 Depth=1
	v_bfe_u32 v84, v85, 16, 1
	v_add3_u32 v98, v85, v84, s10
                                        ; implicit-def: $vgpr84_vgpr85
; %bb.107:                              ;   in Loop: Header=BB125_5 Depth=1
	s_andn2_saveexec_b64 s[16:17], s[16:17]
	s_cbranch_execz .LBB125_4
; %bb.108:                              ;   in Loop: Header=BB125_5 Depth=1
	v_or_b32_e32 v84, 0x10000, v85
	v_cmp_eq_u32_sdwa vcc, v85, v95 src0_sel:WORD_0 src1_sel:DWORD
	v_cndmask_b32_e32 v98, v84, v85, vcc
	s_branch .LBB125_4
.LBB125_109:
	s_or_b64 exec, exec, s[0:1]
	v_readlane_b32 s10, v102, 0
	v_readlane_b32 s11, v102, 1
.LBB125_110:
	s_or_b64 exec, exec, s[24:25]
	v_lshlrev_b32_e32 v0, 2, v88
	v_or_b32_e32 v2, 12, v87
	v_add3_u32 v0, 0, v91, v0
	v_and_b32_e32 v1, 0x3f0, v87
	v_and_b32_e32 v2, 0x3fc, v2
	s_mul_hi_i32 s1, s19, s8
	s_mul_i32 s0, s19, s8
	v_add_u32_e32 v1, v0, v1
	v_add_u32_e32 v0, v0, v2
	s_lshl_b64 s[0:1], s[0:1], 2
	ds_write2_b32 v1, a12, a13 offset1:1
	ds_write_b32 v1, a14 offset:8
	ds_write_b32 v0, a15
	ds_write2_b32 v1, a8, a9 offset0:16 offset1:17
	ds_write_b32 v1, a10 offset:72
	ds_write_b32 v0, a11 offset:64
	ds_write2_b32 v1, a4, a5 offset0:32 offset1:33
	ds_write_b32 v1, a6 offset:136
	ds_write_b32 v0, a7 offset:128
	;; [unrolled: 3-line block ×3, first 2 shown]
	v_mul_u32_u24_e32 v0, 0x108, v86
	s_waitcnt lgkmcnt(0)
	s_add_u32 s4, s10, s0
	s_mul_i32 s0, s7, s15
	v_add3_u32 v6, 0, v89, v0
	s_addc_u32 s5, s11, s1
	ds_read2_b32 v[0:1], v6 offset1:66
	s_ashr_i32 s1, s0, 31
	s_lshl_b64 s[0:1], s[0:1], 2
	v_mul_lo_u32 v2, v86, s2
	s_add_u32 s0, s4, s0
	v_add3_u32 v2, s3, v87, v2
	v_mov_b32_e32 v3, 0
	s_addc_u32 s1, s5, s1
	v_lshlrev_b64 v[4:5], 2, v[2:3]
	v_mov_b32_e32 v7, s1
	v_add_co_u32_e32 v4, vcc, s0, v4
	s_waitcnt lgkmcnt(0)
	v_add_f32_e32 v0, 0, v0
	v_addc_co_u32_e32 v5, vcc, v7, v5, vcc
	v_add_u32_e32 v2, s2, v2
	global_store_dword v[4:5], v0, off
	v_add_f32_e32 v7, 0, v1
	v_lshlrev_b64 v[0:1], 2, v[2:3]
	ds_read2_b32 v[4:5], v6 offset0:132 offset1:198
	v_mov_b32_e32 v8, s1
	v_add_co_u32_e32 v0, vcc, s0, v0
	v_addc_co_u32_e32 v1, vcc, v8, v1, vcc
	v_add_u32_e32 v2, s2, v2
	global_store_dword v[0:1], v7, off
	v_lshlrev_b64 v[0:1], 2, v[2:3]
	v_mov_b32_e32 v7, s1
	v_add_co_u32_e32 v0, vcc, s0, v0
	s_waitcnt lgkmcnt(0)
	v_add_f32_e32 v4, 0, v4
	v_addc_co_u32_e32 v1, vcc, v7, v1, vcc
	v_add_u32_e32 v2, s2, v2
	v_add_u32_e32 v9, 0x400, v6
	global_store_dword v[0:1], v4, off
	v_add_f32_e32 v7, 0, v5
	v_lshlrev_b64 v[0:1], 2, v[2:3]
	ds_read2_b32 v[4:5], v9 offset0:8 offset1:74
	v_add_co_u32_e32 v0, vcc, s0, v0
	v_addc_co_u32_e32 v1, vcc, v8, v1, vcc
	v_add_u32_e32 v2, s2, v2
	global_store_dword v[0:1], v7, off
	v_lshlrev_b64 v[0:1], 2, v[2:3]
	v_mov_b32_e32 v7, s1
	v_add_co_u32_e32 v0, vcc, s0, v0
	s_waitcnt lgkmcnt(0)
	v_add_f32_e32 v4, 0, v4
	v_addc_co_u32_e32 v1, vcc, v7, v1, vcc
	v_add_u32_e32 v2, s2, v2
	global_store_dword v[0:1], v4, off
	v_add_f32_e32 v7, 0, v5
	v_lshlrev_b64 v[0:1], 2, v[2:3]
	ds_read2_b32 v[4:5], v9 offset0:140 offset1:206
	v_add_co_u32_e32 v0, vcc, s0, v0
	v_addc_co_u32_e32 v1, vcc, v8, v1, vcc
	v_add_u32_e32 v2, s2, v2
	global_store_dword v[0:1], v7, off
	v_lshlrev_b64 v[0:1], 2, v[2:3]
	v_mov_b32_e32 v7, s1
	v_add_co_u32_e32 v0, vcc, s0, v0
	s_waitcnt lgkmcnt(0)
	v_add_f32_e32 v4, 0, v4
	v_addc_co_u32_e32 v1, vcc, v7, v1, vcc
	v_add_u32_e32 v2, s2, v2
	v_add_u32_e32 v9, 0x800, v6
	global_store_dword v[0:1], v4, off
	v_add_f32_e32 v7, 0, v5
	v_lshlrev_b64 v[0:1], 2, v[2:3]
	ds_read2_b32 v[4:5], v9 offset0:16 offset1:82
	v_add_co_u32_e32 v0, vcc, s0, v0
	v_addc_co_u32_e32 v1, vcc, v8, v1, vcc
	v_add_u32_e32 v2, s2, v2
	global_store_dword v[0:1], v7, off
	v_lshlrev_b64 v[0:1], 2, v[2:3]
	v_mov_b32_e32 v7, s1
	v_add_co_u32_e32 v0, vcc, s0, v0
	s_waitcnt lgkmcnt(0)
	v_add_f32_e32 v4, 0, v4
	v_addc_co_u32_e32 v1, vcc, v7, v1, vcc
	v_add_u32_e32 v2, s2, v2
	global_store_dword v[0:1], v4, off
	v_add_f32_e32 v7, 0, v5
	v_lshlrev_b64 v[0:1], 2, v[2:3]
	ds_read2_b32 v[4:5], v9 offset0:148 offset1:214
	v_add_co_u32_e32 v0, vcc, s0, v0
	v_addc_co_u32_e32 v1, vcc, v8, v1, vcc
	v_add_u32_e32 v2, s2, v2
	global_store_dword v[0:1], v7, off
	v_lshlrev_b64 v[0:1], 2, v[2:3]
	v_mov_b32_e32 v7, s1
	v_add_co_u32_e32 v0, vcc, s0, v0
	s_waitcnt lgkmcnt(0)
	v_add_f32_e32 v4, 0, v4
	v_addc_co_u32_e32 v1, vcc, v7, v1, vcc
	v_add_u32_e32 v2, s2, v2
	global_store_dword v[0:1], v4, off
	v_lshlrev_b64 v[0:1], 2, v[2:3]
	ds_read_b32 v6, v6 offset:3168
	v_add_f32_e32 v4, 0, v5
	v_mov_b32_e32 v5, s1
	v_add_co_u32_e32 v0, vcc, s0, v0
	v_addc_co_u32_e32 v1, vcc, v5, v1, vcc
	v_add_u32_e32 v2, s2, v2
	global_store_dword v[0:1], v4, off
	v_lshlrev_b64 v[0:1], 2, v[2:3]
	v_mov_b32_e32 v2, s1
	v_add_co_u32_e32 v0, vcc, s0, v0
	s_waitcnt lgkmcnt(0)
	v_add_f32_e32 v4, 0, v6
	v_addc_co_u32_e32 v1, vcc, v2, v1, vcc
	global_store_dword v[0:1], v4, off
	s_endpgm
	.section	.rodata,"a",@progbits
	.p2align	6, 0x0
	.amdhsa_kernel _ZL9mul_mat_fI15__hip_bfloat162Li64ELi13ELi1ELb0EEvPKT_PKfPKiPfiiiiiiiiiiiiiiii
		.amdhsa_group_segment_fixed_size 0
		.amdhsa_private_segment_fixed_size 0
		.amdhsa_kernarg_size 96
		.amdhsa_user_sgpr_count 6
		.amdhsa_user_sgpr_private_segment_buffer 1
		.amdhsa_user_sgpr_dispatch_ptr 0
		.amdhsa_user_sgpr_queue_ptr 0
		.amdhsa_user_sgpr_kernarg_segment_ptr 1
		.amdhsa_user_sgpr_dispatch_id 0
		.amdhsa_user_sgpr_flat_scratch_init 0
		.amdhsa_user_sgpr_kernarg_preload_length 0
		.amdhsa_user_sgpr_kernarg_preload_offset 0
		.amdhsa_user_sgpr_private_segment_size 0
		.amdhsa_uses_dynamic_stack 0
		.amdhsa_system_sgpr_private_segment_wavefront_offset 0
		.amdhsa_system_sgpr_workgroup_id_x 1
		.amdhsa_system_sgpr_workgroup_id_y 1
		.amdhsa_system_sgpr_workgroup_id_z 1
		.amdhsa_system_sgpr_workgroup_info 0
		.amdhsa_system_vgpr_workitem_id 1
		.amdhsa_next_free_vgpr 128
		.amdhsa_next_free_sgpr 96
		.amdhsa_accum_offset 104
		.amdhsa_reserve_vcc 1
		.amdhsa_reserve_flat_scratch 0
		.amdhsa_float_round_mode_32 0
		.amdhsa_float_round_mode_16_64 0
		.amdhsa_float_denorm_mode_32 3
		.amdhsa_float_denorm_mode_16_64 3
		.amdhsa_dx10_clamp 1
		.amdhsa_ieee_mode 1
		.amdhsa_fp16_overflow 0
		.amdhsa_tg_split 0
		.amdhsa_exception_fp_ieee_invalid_op 0
		.amdhsa_exception_fp_denorm_src 0
		.amdhsa_exception_fp_ieee_div_zero 0
		.amdhsa_exception_fp_ieee_overflow 0
		.amdhsa_exception_fp_ieee_underflow 0
		.amdhsa_exception_fp_ieee_inexact 0
		.amdhsa_exception_int_div_zero 0
	.end_amdhsa_kernel
	.section	.text._ZL9mul_mat_fI15__hip_bfloat162Li64ELi13ELi1ELb0EEvPKT_PKfPKiPfiiiiiiiiiiiiiiii,"axG",@progbits,_ZL9mul_mat_fI15__hip_bfloat162Li64ELi13ELi1ELb0EEvPKT_PKfPKiPfiiiiiiiiiiiiiiii,comdat
.Lfunc_end125:
	.size	_ZL9mul_mat_fI15__hip_bfloat162Li64ELi13ELi1ELb0EEvPKT_PKfPKiPfiiiiiiiiiiiiiiii, .Lfunc_end125-_ZL9mul_mat_fI15__hip_bfloat162Li64ELi13ELi1ELb0EEvPKT_PKfPKiPfiiiiiiiiiiiiiiii
                                        ; -- End function
	.section	.AMDGPU.csdata,"",@progbits
; Kernel info:
; codeLenInByte = 8020
; NumSgprs: 100
; NumVgprs: 103
; NumAgprs: 24
; TotalNumVgprs: 128
; ScratchSize: 0
; MemoryBound: 0
; FloatMode: 240
; IeeeMode: 1
; LDSByteSize: 0 bytes/workgroup (compile time only)
; SGPRBlocks: 12
; VGPRBlocks: 15
; NumSGPRsForWavesPerEU: 100
; NumVGPRsForWavesPerEU: 128
; AccumOffset: 104
; Occupancy: 4
; WaveLimiterHint : 0
; COMPUTE_PGM_RSRC2:SCRATCH_EN: 0
; COMPUTE_PGM_RSRC2:USER_SGPR: 6
; COMPUTE_PGM_RSRC2:TRAP_HANDLER: 0
; COMPUTE_PGM_RSRC2:TGID_X_EN: 1
; COMPUTE_PGM_RSRC2:TGID_Y_EN: 1
; COMPUTE_PGM_RSRC2:TGID_Z_EN: 1
; COMPUTE_PGM_RSRC2:TIDIG_COMP_CNT: 1
; COMPUTE_PGM_RSRC3_GFX90A:ACCUM_OFFSET: 25
; COMPUTE_PGM_RSRC3_GFX90A:TG_SPLIT: 0
	.section	.text._ZL13mul_mat_f_idsI15__hip_bfloat162Li64ELi13ELi2EEvPKT_PKfPKiS7_S7_Pfiiiiiiiiiiiiii15HIP_vector_typeIjLj3EESA_,"axG",@progbits,_ZL13mul_mat_f_idsI15__hip_bfloat162Li64ELi13ELi2EEvPKT_PKfPKiS7_S7_Pfiiiiiiiiiiiiii15HIP_vector_typeIjLj3EESA_,comdat
	.globl	_ZL13mul_mat_f_idsI15__hip_bfloat162Li64ELi13ELi2EEvPKT_PKfPKiS7_S7_Pfiiiiiiiiiiiiii15HIP_vector_typeIjLj3EESA_ ; -- Begin function _ZL13mul_mat_f_idsI15__hip_bfloat162Li64ELi13ELi2EEvPKT_PKfPKiS7_S7_Pfiiiiiiiiiiiiii15HIP_vector_typeIjLj3EESA_
	.p2align	8
	.type	_ZL13mul_mat_f_idsI15__hip_bfloat162Li64ELi13ELi2EEvPKT_PKfPKiS7_S7_Pfiiiiiiiiiiiiii15HIP_vector_typeIjLj3EESA_,@function
_ZL13mul_mat_f_idsI15__hip_bfloat162Li64ELi13ELi2EEvPKT_PKfPKiS7_S7_Pfiiiiiiiiiiiiii15HIP_vector_typeIjLj3EESA_: ; @_ZL13mul_mat_f_idsI15__hip_bfloat162Li64ELi13ELi2EEvPKT_PKfPKiS7_S7_Pfiiiiiiiiiiiiii15HIP_vector_typeIjLj3EESA_
; %bb.0:
	s_load_dwordx2 s[0:1], s[4:5], 0x20
	s_mov_b32 s34, s7
	s_ashr_i32 s35, s7, 31
	s_lshl_b64 s[2:3], s[34:35], 2
	s_waitcnt lgkmcnt(0)
	s_add_u32 s0, s0, s2
	s_addc_u32 s1, s1, s3
	s_load_dwordx2 s[26:27], s[0:1], 0x0
	s_waitcnt lgkmcnt(0)
	s_sub_i32 s33, s27, s26
	s_add_i32 s0, s33, 12
	s_mul_hi_i32 s0, s0, 0x4ec4ec4f
	s_lshr_b32 s1, s0, 31
	s_ashr_i32 s0, s0, 2
	s_add_i32 s0, s0, s1
	s_cmp_ge_i32 s8, s0
	s_cbranch_scc1 .LBB126_172
; %bb.1:
	v_bfe_u32 v108, v0, 10, 10
	v_lshlrev_b32_e32 v110, 6, v108
	v_and_b32_e32 v109, 0x3ff, v0
	s_load_dwordx4 s[12:15], s[4:5], 0x30
	s_load_dwordx2 s[20:21], s[4:5], 0x40
	s_load_dwordx4 s[0:3], s[4:5], 0x4c
	s_load_dwordx4 s[16:19], s[4:5], 0x68
	s_load_dwordx2 s[24:25], s[4:5], 0x78
	v_add_u32_e32 v112, v110, v109
	s_ashr_i32 s27, s26, 31
	s_waitcnt lgkmcnt(0)
	v_cmp_le_i32_e32 vcc, s12, v112
	v_and_b32_e32 v111, 15, v109
                                        ; implicit-def: $sgpr3
	s_and_saveexec_b64 s[10:11], vcc
	s_xor_b64 s[10:11], exec, s[10:11]
; %bb.2:
	v_and_b32_e32 v111, 15, v109
	s_mov_b32 s3, 0
                                        ; implicit-def: $vgpr112
; %bb.3:
	s_or_saveexec_b64 s[22:23], s[10:11]
	s_load_dwordx2 s[10:11], s[4:5], 0x18
                                        ; implicit-def: $vgpr119 : SGPR spill to VGPR lane
	s_lshl_b32 s7, s6, 6
	s_mul_i32 s6, s8, 13
	v_accvgpr_write_b32 a0, s3
	v_accvgpr_write_b32 a1, s3
	s_waitcnt lgkmcnt(0)
	v_writelane_b32 v119, s10, 0
	v_writelane_b32 v119, s11, 1
	s_load_dwordx2 s[10:11], s[4:5], 0x28
	v_accvgpr_write_b32 a2, s3
	v_accvgpr_write_b32 a3, s3
	;; [unrolled: 1-line block ×4, first 2 shown]
	s_waitcnt lgkmcnt(0)
	v_writelane_b32 v119, s10, 2
	v_writelane_b32 v119, s11, 3
	v_accvgpr_write_b32 a6, s3
	v_accvgpr_write_b32 a7, s3
	;; [unrolled: 1-line block ×10, first 2 shown]
	v_writelane_b32 v119, s22, 4
	v_writelane_b32 v119, s23, 5
	s_xor_b64 exec, exec, s[22:23]
	s_cbranch_execz .LBB126_150
; %bb.4:
	v_writelane_b32 v119, s24, 6
	v_writelane_b32 v119, s25, 7
	s_load_dwordx4 s[8:11], s[4:5], 0x0
	s_load_dwordx2 s[22:23], s[4:5], 0x10
	s_mul_i32 s4, s34, s0
	s_mul_i32 s24, s7, s15
	s_ashr_i32 s5, s4, 31
	s_ashr_i32 s25, s24, 31
	s_lshl_b64 s[24:25], s[24:25], 2
	s_lshl_b64 s[4:5], s[4:5], 2
	s_add_u32 s3, s4, s24
	s_addc_u32 s24, s5, s25
	v_writelane_b32 v119, s7, 8
	s_waitcnt lgkmcnt(0)
	s_add_u32 s0, s3, s8
	s_addc_u32 s25, s24, s9
	v_writelane_b32 v119, s26, 9
	s_lshl_b64 s[4:5], s[26:27], 2
	v_writelane_b32 v119, s27, 10
	s_add_u32 s26, s22, s4
	s_addc_u32 s27, s23, s5
	s_movk_i32 s4, 0x1080
	s_cmp_lt_i32 s6, s33
	v_mad_u32_u24 v0, v108, s4, 0
	s_cselect_b64 s[4:5], -1, 0
	s_ashr_i32 s7, s6, 31
	s_lshl_b64 s[22:23], s[6:7], 2
	s_add_u32 s34, s26, s22
	s_addc_u32 s35, s27, s23
	s_add_i32 s7, s6, 1
	s_cmp_lt_i32 s7, s33
	s_cselect_b64 s[36:37], -1, 0
	s_add_i32 s7, s6, 2
	s_cmp_lt_i32 s7, s33
	v_lshrrev_b32_e32 v3, 1, v109
	s_cselect_b64 s[38:39], -1, 0
	s_add_i32 s7, s6, 3
	v_lshlrev_b32_e32 v1, 2, v109
	v_mul_u32_u24_e32 v2, 0x108, v111
	v_and_b32_e32 v3, 0x1f8, v3
	s_cmp_lt_i32 s7, s33
	v_add_u32_e32 v113, v0, v1
	v_add3_u32 v114, v0, v2, v3
	s_cselect_b64 s[40:41], -1, 0
	s_add_i32 s7, s6, 4
	v_lshlrev_b32_e32 v0, 8, v108
	s_cmp_lt_i32 s7, s33
	v_add_co_u32_e32 v0, vcc, s3, v0
	s_mul_i32 s3, s15, 3
	s_cselect_b64 s[42:43], -1, 0
	s_add_i32 s7, s6, 5
	v_writelane_b32 v119, s3, 11
	s_mul_i32 s3, s15, 5
	s_cmp_lt_i32 s7, s33
	v_writelane_b32 v119, s3, 12
	s_mul_i32 s3, s15, 6
	s_cselect_b64 s[44:45], -1, 0
	s_add_i32 s7, s6, 6
	v_writelane_b32 v119, s3, 13
	s_mul_i32 s3, s15, 7
	s_cmp_lt_i32 s7, s33
	v_writelane_b32 v119, s3, 14
	;; [unrolled: 7-line block ×6, first 2 shown]
	s_mul_i32 s3, s15, 18
	s_cselect_b64 s[54:55], -1, 0
	s_add_i32 s7, s6, 11
	v_writelane_b32 v119, s3, 23
	s_mul_i32 s3, s15, 19
	s_cmp_lt_i32 s7, s33
	v_mov_b32_e32 v2, s24
	v_writelane_b32 v119, s3, 24
	s_mul_i32 s3, s15, 20
	s_cselect_b64 s[56:57], -1, 0
	s_add_i32 s7, s6, 12
	v_addc_co_u32_e32 v2, vcc, 0, v2, vcc
	v_writelane_b32 v119, s3, 25
	s_mul_i32 s3, s15, 21
	s_cmp_lt_i32 s7, s33
	v_add_co_u32_e32 v0, vcc, v0, v1
	v_writelane_b32 v119, s3, 26
	s_mul_i32 s3, s15, 22
	s_cselect_b64 s[58:59], -1, 0
	s_ashr_i32 s23, s15, 31
	s_mov_b32 s22, s15
	v_addc_co_u32_e32 v1, vcc, 0, v2, vcc
	v_writelane_b32 v119, s3, 27
	s_mul_i32 s3, s15, 23
	s_lshl_b64 s[60:61], s[22:23], 2
	v_mov_b32_e32 v2, s9
	v_add_co_u32_e32 v16, vcc, s8, v0
	v_writelane_b32 v119, s3, 28
	s_mul_i32 s3, s15, 24
	v_addc_co_u32_e32 v17, vcc, v2, v1, vcc
	s_lshl_b32 s7, s15, 1
	s_lshl_b32 s65, s15, 2
	;; [unrolled: 1-line block ×4, first 2 shown]
	v_writelane_b32 v119, s3, 29
	s_mul_i32 s86, s15, 25
	s_mul_i32 s87, s15, 26
	;; [unrolled: 1-line block ×5, first 2 shown]
	v_mov_b32_e32 v115, s25
	s_mul_i32 s91, s15, 30
	v_mov_b32_e32 v116, 0
	v_accvgpr_write_b32 a15, 0
	v_accvgpr_write_b32 a14, 0
	;; [unrolled: 1-line block ×16, first 2 shown]
	v_mov_b32_e32 v117, s61
	s_mul_i32 s61, s15, 31
	s_lshl_b32 s92, s15, 5
	s_mul_i32 s93, s15, 33
	s_mul_i32 s94, s15, 34
	s_mul_i32 s95, s15, 35
	s_mul_i32 s28, s15, 36
	s_mul_i32 s29, s15, 37
	s_mul_i32 s24, s15, 38
	s_mul_i32 s25, s15, 39
	s_mul_i32 s3, s15, 40
	s_mul_i32 s22, s15, 41
	s_mul_i32 s23, s15, 42
	s_mul_i32 s30, s15, 43
	s_mul_i32 s31, s15, 44
	s_mul_i32 s26, s15, 45
	s_mul_i32 s27, s15, 46
	s_mul_i32 s64, s15, 47
	s_mul_i32 s66, s15, 48
	s_mul_i32 s67, s15, 49
	s_mul_i32 s68, s15, 50
	s_mul_i32 s70, s15, 51
	s_mul_i32 s71, s15, 52
	s_mul_i32 s72, s15, 53
	s_mul_i32 s73, s15, 54
	s_mul_i32 s74, s15, 55
	s_mul_i32 s75, s15, 56
	s_mul_i32 s76, s15, 57
	s_mul_i32 s78, s15, 58
	s_mul_i32 s79, s15, 59
	s_mul_i32 s80, s15, 60
	s_mul_i32 s81, s15, 61
	s_mul_i32 s82, s15, 62
	s_mul_i32 s15, s15, 63
	s_mov_b32 s83, 0x7f800000
	s_movk_i32 s84, 0x7fff
	s_mov_b32 s85, 0x7060302
	s_mov_b64 s[8:9], 0
	s_branch .LBB126_6
.LBB126_5:                              ;   in Loop: Header=BB126_6 Depth=1
	s_or_b64 exec, exec, s[62:63]
	v_perm_b32 v82, v82, v84, s85
	v_add_u32_e32 v83, 0xc00, v113
	ds_write2_b32 v83, v82, v116 offset0:24 offset1:90
	ds_write2_b32 v83, v116, v116 offset0:156 offset1:222
	ds_read2_b64 v[82:85], v114 offset1:4
	v_accvgpr_write_b32 a0, v12
	v_accvgpr_write_b32 a4, v8
	;; [unrolled: 1-line block ×16, first 2 shown]
	s_waitcnt lgkmcnt(0)
	v_mfma_f32_16x16x16bf16_1k a[0:3], v[32:33], v[82:83], a[0:3]
	ds_read2_b64 v[0:3], v114 offset0:8 offset1:12
	v_add_co_u32_e32 v16, vcc, 0x200, v16
	v_add_u32_e32 v112, 0x80, v112
	v_addc_co_u32_e32 v17, vcc, 0, v17, vcc
	v_cmp_le_i32_e32 vcc, s12, v112
	v_mfma_f32_16x16x16bf16_1k a[4:7], v[50:51], v[82:83], a[4:7]
	s_or_b64 s[8:9], vcc, s[8:9]
	v_mfma_f32_16x16x16bf16_1k a[8:11], v[64:65], v[82:83], a[8:11]
	v_mfma_f32_16x16x16bf16_1k a[12:15], v[80:81], v[82:83], a[12:15]
	v_mfma_f32_16x16x16bf16_1k a[0:3], v[30:31], v[84:85], a[0:3]
	v_mfma_f32_16x16x16bf16_1k a[4:7], v[46:47], v[84:85], a[4:7]
	v_mfma_f32_16x16x16bf16_1k a[8:11], v[62:63], v[84:85], a[8:11]
	v_mfma_f32_16x16x16bf16_1k a[12:15], v[78:79], v[84:85], a[12:15]
	s_waitcnt lgkmcnt(0)
	v_mfma_f32_16x16x16bf16_1k a[0:3], v[26:27], v[0:1], a[0:3]
	v_mfma_f32_16x16x16bf16_1k a[4:7], v[44:45], v[0:1], a[4:7]
	v_mfma_f32_16x16x16bf16_1k a[8:11], v[60:61], v[0:1], a[8:11]
	v_mfma_f32_16x16x16bf16_1k a[12:15], v[74:75], v[0:1], a[12:15]
	v_mfma_f32_16x16x16bf16_1k a[0:3], v[22:23], v[2:3], a[0:3]
	v_mfma_f32_16x16x16bf16_1k a[4:7], v[42:43], v[2:3], a[4:7]
	v_mfma_f32_16x16x16bf16_1k a[8:11], v[58:59], v[2:3], a[8:11]
	v_mfma_f32_16x16x16bf16_1k a[12:15], v[70:71], v[2:3], a[12:15]
	ds_read2_b64 v[0:3], v114 offset0:16 offset1:20
	s_waitcnt lgkmcnt(0)
	v_mfma_f32_16x16x16bf16_1k a[0:3], v[28:29], v[0:1], a[0:3]
	v_mfma_f32_16x16x16bf16_1k a[4:7], v[40:41], v[0:1], a[4:7]
	v_mfma_f32_16x16x16bf16_1k a[8:11], v[56:57], v[0:1], a[8:11]
	v_mfma_f32_16x16x16bf16_1k a[12:15], v[76:77], v[0:1], a[12:15]
	v_mfma_f32_16x16x16bf16_1k a[0:3], v[24:25], v[2:3], a[0:3]
	v_mfma_f32_16x16x16bf16_1k a[4:7], v[38:39], v[2:3], a[4:7]
	v_mfma_f32_16x16x16bf16_1k a[8:11], v[54:55], v[2:3], a[8:11]
	v_mfma_f32_16x16x16bf16_1k a[12:15], v[72:73], v[2:3], a[12:15]
	ds_read2_b64 v[0:3], v114 offset0:24 offset1:28
	s_waitcnt lgkmcnt(0)
	v_mfma_f32_16x16x16bf16_1k a[0:3], v[20:21], v[0:1], a[0:3]
	v_mfma_f32_16x16x16bf16_1k a[4:7], v[36:37], v[0:1], a[4:7]
	;; [unrolled: 1-line block ×8, first 2 shown]
	s_andn2_b64 exec, exec, s[8:9]
	s_cbranch_execz .LBB126_149
.LBB126_6:                              ; =>This Inner Loop Header: Depth=1
	v_add_co_u32_e32 v0, vcc, s60, v16
	v_addc_co_u32_e32 v1, vcc, v17, v117, vcc
	global_load_dword v18, v[16:17], off
	global_load_dword v19, v[0:1], off
	v_add_u32_e32 v0, s7, v112
	v_ashrrev_i32_e32 v1, 31, v0
	v_readlane_b32 s62, v119, 11
	v_lshlrev_b64 v[0:1], 2, v[0:1]
	v_add_u32_e32 v2, s62, v112
	v_add_co_u32_e32 v0, vcc, s0, v0
	v_ashrrev_i32_e32 v3, 31, v2
	v_addc_co_u32_e32 v1, vcc, v115, v1, vcc
	v_lshlrev_b64 v[2:3], 2, v[2:3]
	v_add_u32_e32 v4, s65, v112
	v_add_co_u32_e32 v2, vcc, s0, v2
	v_ashrrev_i32_e32 v5, 31, v4
	v_readlane_b32 s62, v119, 12
	v_addc_co_u32_e32 v3, vcc, v115, v3, vcc
	v_lshlrev_b64 v[4:5], 2, v[4:5]
	v_add_u32_e32 v6, s62, v112
	v_add_co_u32_e32 v4, vcc, s0, v4
	v_ashrrev_i32_e32 v7, 31, v6
	v_readlane_b32 s62, v119, 13
	;; [unrolled: 6-line block ×3, first 2 shown]
	v_addc_co_u32_e32 v7, vcc, v115, v7, vcc
	v_lshlrev_b64 v[8:9], 2, v[8:9]
	v_add_u32_e32 v10, s62, v112
	v_add_co_u32_e32 v8, vcc, s0, v8
	v_ashrrev_i32_e32 v11, 31, v10
	v_addc_co_u32_e32 v9, vcc, v115, v9, vcc
	v_lshlrev_b64 v[10:11], 2, v[10:11]
	v_add_u32_e32 v12, s69, v112
	v_add_co_u32_e32 v10, vcc, s0, v10
	v_ashrrev_i32_e32 v13, 31, v12
	v_readlane_b32 s62, v119, 15
	v_addc_co_u32_e32 v11, vcc, v115, v11, vcc
	v_lshlrev_b64 v[12:13], 2, v[12:13]
	v_add_u32_e32 v14, s62, v112
	v_add_co_u32_e32 v12, vcc, s0, v12
	v_ashrrev_i32_e32 v15, 31, v14
	v_addc_co_u32_e32 v13, vcc, v115, v13, vcc
	v_lshlrev_b64 v[14:15], 2, v[14:15]
	v_add_co_u32_e32 v14, vcc, s0, v14
	v_readlane_b32 s62, v119, 16
	v_addc_co_u32_e32 v15, vcc, v115, v15, vcc
	global_load_dword v20, v[0:1], off
	global_load_dword v21, v[2:3], off
	;; [unrolled: 1-line block ×6, first 2 shown]
	s_nop 0
	global_load_dword v12, v[12:13], off
	s_nop 0
	global_load_dword v13, v[14:15], off
	v_add_u32_e32 v0, s62, v112
	v_ashrrev_i32_e32 v1, 31, v0
	v_readlane_b32 s62, v119, 17
	v_lshlrev_b64 v[0:1], 2, v[0:1]
	v_add_u32_e32 v2, s62, v112
	v_add_co_u32_e32 v0, vcc, s0, v0
	v_ashrrev_i32_e32 v3, 31, v2
	v_readlane_b32 s62, v119, 18
	v_addc_co_u32_e32 v1, vcc, v115, v1, vcc
	v_lshlrev_b64 v[2:3], 2, v[2:3]
	v_add_u32_e32 v4, s62, v112
	v_add_co_u32_e32 v2, vcc, s0, v2
	v_ashrrev_i32_e32 v5, 31, v4
	v_readlane_b32 s62, v119, 19
	v_addc_co_u32_e32 v3, vcc, v115, v3, vcc
	;; [unrolled: 6-line block ×4, first 2 shown]
	v_lshlrev_b64 v[8:9], 2, v[8:9]
	v_add_u32_e32 v10, s62, v112
	v_add_co_u32_e32 v8, vcc, s0, v8
	v_ashrrev_i32_e32 v11, 31, v10
	v_addc_co_u32_e32 v9, vcc, v115, v9, vcc
	v_lshlrev_b64 v[10:11], 2, v[10:11]
	v_add_co_u32_e32 v10, vcc, s0, v10
	v_addc_co_u32_e32 v11, vcc, v115, v11, vcc
	global_load_dword v14, v[0:1], off
	global_load_dword v15, v[2:3], off
	s_nop 0
	global_load_dword v4, v[4:5], off
	s_nop 0
	;; [unrolled: 2-line block ×3, first 2 shown]
	global_load_dword v6, v[8:9], off
	global_load_dword v7, v[10:11], off
	v_add_u32_e32 v0, s77, v112
	v_ashrrev_i32_e32 v1, 31, v0
	v_readlane_b32 s62, v119, 22
	v_lshlrev_b64 v[0:1], 2, v[0:1]
	v_add_u32_e32 v2, s62, v112
	v_add_co_u32_e32 v0, vcc, s0, v0
	v_ashrrev_i32_e32 v3, 31, v2
	v_addc_co_u32_e32 v1, vcc, v115, v1, vcc
	v_lshlrev_b64 v[2:3], 2, v[2:3]
	s_waitcnt vmcnt(15)
	ds_write_b32 v113, v18
	s_waitcnt vmcnt(14)
	ds_write_b32 v113, v19 offset:264
	s_waitcnt vmcnt(13)
	ds_write_b32 v113, v20 offset:528
	;; [unrolled: 2-line block ×9, first 2 shown]
	v_add_co_u32_e32 v2, vcc, s0, v2
	v_readlane_b32 s62, v119, 23
	v_addc_co_u32_e32 v3, vcc, v115, v3, vcc
	global_load_dword v0, v[0:1], off
	s_nop 0
	global_load_dword v1, v[2:3], off
	v_add_u32_e32 v2, s62, v112
	v_ashrrev_i32_e32 v3, 31, v2
	v_readlane_b32 s62, v119, 24
	s_waitcnt vmcnt(7)
	ds_write_b32 v113, v14 offset:2640
	s_waitcnt vmcnt(6)
	ds_write_b32 v113, v15 offset:2904
	;; [unrolled: 2-line block ×6, first 2 shown]
	v_lshlrev_b64 v[2:3], 2, v[2:3]
	v_add_u32_e32 v4, s62, v112
	v_add_co_u32_e32 v2, vcc, s0, v2
	v_ashrrev_i32_e32 v5, 31, v4
	v_readlane_b32 s62, v119, 25
	v_addc_co_u32_e32 v3, vcc, v115, v3, vcc
	v_lshlrev_b64 v[4:5], 2, v[4:5]
	v_add_u32_e32 v6, s62, v112
	v_add_co_u32_e32 v4, vcc, s0, v4
	v_ashrrev_i32_e32 v7, 31, v6
	v_readlane_b32 s62, v119, 26
	v_addc_co_u32_e32 v5, vcc, v115, v5, vcc
	;; [unrolled: 6-line block ×5, first 2 shown]
	v_lshlrev_b64 v[12:13], 2, v[12:13]
	v_add_u32_e32 v14, s62, v112
	v_add_co_u32_e32 v12, vcc, s0, v12
	v_ashrrev_i32_e32 v15, 31, v14
	v_addc_co_u32_e32 v13, vcc, v115, v13, vcc
	v_lshlrev_b64 v[14:15], 2, v[14:15]
	v_add_u32_e32 v18, s86, v112
	v_add_co_u32_e32 v14, vcc, s0, v14
	v_ashrrev_i32_e32 v19, 31, v18
	v_addc_co_u32_e32 v15, vcc, v115, v15, vcc
	v_lshlrev_b64 v[18:19], 2, v[18:19]
	v_add_co_u32_e32 v18, vcc, s0, v18
	v_addc_co_u32_e32 v19, vcc, v115, v19, vcc
	global_load_dword v34, v[2:3], off
	global_load_dword v35, v[4:5], off
	global_load_dword v36, v[6:7], off
	global_load_dword v37, v[8:9], off
	global_load_dword v38, v[10:11], off
	global_load_dword v39, v[12:13], off
	global_load_dword v40, v[14:15], off
	global_load_dword v41, v[18:19], off
	v_add_u32_e32 v2, s87, v112
	v_ashrrev_i32_e32 v3, 31, v2
	v_lshlrev_b64 v[2:3], 2, v[2:3]
	v_add_u32_e32 v4, s88, v112
	v_add_co_u32_e32 v2, vcc, s0, v2
	v_ashrrev_i32_e32 v5, 31, v4
	v_addc_co_u32_e32 v3, vcc, v115, v3, vcc
	v_lshlrev_b64 v[4:5], 2, v[4:5]
	v_add_u32_e32 v6, s89, v112
	v_add_co_u32_e32 v4, vcc, s0, v4
	v_ashrrev_i32_e32 v7, 31, v6
	v_addc_co_u32_e32 v5, vcc, v115, v5, vcc
	v_lshlrev_b64 v[6:7], 2, v[6:7]
	v_add_u32_e32 v8, s90, v112
	v_add_co_u32_e32 v6, vcc, s0, v6
	v_ashrrev_i32_e32 v9, 31, v8
	v_addc_co_u32_e32 v7, vcc, v115, v7, vcc
	v_lshlrev_b64 v[8:9], 2, v[8:9]
	v_add_u32_e32 v10, s91, v112
	v_add_co_u32_e32 v8, vcc, s0, v8
	v_ashrrev_i32_e32 v11, 31, v10
	v_addc_co_u32_e32 v9, vcc, v115, v9, vcc
	v_lshlrev_b64 v[10:11], 2, v[10:11]
	v_add_u32_e32 v12, s61, v112
	v_add_co_u32_e32 v10, vcc, s0, v10
	v_ashrrev_i32_e32 v13, 31, v12
	v_addc_co_u32_e32 v11, vcc, v115, v11, vcc
	v_lshlrev_b64 v[12:13], 2, v[12:13]
	v_add_u32_e32 v14, s92, v112
	v_add_co_u32_e32 v12, vcc, s0, v12
	v_ashrrev_i32_e32 v15, 31, v14
	v_addc_co_u32_e32 v13, vcc, v115, v13, vcc
	v_lshlrev_b64 v[14:15], 2, v[14:15]
	v_add_u32_e32 v18, s93, v112
	v_add_co_u32_e32 v14, vcc, s0, v14
	v_ashrrev_i32_e32 v19, 31, v18
	v_addc_co_u32_e32 v15, vcc, v115, v15, vcc
	v_lshlrev_b64 v[18:19], 2, v[18:19]
	v_add_co_u32_e32 v18, vcc, s0, v18
	v_addc_co_u32_e32 v19, vcc, v115, v19, vcc
	global_load_dword v42, v[2:3], off
	global_load_dword v43, v[4:5], off
	global_load_dword v44, v[6:7], off
	global_load_dword v45, v[8:9], off
	global_load_dword v46, v[10:11], off
	global_load_dword v47, v[12:13], off
	global_load_dword v48, v[14:15], off
	global_load_dword v49, v[18:19], off
	v_add_u32_e32 v2, s94, v112
	v_ashrrev_i32_e32 v3, 31, v2
	v_lshlrev_b64 v[2:3], 2, v[2:3]
	v_add_u32_e32 v4, s95, v112
	v_add_co_u32_e32 v2, vcc, s0, v2
	v_ashrrev_i32_e32 v5, 31, v4
	v_addc_co_u32_e32 v3, vcc, v115, v3, vcc
	v_lshlrev_b64 v[4:5], 2, v[4:5]
	v_add_u32_e32 v6, s28, v112
	v_add_co_u32_e32 v4, vcc, s0, v4
	v_ashrrev_i32_e32 v7, 31, v6
	v_addc_co_u32_e32 v5, vcc, v115, v5, vcc
	v_lshlrev_b64 v[6:7], 2, v[6:7]
	v_add_u32_e32 v8, s29, v112
	v_add_co_u32_e32 v6, vcc, s0, v6
	v_ashrrev_i32_e32 v9, 31, v8
	v_addc_co_u32_e32 v7, vcc, v115, v7, vcc
	v_lshlrev_b64 v[8:9], 2, v[8:9]
	v_add_u32_e32 v10, s24, v112
	v_add_co_u32_e32 v8, vcc, s0, v8
	v_ashrrev_i32_e32 v11, 31, v10
	v_addc_co_u32_e32 v9, vcc, v115, v9, vcc
	v_lshlrev_b64 v[10:11], 2, v[10:11]
	v_add_u32_e32 v12, s25, v112
	v_add_co_u32_e32 v10, vcc, s0, v10
	v_ashrrev_i32_e32 v13, 31, v12
	v_addc_co_u32_e32 v11, vcc, v115, v11, vcc
	;; [unrolled: 48-line block ×5, first 2 shown]
	v_lshlrev_b64 v[12:13], 2, v[12:13]
	v_add_co_u32_e32 v12, vcc, s0, v12
	v_addc_co_u32_e32 v13, vcc, v115, v13, vcc
	ds_read_b64 v[32:33], v114
	ds_read_b64 v[30:31], v114 offset:32
	ds_read_b64 v[26:27], v114 offset:64
	;; [unrolled: 1-line block ×3, first 2 shown]
	global_load_dword v76, v[2:3], off
	global_load_dword v77, v[4:5], off
	;; [unrolled: 1-line block ×6, first 2 shown]
	ds_read_b64 v[28:29], v114 offset:128
	ds_read_b64 v[24:25], v114 offset:160
	ds_read_b64 v[20:21], v114 offset:192
	ds_read_b64 v[18:19], v114 offset:224
	s_waitcnt vmcnt(47)
	ds_write_b32 v113, v0
	s_waitcnt vmcnt(46)
	ds_write_b32 v113, v1 offset:264
	s_waitcnt vmcnt(45)
	ds_write_b32 v113, v34 offset:528
	s_waitcnt vmcnt(44)
	ds_write_b32 v113, v35 offset:792
	s_waitcnt vmcnt(43)
	ds_write_b32 v113, v36 offset:1056
	s_waitcnt vmcnt(42)
	ds_write_b32 v113, v37 offset:1320
	s_waitcnt vmcnt(41)
	ds_write_b32 v113, v38 offset:1584
	s_waitcnt vmcnt(40)
	ds_write_b32 v113, v39 offset:1848
	s_waitcnt vmcnt(39)
	ds_write_b32 v113, v40 offset:2112
	s_waitcnt vmcnt(38)
	ds_write_b32 v113, v41 offset:2376
	s_waitcnt vmcnt(37)
	ds_write_b32 v113, v42 offset:2640
	s_waitcnt vmcnt(36)
	ds_write_b32 v113, v43 offset:2904
	s_waitcnt vmcnt(35)
	ds_write_b32 v113, v44 offset:3168
	s_waitcnt vmcnt(34)
	ds_write_b32 v113, v45 offset:3432
	s_waitcnt vmcnt(33)
	ds_write_b32 v113, v46 offset:3696
	s_waitcnt vmcnt(32)
	ds_write_b32 v113, v47 offset:3960
	ds_read_b64 v[50:51], v114
	ds_read_b64 v[46:47], v114 offset:32
	ds_read_b64 v[44:45], v114 offset:64
	ds_read_b64 v[42:43], v114 offset:96
	ds_read_b64 v[40:41], v114 offset:128
	ds_read_b64 v[38:39], v114 offset:160
	ds_read_b64 v[36:37], v114 offset:192
	ds_read_b64 v[34:35], v114 offset:224
	s_waitcnt vmcnt(31)
	ds_write_b32 v113, v48
	s_waitcnt vmcnt(30)
	ds_write_b32 v113, v49 offset:264
	s_waitcnt vmcnt(29)
	ds_write_b32 v113, v52 offset:528
	s_waitcnt vmcnt(28)
	ds_write_b32 v113, v53 offset:792
	s_waitcnt vmcnt(27)
	ds_write_b32 v113, v54 offset:1056
	s_waitcnt vmcnt(26)
	ds_write_b32 v113, v55 offset:1320
	s_waitcnt vmcnt(25)
	ds_write_b32 v113, v56 offset:1584
	s_waitcnt vmcnt(24)
	ds_write_b32 v113, v57 offset:1848
	s_waitcnt vmcnt(23)
	ds_write_b32 v113, v58 offset:2112
	s_waitcnt vmcnt(22)
	ds_write_b32 v113, v59 offset:2376
	s_waitcnt vmcnt(21)
	ds_write_b32 v113, v60 offset:2640
	s_waitcnt vmcnt(20)
	ds_write_b32 v113, v61 offset:2904
	s_waitcnt vmcnt(19)
	ds_write_b32 v113, v62 offset:3168
	s_waitcnt vmcnt(18)
	ds_write_b32 v113, v63 offset:3432
	s_waitcnt vmcnt(17)
	ds_write_b32 v113, v64 offset:3696
	s_waitcnt vmcnt(16)
	ds_write_b32 v113, v65 offset:3960
	ds_read_b64 v[64:65], v114
	ds_read_b64 v[62:63], v114 offset:32
	ds_read_b64 v[60:61], v114 offset:64
	ds_read_b64 v[58:59], v114 offset:96
	;; [unrolled: 40-line block ×3, first 2 shown]
	ds_read_b64 v[76:77], v114 offset:128
	ds_read_b64 v[72:73], v114 offset:160
	;; [unrolled: 1-line block ×4, first 2 shown]
	v_accvgpr_read_b32 v3, a15
	v_accvgpr_read_b32 v2, a14
	;; [unrolled: 1-line block ×16, first 2 shown]
	s_andn2_b64 vcc, exec, s[4:5]
	v_mov_b32_e32 v106, 0
	v_mov_b32_e32 v107, 0
	s_cbranch_vccnz .LBB126_9
; %bb.7:                                ;   in Loop: Header=BB126_6 Depth=1
	s_load_dword s62, s[34:35], 0x0
	v_mov_b32_e32 v107, 0
	v_mov_b32_e32 v106, 0
	s_waitcnt lgkmcnt(0)
	s_mul_hi_u32 s63, s62, s16
	s_add_i32 s63, s62, s63
	s_lshr_b32 s63, s63, s17
	s_cmp_ge_i32 s63, s13
	s_cbranch_scc1 .LBB126_9
; %bb.8:                                ;   in Loop: Header=BB126_6 Depth=1
	s_mul_i32 vcc_lo, s63, s18
	s_sub_i32 s62, s62, vcc_lo
	s_mul_i32 s63, s63, s20
	s_mul_i32 s62, s62, s1
	v_add_u32_e32 v82, s63, v112
	v_lshl_add_u32 v82, v82, 1, s62
	v_ashrrev_i32_e32 v83, 31, v82
	v_lshlrev_b64 v[82:83], 2, v[82:83]
	v_mov_b32_e32 v84, s11
	v_add_co_u32_e32 v82, vcc, s10, v82
	v_addc_co_u32_e32 v83, vcc, v84, v83, vcc
	global_load_dwordx2 v[106:107], v[82:83], off
.LBB126_9:                              ;   in Loop: Header=BB126_6 Depth=1
	s_andn2_b64 vcc, exec, s[36:37]
	v_mov_b32_e32 v100, 0
	v_mov_b32_e32 v104, 0
	v_mov_b32_e32 v105, 0
	s_cbranch_vccnz .LBB126_12
; %bb.10:                               ;   in Loop: Header=BB126_6 Depth=1
	s_load_dword s62, s[34:35], 0x4
	v_mov_b32_e32 v105, 0
	v_mov_b32_e32 v104, 0
	s_waitcnt lgkmcnt(0)
	s_mul_hi_u32 s63, s62, s16
	s_add_i32 s63, s62, s63
	s_lshr_b32 s63, s63, s17
	s_cmp_ge_i32 s63, s13
	s_cbranch_scc1 .LBB126_12
; %bb.11:                               ;   in Loop: Header=BB126_6 Depth=1
	s_mul_i32 vcc_lo, s63, s18
	s_sub_i32 s62, s62, vcc_lo
	s_mul_i32 s63, s63, s20
	s_mul_i32 s62, s62, s1
	v_add_u32_e32 v82, s63, v112
	v_lshl_add_u32 v82, v82, 1, s62
	v_ashrrev_i32_e32 v83, 31, v82
	v_lshlrev_b64 v[82:83], 2, v[82:83]
	v_mov_b32_e32 v84, s11
	v_add_co_u32_e32 v82, vcc, s10, v82
	v_addc_co_u32_e32 v83, vcc, v84, v83, vcc
	global_load_dwordx2 v[104:105], v[82:83], off
.LBB126_12:                             ;   in Loop: Header=BB126_6 Depth=1
	s_andn2_b64 vcc, exec, s[38:39]
	v_mov_b32_e32 v101, 0
	s_cbranch_vccnz .LBB126_15
; %bb.13:                               ;   in Loop: Header=BB126_6 Depth=1
	s_load_dword s62, s[34:35], 0x8
	v_mov_b32_e32 v101, 0
	v_mov_b32_e32 v100, 0
	s_waitcnt lgkmcnt(0)
	s_mul_hi_u32 s63, s62, s16
	s_add_i32 s63, s62, s63
	s_lshr_b32 s63, s63, s17
	s_cmp_ge_i32 s63, s13
	s_cbranch_scc1 .LBB126_15
; %bb.14:                               ;   in Loop: Header=BB126_6 Depth=1
	s_mul_i32 vcc_lo, s63, s18
	s_sub_i32 s62, s62, vcc_lo
	s_mul_i32 s63, s63, s20
	s_mul_i32 s62, s62, s1
	v_add_u32_e32 v82, s63, v112
	v_lshl_add_u32 v82, v82, 1, s62
	v_ashrrev_i32_e32 v83, 31, v82
	v_lshlrev_b64 v[82:83], 2, v[82:83]
	v_mov_b32_e32 v84, s11
	v_add_co_u32_e32 v82, vcc, s10, v82
	v_addc_co_u32_e32 v83, vcc, v84, v83, vcc
	global_load_dwordx2 v[100:101], v[82:83], off
.LBB126_15:                             ;   in Loop: Header=BB126_6 Depth=1
	s_andn2_b64 vcc, exec, s[40:41]
	v_mov_b32_e32 v96, 0
	v_mov_b32_e32 v102, 0
	v_mov_b32_e32 v103, 0
	s_cbranch_vccnz .LBB126_18
; %bb.16:                               ;   in Loop: Header=BB126_6 Depth=1
	s_load_dword s62, s[34:35], 0xc
	v_mov_b32_e32 v103, 0
	v_mov_b32_e32 v102, 0
	s_waitcnt lgkmcnt(0)
	s_mul_hi_u32 s63, s62, s16
	s_add_i32 s63, s62, s63
	s_lshr_b32 s63, s63, s17
	s_cmp_ge_i32 s63, s13
	s_cbranch_scc1 .LBB126_18
; %bb.17:                               ;   in Loop: Header=BB126_6 Depth=1
	s_mul_i32 vcc_lo, s63, s18
	s_sub_i32 s62, s62, vcc_lo
	s_mul_i32 s63, s63, s20
	s_mul_i32 s62, s62, s1
	v_add_u32_e32 v82, s63, v112
	v_lshl_add_u32 v82, v82, 1, s62
	v_ashrrev_i32_e32 v83, 31, v82
	v_lshlrev_b64 v[82:83], 2, v[82:83]
	v_mov_b32_e32 v84, s11
	v_add_co_u32_e32 v82, vcc, s10, v82
	v_addc_co_u32_e32 v83, vcc, v84, v83, vcc
	global_load_dwordx2 v[102:103], v[82:83], off
.LBB126_18:                             ;   in Loop: Header=BB126_6 Depth=1
	s_andn2_b64 vcc, exec, s[42:43]
	v_mov_b32_e32 v97, 0
	s_cbranch_vccnz .LBB126_21
; %bb.19:                               ;   in Loop: Header=BB126_6 Depth=1
	s_load_dword s62, s[34:35], 0x10
	v_mov_b32_e32 v97, 0
	v_mov_b32_e32 v96, 0
	s_waitcnt lgkmcnt(0)
	s_mul_hi_u32 s63, s62, s16
	s_add_i32 s63, s62, s63
	s_lshr_b32 s63, s63, s17
	s_cmp_ge_i32 s63, s13
	s_cbranch_scc1 .LBB126_21
; %bb.20:                               ;   in Loop: Header=BB126_6 Depth=1
	s_mul_i32 vcc_lo, s63, s18
	s_sub_i32 s62, s62, vcc_lo
	s_mul_i32 s63, s63, s20
	s_mul_i32 s62, s62, s1
	v_add_u32_e32 v82, s63, v112
	v_lshl_add_u32 v82, v82, 1, s62
	v_ashrrev_i32_e32 v83, 31, v82
	v_lshlrev_b64 v[82:83], 2, v[82:83]
	v_mov_b32_e32 v84, s11
	v_add_co_u32_e32 v82, vcc, s10, v82
	v_addc_co_u32_e32 v83, vcc, v84, v83, vcc
	global_load_dwordx2 v[96:97], v[82:83], off
.LBB126_21:                             ;   in Loop: Header=BB126_6 Depth=1
	;; [unrolled: 56-line block ×6, first 2 shown]
	s_waitcnt vmcnt(0)
	v_and_b32_e32 v118, 0x7f800000, v106
	v_cmp_ne_u32_e32 vcc, s83, v118
                                        ; implicit-def: $vgpr118
	s_and_saveexec_b64 s[62:63], vcc
	s_xor_b64 s[62:63], exec, s[62:63]
; %bb.46:                               ;   in Loop: Header=BB126_6 Depth=1
	v_bfe_u32 v118, v106, 16, 1
	v_add3_u32 v118, v106, v118, s84
; %bb.47:                               ;   in Loop: Header=BB126_6 Depth=1
	s_andn2_saveexec_b64 s[62:63], s[62:63]
; %bb.48:                               ;   in Loop: Header=BB126_6 Depth=1
	v_or_b32_e32 v118, 0x10000, v106
	v_cmp_eq_u32_sdwa vcc, v106, v116 src0_sel:WORD_0 src1_sel:DWORD
	v_cndmask_b32_e32 v118, v118, v106, vcc
; %bb.49:                               ;   in Loop: Header=BB126_6 Depth=1
	s_or_b64 exec, exec, s[62:63]
	v_and_b32_e32 v106, 0x7f800000, v107
	v_cmp_ne_u32_e32 vcc, s83, v106
                                        ; implicit-def: $vgpr106
	s_and_saveexec_b64 s[62:63], vcc
	s_xor_b64 s[62:63], exec, s[62:63]
; %bb.50:                               ;   in Loop: Header=BB126_6 Depth=1
	v_bfe_u32 v106, v107, 16, 1
	v_add3_u32 v106, v107, v106, s84
                                        ; implicit-def: $vgpr107
; %bb.51:                               ;   in Loop: Header=BB126_6 Depth=1
	s_andn2_saveexec_b64 s[62:63], s[62:63]
; %bb.52:                               ;   in Loop: Header=BB126_6 Depth=1
	v_or_b32_e32 v106, 0x10000, v107
	v_cmp_eq_u32_sdwa vcc, v107, v116 src0_sel:WORD_0 src1_sel:DWORD
	v_cndmask_b32_e32 v106, v106, v107, vcc
; %bb.53:                               ;   in Loop: Header=BB126_6 Depth=1
	s_or_b64 exec, exec, s[62:63]
	v_perm_b32 v106, v106, v118, s85
	ds_write_b32 v113, v106
	v_and_b32_e32 v106, 0x7f800000, v104
	v_cmp_ne_u32_e32 vcc, s83, v106
                                        ; implicit-def: $vgpr106
	s_and_saveexec_b64 s[62:63], vcc
	s_xor_b64 s[62:63], exec, s[62:63]
; %bb.54:                               ;   in Loop: Header=BB126_6 Depth=1
	v_bfe_u32 v106, v104, 16, 1
	v_add3_u32 v106, v104, v106, s84
; %bb.55:                               ;   in Loop: Header=BB126_6 Depth=1
	s_andn2_saveexec_b64 s[62:63], s[62:63]
; %bb.56:                               ;   in Loop: Header=BB126_6 Depth=1
	v_or_b32_e32 v106, 0x10000, v104
	v_cmp_eq_u32_sdwa vcc, v104, v116 src0_sel:WORD_0 src1_sel:DWORD
	v_cndmask_b32_e32 v106, v106, v104, vcc
; %bb.57:                               ;   in Loop: Header=BB126_6 Depth=1
	s_or_b64 exec, exec, s[62:63]
	v_and_b32_e32 v104, 0x7f800000, v105
	v_cmp_ne_u32_e32 vcc, s83, v104
                                        ; implicit-def: $vgpr104
	s_and_saveexec_b64 s[62:63], vcc
	s_xor_b64 s[62:63], exec, s[62:63]
; %bb.58:                               ;   in Loop: Header=BB126_6 Depth=1
	v_bfe_u32 v104, v105, 16, 1
	v_add3_u32 v104, v105, v104, s84
                                        ; implicit-def: $vgpr105
; %bb.59:                               ;   in Loop: Header=BB126_6 Depth=1
	s_andn2_saveexec_b64 s[62:63], s[62:63]
; %bb.60:                               ;   in Loop: Header=BB126_6 Depth=1
	v_or_b32_e32 v104, 0x10000, v105
	v_cmp_eq_u32_sdwa vcc, v105, v116 src0_sel:WORD_0 src1_sel:DWORD
	v_cndmask_b32_e32 v104, v104, v105, vcc
; %bb.61:                               ;   in Loop: Header=BB126_6 Depth=1
	s_or_b64 exec, exec, s[62:63]
	v_perm_b32 v104, v104, v106, s85
	ds_write_b32 v113, v104 offset:264
	v_and_b32_e32 v104, 0x7f800000, v100
	v_cmp_ne_u32_e32 vcc, s83, v104
                                        ; implicit-def: $vgpr104
	s_and_saveexec_b64 s[62:63], vcc
	s_xor_b64 s[62:63], exec, s[62:63]
; %bb.62:                               ;   in Loop: Header=BB126_6 Depth=1
	v_bfe_u32 v104, v100, 16, 1
	v_add3_u32 v104, v100, v104, s84
; %bb.63:                               ;   in Loop: Header=BB126_6 Depth=1
	s_andn2_saveexec_b64 s[62:63], s[62:63]
; %bb.64:                               ;   in Loop: Header=BB126_6 Depth=1
	v_or_b32_e32 v104, 0x10000, v100
	v_cmp_eq_u32_sdwa vcc, v100, v116 src0_sel:WORD_0 src1_sel:DWORD
	v_cndmask_b32_e32 v104, v104, v100, vcc
; %bb.65:                               ;   in Loop: Header=BB126_6 Depth=1
	s_or_b64 exec, exec, s[62:63]
	v_and_b32_e32 v100, 0x7f800000, v101
	v_cmp_ne_u32_e32 vcc, s83, v100
                                        ; implicit-def: $vgpr100
	s_and_saveexec_b64 s[62:63], vcc
	s_xor_b64 s[62:63], exec, s[62:63]
; %bb.66:                               ;   in Loop: Header=BB126_6 Depth=1
	v_bfe_u32 v100, v101, 16, 1
	v_add3_u32 v100, v101, v100, s84
                                        ; implicit-def: $vgpr101
; %bb.67:                               ;   in Loop: Header=BB126_6 Depth=1
	s_andn2_saveexec_b64 s[62:63], s[62:63]
; %bb.68:                               ;   in Loop: Header=BB126_6 Depth=1
	v_or_b32_e32 v100, 0x10000, v101
	v_cmp_eq_u32_sdwa vcc, v101, v116 src0_sel:WORD_0 src1_sel:DWORD
	v_cndmask_b32_e32 v100, v100, v101, vcc
; %bb.69:                               ;   in Loop: Header=BB126_6 Depth=1
	s_or_b64 exec, exec, s[62:63]
	v_perm_b32 v100, v100, v104, s85
	ds_write_b32 v113, v100 offset:528
	v_and_b32_e32 v100, 0x7f800000, v102
	v_cmp_ne_u32_e32 vcc, s83, v100
                                        ; implicit-def: $vgpr100
	s_and_saveexec_b64 s[62:63], vcc
	s_xor_b64 s[62:63], exec, s[62:63]
; %bb.70:                               ;   in Loop: Header=BB126_6 Depth=1
	v_bfe_u32 v100, v102, 16, 1
	v_add3_u32 v100, v102, v100, s84
; %bb.71:                               ;   in Loop: Header=BB126_6 Depth=1
	s_andn2_saveexec_b64 s[62:63], s[62:63]
; %bb.72:                               ;   in Loop: Header=BB126_6 Depth=1
	v_or_b32_e32 v100, 0x10000, v102
	v_cmp_eq_u32_sdwa vcc, v102, v116 src0_sel:WORD_0 src1_sel:DWORD
	v_cndmask_b32_e32 v100, v100, v102, vcc
; %bb.73:                               ;   in Loop: Header=BB126_6 Depth=1
	s_or_b64 exec, exec, s[62:63]
	v_and_b32_e32 v101, 0x7f800000, v103
	v_cmp_ne_u32_e32 vcc, s83, v101
                                        ; implicit-def: $vgpr101
	s_and_saveexec_b64 s[62:63], vcc
	s_xor_b64 s[62:63], exec, s[62:63]
; %bb.74:                               ;   in Loop: Header=BB126_6 Depth=1
	v_bfe_u32 v101, v103, 16, 1
	v_add3_u32 v101, v103, v101, s84
                                        ; implicit-def: $vgpr103
; %bb.75:                               ;   in Loop: Header=BB126_6 Depth=1
	s_andn2_saveexec_b64 s[62:63], s[62:63]
; %bb.76:                               ;   in Loop: Header=BB126_6 Depth=1
	v_or_b32_e32 v101, 0x10000, v103
	v_cmp_eq_u32_sdwa vcc, v103, v116 src0_sel:WORD_0 src1_sel:DWORD
	v_cndmask_b32_e32 v101, v101, v103, vcc
; %bb.77:                               ;   in Loop: Header=BB126_6 Depth=1
	s_or_b64 exec, exec, s[62:63]
	v_perm_b32 v100, v101, v100, s85
	ds_write_b32 v113, v100 offset:792
	v_and_b32_e32 v100, 0x7f800000, v96
	v_cmp_ne_u32_e32 vcc, s83, v100
                                        ; implicit-def: $vgpr100
	s_and_saveexec_b64 s[62:63], vcc
	s_xor_b64 s[62:63], exec, s[62:63]
; %bb.78:                               ;   in Loop: Header=BB126_6 Depth=1
	v_bfe_u32 v100, v96, 16, 1
	v_add3_u32 v100, v96, v100, s84
; %bb.79:                               ;   in Loop: Header=BB126_6 Depth=1
	s_andn2_saveexec_b64 s[62:63], s[62:63]
; %bb.80:                               ;   in Loop: Header=BB126_6 Depth=1
	v_or_b32_e32 v100, 0x10000, v96
	v_cmp_eq_u32_sdwa vcc, v96, v116 src0_sel:WORD_0 src1_sel:DWORD
	v_cndmask_b32_e32 v100, v100, v96, vcc
; %bb.81:                               ;   in Loop: Header=BB126_6 Depth=1
	s_or_b64 exec, exec, s[62:63]
	v_and_b32_e32 v96, 0x7f800000, v97
	v_cmp_ne_u32_e32 vcc, s83, v96
                                        ; implicit-def: $vgpr96
	s_and_saveexec_b64 s[62:63], vcc
	s_xor_b64 s[62:63], exec, s[62:63]
; %bb.82:                               ;   in Loop: Header=BB126_6 Depth=1
	v_bfe_u32 v96, v97, 16, 1
	v_add3_u32 v96, v97, v96, s84
                                        ; implicit-def: $vgpr97
; %bb.83:                               ;   in Loop: Header=BB126_6 Depth=1
	s_andn2_saveexec_b64 s[62:63], s[62:63]
; %bb.84:                               ;   in Loop: Header=BB126_6 Depth=1
	v_or_b32_e32 v96, 0x10000, v97
	v_cmp_eq_u32_sdwa vcc, v97, v116 src0_sel:WORD_0 src1_sel:DWORD
	v_cndmask_b32_e32 v96, v96, v97, vcc
; %bb.85:                               ;   in Loop: Header=BB126_6 Depth=1
	s_or_b64 exec, exec, s[62:63]
	v_perm_b32 v96, v96, v100, s85
	ds_write_b32 v113, v96 offset:1056
	v_and_b32_e32 v96, 0x7f800000, v98
	v_cmp_ne_u32_e32 vcc, s83, v96
                                        ; implicit-def: $vgpr96
	s_and_saveexec_b64 s[62:63], vcc
	s_xor_b64 s[62:63], exec, s[62:63]
; %bb.86:                               ;   in Loop: Header=BB126_6 Depth=1
	v_bfe_u32 v96, v98, 16, 1
	v_add3_u32 v96, v98, v96, s84
; %bb.87:                               ;   in Loop: Header=BB126_6 Depth=1
	s_andn2_saveexec_b64 s[62:63], s[62:63]
; %bb.88:                               ;   in Loop: Header=BB126_6 Depth=1
	v_or_b32_e32 v96, 0x10000, v98
	v_cmp_eq_u32_sdwa vcc, v98, v116 src0_sel:WORD_0 src1_sel:DWORD
	v_cndmask_b32_e32 v96, v96, v98, vcc
; %bb.89:                               ;   in Loop: Header=BB126_6 Depth=1
	s_or_b64 exec, exec, s[62:63]
	v_and_b32_e32 v97, 0x7f800000, v99
	v_cmp_ne_u32_e32 vcc, s83, v97
                                        ; implicit-def: $vgpr97
	s_and_saveexec_b64 s[62:63], vcc
	s_xor_b64 s[62:63], exec, s[62:63]
; %bb.90:                               ;   in Loop: Header=BB126_6 Depth=1
	v_bfe_u32 v97, v99, 16, 1
	v_add3_u32 v97, v99, v97, s84
                                        ; implicit-def: $vgpr99
; %bb.91:                               ;   in Loop: Header=BB126_6 Depth=1
	s_andn2_saveexec_b64 s[62:63], s[62:63]
; %bb.92:                               ;   in Loop: Header=BB126_6 Depth=1
	v_or_b32_e32 v97, 0x10000, v99
	v_cmp_eq_u32_sdwa vcc, v99, v116 src0_sel:WORD_0 src1_sel:DWORD
	v_cndmask_b32_e32 v97, v97, v99, vcc
; %bb.93:                               ;   in Loop: Header=BB126_6 Depth=1
	s_or_b64 exec, exec, s[62:63]
	v_perm_b32 v96, v97, v96, s85
	ds_write_b32 v113, v96 offset:1320
	v_and_b32_e32 v96, 0x7f800000, v92
	v_cmp_ne_u32_e32 vcc, s83, v96
                                        ; implicit-def: $vgpr96
	s_and_saveexec_b64 s[62:63], vcc
	s_xor_b64 s[62:63], exec, s[62:63]
; %bb.94:                               ;   in Loop: Header=BB126_6 Depth=1
	v_bfe_u32 v96, v92, 16, 1
	v_add3_u32 v96, v92, v96, s84
; %bb.95:                               ;   in Loop: Header=BB126_6 Depth=1
	s_andn2_saveexec_b64 s[62:63], s[62:63]
; %bb.96:                               ;   in Loop: Header=BB126_6 Depth=1
	v_or_b32_e32 v96, 0x10000, v92
	v_cmp_eq_u32_sdwa vcc, v92, v116 src0_sel:WORD_0 src1_sel:DWORD
	v_cndmask_b32_e32 v96, v96, v92, vcc
; %bb.97:                               ;   in Loop: Header=BB126_6 Depth=1
	s_or_b64 exec, exec, s[62:63]
	v_and_b32_e32 v92, 0x7f800000, v93
	v_cmp_ne_u32_e32 vcc, s83, v92
                                        ; implicit-def: $vgpr92
	s_and_saveexec_b64 s[62:63], vcc
	s_xor_b64 s[62:63], exec, s[62:63]
; %bb.98:                               ;   in Loop: Header=BB126_6 Depth=1
	v_bfe_u32 v92, v93, 16, 1
	v_add3_u32 v92, v93, v92, s84
                                        ; implicit-def: $vgpr93
; %bb.99:                               ;   in Loop: Header=BB126_6 Depth=1
	s_andn2_saveexec_b64 s[62:63], s[62:63]
; %bb.100:                              ;   in Loop: Header=BB126_6 Depth=1
	v_or_b32_e32 v92, 0x10000, v93
	v_cmp_eq_u32_sdwa vcc, v93, v116 src0_sel:WORD_0 src1_sel:DWORD
	v_cndmask_b32_e32 v92, v92, v93, vcc
; %bb.101:                              ;   in Loop: Header=BB126_6 Depth=1
	s_or_b64 exec, exec, s[62:63]
	v_perm_b32 v92, v92, v96, s85
	ds_write_b32 v113, v92 offset:1584
	v_and_b32_e32 v92, 0x7f800000, v94
	v_cmp_ne_u32_e32 vcc, s83, v92
                                        ; implicit-def: $vgpr92
	s_and_saveexec_b64 s[62:63], vcc
	s_xor_b64 s[62:63], exec, s[62:63]
; %bb.102:                              ;   in Loop: Header=BB126_6 Depth=1
	v_bfe_u32 v92, v94, 16, 1
	v_add3_u32 v92, v94, v92, s84
; %bb.103:                              ;   in Loop: Header=BB126_6 Depth=1
	s_andn2_saveexec_b64 s[62:63], s[62:63]
; %bb.104:                              ;   in Loop: Header=BB126_6 Depth=1
	v_or_b32_e32 v92, 0x10000, v94
	v_cmp_eq_u32_sdwa vcc, v94, v116 src0_sel:WORD_0 src1_sel:DWORD
	v_cndmask_b32_e32 v92, v92, v94, vcc
; %bb.105:                              ;   in Loop: Header=BB126_6 Depth=1
	s_or_b64 exec, exec, s[62:63]
	v_and_b32_e32 v93, 0x7f800000, v95
	v_cmp_ne_u32_e32 vcc, s83, v93
                                        ; implicit-def: $vgpr93
	s_and_saveexec_b64 s[62:63], vcc
	s_xor_b64 s[62:63], exec, s[62:63]
; %bb.106:                              ;   in Loop: Header=BB126_6 Depth=1
	v_bfe_u32 v93, v95, 16, 1
	v_add3_u32 v93, v95, v93, s84
                                        ; implicit-def: $vgpr95
; %bb.107:                              ;   in Loop: Header=BB126_6 Depth=1
	s_andn2_saveexec_b64 s[62:63], s[62:63]
; %bb.108:                              ;   in Loop: Header=BB126_6 Depth=1
	v_or_b32_e32 v93, 0x10000, v95
	v_cmp_eq_u32_sdwa vcc, v95, v116 src0_sel:WORD_0 src1_sel:DWORD
	v_cndmask_b32_e32 v93, v93, v95, vcc
; %bb.109:                              ;   in Loop: Header=BB126_6 Depth=1
	s_or_b64 exec, exec, s[62:63]
	v_perm_b32 v92, v93, v92, s85
	ds_write_b32 v113, v92 offset:1848
	v_and_b32_e32 v92, 0x7f800000, v88
	v_cmp_ne_u32_e32 vcc, s83, v92
                                        ; implicit-def: $vgpr92
	s_and_saveexec_b64 s[62:63], vcc
	s_xor_b64 s[62:63], exec, s[62:63]
; %bb.110:                              ;   in Loop: Header=BB126_6 Depth=1
	v_bfe_u32 v92, v88, 16, 1
	v_add3_u32 v92, v88, v92, s84
; %bb.111:                              ;   in Loop: Header=BB126_6 Depth=1
	s_andn2_saveexec_b64 s[62:63], s[62:63]
; %bb.112:                              ;   in Loop: Header=BB126_6 Depth=1
	v_or_b32_e32 v92, 0x10000, v88
	v_cmp_eq_u32_sdwa vcc, v88, v116 src0_sel:WORD_0 src1_sel:DWORD
	v_cndmask_b32_e32 v92, v92, v88, vcc
; %bb.113:                              ;   in Loop: Header=BB126_6 Depth=1
	s_or_b64 exec, exec, s[62:63]
	v_and_b32_e32 v88, 0x7f800000, v89
	v_cmp_ne_u32_e32 vcc, s83, v88
                                        ; implicit-def: $vgpr88
	s_and_saveexec_b64 s[62:63], vcc
	s_xor_b64 s[62:63], exec, s[62:63]
; %bb.114:                              ;   in Loop: Header=BB126_6 Depth=1
	v_bfe_u32 v88, v89, 16, 1
	v_add3_u32 v88, v89, v88, s84
                                        ; implicit-def: $vgpr89
; %bb.115:                              ;   in Loop: Header=BB126_6 Depth=1
	s_andn2_saveexec_b64 s[62:63], s[62:63]
; %bb.116:                              ;   in Loop: Header=BB126_6 Depth=1
	v_or_b32_e32 v88, 0x10000, v89
	v_cmp_eq_u32_sdwa vcc, v89, v116 src0_sel:WORD_0 src1_sel:DWORD
	v_cndmask_b32_e32 v88, v88, v89, vcc
; %bb.117:                              ;   in Loop: Header=BB126_6 Depth=1
	s_or_b64 exec, exec, s[62:63]
	v_perm_b32 v88, v88, v92, s85
	ds_write_b32 v113, v88 offset:2112
	v_and_b32_e32 v88, 0x7f800000, v90
	v_cmp_ne_u32_e32 vcc, s83, v88
                                        ; implicit-def: $vgpr88
	s_and_saveexec_b64 s[62:63], vcc
	s_xor_b64 s[62:63], exec, s[62:63]
; %bb.118:                              ;   in Loop: Header=BB126_6 Depth=1
	v_bfe_u32 v88, v90, 16, 1
	v_add3_u32 v88, v90, v88, s84
; %bb.119:                              ;   in Loop: Header=BB126_6 Depth=1
	s_andn2_saveexec_b64 s[62:63], s[62:63]
; %bb.120:                              ;   in Loop: Header=BB126_6 Depth=1
	v_or_b32_e32 v88, 0x10000, v90
	v_cmp_eq_u32_sdwa vcc, v90, v116 src0_sel:WORD_0 src1_sel:DWORD
	v_cndmask_b32_e32 v88, v88, v90, vcc
; %bb.121:                              ;   in Loop: Header=BB126_6 Depth=1
	s_or_b64 exec, exec, s[62:63]
	v_and_b32_e32 v89, 0x7f800000, v91
	v_cmp_ne_u32_e32 vcc, s83, v89
                                        ; implicit-def: $vgpr89
	s_and_saveexec_b64 s[62:63], vcc
	s_xor_b64 s[62:63], exec, s[62:63]
; %bb.122:                              ;   in Loop: Header=BB126_6 Depth=1
	v_bfe_u32 v89, v91, 16, 1
	v_add3_u32 v89, v91, v89, s84
                                        ; implicit-def: $vgpr91
; %bb.123:                              ;   in Loop: Header=BB126_6 Depth=1
	s_andn2_saveexec_b64 s[62:63], s[62:63]
; %bb.124:                              ;   in Loop: Header=BB126_6 Depth=1
	v_or_b32_e32 v89, 0x10000, v91
	v_cmp_eq_u32_sdwa vcc, v91, v116 src0_sel:WORD_0 src1_sel:DWORD
	v_cndmask_b32_e32 v89, v89, v91, vcc
; %bb.125:                              ;   in Loop: Header=BB126_6 Depth=1
	s_or_b64 exec, exec, s[62:63]
	v_perm_b32 v88, v89, v88, s85
	ds_write_b32 v113, v88 offset:2376
	v_and_b32_e32 v88, 0x7f800000, v84
	v_cmp_ne_u32_e32 vcc, s83, v88
                                        ; implicit-def: $vgpr88
	s_and_saveexec_b64 s[62:63], vcc
	s_xor_b64 s[62:63], exec, s[62:63]
; %bb.126:                              ;   in Loop: Header=BB126_6 Depth=1
	v_bfe_u32 v88, v84, 16, 1
	v_add3_u32 v88, v84, v88, s84
; %bb.127:                              ;   in Loop: Header=BB126_6 Depth=1
	s_andn2_saveexec_b64 s[62:63], s[62:63]
; %bb.128:                              ;   in Loop: Header=BB126_6 Depth=1
	v_or_b32_e32 v88, 0x10000, v84
	v_cmp_eq_u32_sdwa vcc, v84, v116 src0_sel:WORD_0 src1_sel:DWORD
	v_cndmask_b32_e32 v88, v88, v84, vcc
; %bb.129:                              ;   in Loop: Header=BB126_6 Depth=1
	s_or_b64 exec, exec, s[62:63]
	v_and_b32_e32 v84, 0x7f800000, v85
	v_cmp_ne_u32_e32 vcc, s83, v84
                                        ; implicit-def: $vgpr84
	s_and_saveexec_b64 s[62:63], vcc
	s_xor_b64 s[62:63], exec, s[62:63]
; %bb.130:                              ;   in Loop: Header=BB126_6 Depth=1
	v_bfe_u32 v84, v85, 16, 1
	v_add3_u32 v84, v85, v84, s84
                                        ; implicit-def: $vgpr85
; %bb.131:                              ;   in Loop: Header=BB126_6 Depth=1
	s_andn2_saveexec_b64 s[62:63], s[62:63]
; %bb.132:                              ;   in Loop: Header=BB126_6 Depth=1
	v_or_b32_e32 v84, 0x10000, v85
	v_cmp_eq_u32_sdwa vcc, v85, v116 src0_sel:WORD_0 src1_sel:DWORD
	v_cndmask_b32_e32 v84, v84, v85, vcc
; %bb.133:                              ;   in Loop: Header=BB126_6 Depth=1
	s_or_b64 exec, exec, s[62:63]
	v_perm_b32 v84, v84, v88, s85
	ds_write_b32 v113, v84 offset:2640
	v_and_b32_e32 v84, 0x7f800000, v86
	v_cmp_ne_u32_e32 vcc, s83, v84
                                        ; implicit-def: $vgpr84
	s_and_saveexec_b64 s[62:63], vcc
	s_xor_b64 s[62:63], exec, s[62:63]
; %bb.134:                              ;   in Loop: Header=BB126_6 Depth=1
	v_bfe_u32 v84, v86, 16, 1
	v_add3_u32 v84, v86, v84, s84
; %bb.135:                              ;   in Loop: Header=BB126_6 Depth=1
	s_andn2_saveexec_b64 s[62:63], s[62:63]
; %bb.136:                              ;   in Loop: Header=BB126_6 Depth=1
	v_or_b32_e32 v84, 0x10000, v86
	v_cmp_eq_u32_sdwa vcc, v86, v116 src0_sel:WORD_0 src1_sel:DWORD
	v_cndmask_b32_e32 v84, v84, v86, vcc
; %bb.137:                              ;   in Loop: Header=BB126_6 Depth=1
	s_or_b64 exec, exec, s[62:63]
	v_and_b32_e32 v85, 0x7f800000, v87
	v_cmp_ne_u32_e32 vcc, s83, v85
                                        ; implicit-def: $vgpr85
	s_and_saveexec_b64 s[62:63], vcc
	s_xor_b64 s[62:63], exec, s[62:63]
; %bb.138:                              ;   in Loop: Header=BB126_6 Depth=1
	v_bfe_u32 v85, v87, 16, 1
	v_add3_u32 v85, v87, v85, s84
                                        ; implicit-def: $vgpr87
; %bb.139:                              ;   in Loop: Header=BB126_6 Depth=1
	s_andn2_saveexec_b64 s[62:63], s[62:63]
; %bb.140:                              ;   in Loop: Header=BB126_6 Depth=1
	v_or_b32_e32 v85, 0x10000, v87
	v_cmp_eq_u32_sdwa vcc, v87, v116 src0_sel:WORD_0 src1_sel:DWORD
	v_cndmask_b32_e32 v85, v85, v87, vcc
; %bb.141:                              ;   in Loop: Header=BB126_6 Depth=1
	s_or_b64 exec, exec, s[62:63]
	v_perm_b32 v84, v85, v84, s85
	ds_write_b32 v113, v84 offset:2904
	v_and_b32_e32 v84, 0x7f800000, v82
	v_cmp_ne_u32_e32 vcc, s83, v84
                                        ; implicit-def: $vgpr84
	s_and_saveexec_b64 s[62:63], vcc
	s_xor_b64 s[62:63], exec, s[62:63]
; %bb.142:                              ;   in Loop: Header=BB126_6 Depth=1
	v_bfe_u32 v84, v82, 16, 1
	v_add3_u32 v84, v82, v84, s84
; %bb.143:                              ;   in Loop: Header=BB126_6 Depth=1
	s_andn2_saveexec_b64 s[62:63], s[62:63]
; %bb.144:                              ;   in Loop: Header=BB126_6 Depth=1
	v_or_b32_e32 v84, 0x10000, v82
	v_cmp_eq_u32_sdwa vcc, v82, v116 src0_sel:WORD_0 src1_sel:DWORD
	v_cndmask_b32_e32 v84, v84, v82, vcc
; %bb.145:                              ;   in Loop: Header=BB126_6 Depth=1
	s_or_b64 exec, exec, s[62:63]
	v_and_b32_e32 v82, 0x7f800000, v83
	v_cmp_ne_u32_e32 vcc, s83, v82
                                        ; implicit-def: $vgpr82
	s_and_saveexec_b64 s[62:63], vcc
	s_xor_b64 s[62:63], exec, s[62:63]
; %bb.146:                              ;   in Loop: Header=BB126_6 Depth=1
	v_bfe_u32 v82, v83, 16, 1
	v_add3_u32 v82, v83, v82, s84
                                        ; implicit-def: $vgpr83
; %bb.147:                              ;   in Loop: Header=BB126_6 Depth=1
	s_andn2_saveexec_b64 s[62:63], s[62:63]
	s_cbranch_execz .LBB126_5
; %bb.148:                              ;   in Loop: Header=BB126_6 Depth=1
	v_or_b32_e32 v82, 0x10000, v83
	v_cmp_eq_u32_sdwa vcc, v83, v116 src0_sel:WORD_0 src1_sel:DWORD
	v_cndmask_b32_e32 v82, v82, v83, vcc
	s_branch .LBB126_5
.LBB126_149:
	s_or_b64 exec, exec, s[8:9]
	v_readlane_b32 s24, v119, 6
	v_readlane_b32 s26, v119, 9
	;; [unrolled: 1-line block ×5, first 2 shown]
.LBB126_150:
	v_readlane_b32 s0, v119, 4
	v_readlane_b32 s1, v119, 5
	s_or_b64 exec, exec, s[0:1]
	s_lshl_b64 s[0:1], s[26:27], 2
	v_readlane_b32 s4, v119, 0
	v_mul_u32_u24_e32 v0, 0x208, v111
	v_lshlrev_b32_e32 v1, 2, v110
	v_or_b32_e32 v2, 12, v109
	v_readlane_b32 s5, v119, 1
	s_add_u32 s3, s4, s0
	v_add3_u32 v0, 0, v0, v1
	v_and_b32_e32 v1, 0x3f0, v109
	v_and_b32_e32 v2, 0x3fc, v2
	s_addc_u32 s8, s5, s1
	v_add_u32_e32 v1, v0, v1
	v_add_u32_e32 v0, v0, v2
	s_barrier
	ds_write2_b32 v1, a0, a1 offset1:1
	ds_write_b32 v1, a2 offset:8
	ds_write_b32 v0, a3
	ds_write2_b32 v1, a4, a5 offset0:16 offset1:17
	ds_write_b32 v1, a6 offset:72
	ds_write_b32 v0, a7 offset:64
	ds_write2_b32 v1, a8, a9 offset0:32 offset1:33
	ds_write_b32 v1, a10 offset:136
	ds_write_b32 v0, a11 offset:128
	;; [unrolled: 3-line block ×3, first 2 shown]
	s_cmp_gt_i32 s14, 0
	v_add_u32_e32 v0, s6, v108
	s_cselect_b64 s[4:5], -1, 0
	v_cmp_gt_i32_e64 s[0:1], s33, v0
	v_cmp_gt_u32_e32 vcc, 13, v108
	s_and_b64 s[0:1], s[4:5], s[0:1]
	v_lshl_add_u32 v5, v109, 2, 0
	v_add_u32_e32 v4, s7, v109
	v_mul_u32_u24_e32 v6, 0x208, v108
	s_and_b64 s[10:11], vcc, s[0:1]
	s_waitcnt lgkmcnt(0)
	s_barrier
	s_and_saveexec_b64 s[0:1], s[10:11]
	v_readlane_b32 s14, v119, 2
	v_readlane_b32 s15, v119, 3
	s_cbranch_execz .LBB126_153
; %bb.151:
	v_ashrrev_i32_e32 v1, 31, v0
	v_lshlrev_b64 v[2:3], 2, v[0:1]
	v_mov_b32_e32 v1, s8
	v_add_co_u32_e32 v2, vcc, s3, v2
	v_addc_co_u32_e32 v3, vcc, v1, v3, vcc
	global_load_dword v1, v[2:3], off
	s_waitcnt vmcnt(0)
	v_mul_hi_u32 v2, v1, s19
	v_add_u32_e32 v2, v1, v2
	v_lshrrev_b32_e32 v2, s24, v2
	v_cmp_gt_i32_e32 vcc, s13, v2
	s_and_b64 exec, exec, vcc
	s_cbranch_execz .LBB126_153
; %bb.152:
	v_add_u32_e32 v3, v5, v6
	ds_read2st64_b32 v[8:9], v3 offset1:1
	v_mul_lo_u32 v3, v2, s25
	v_sub_u32_e32 v1, v1, v3
	v_mul_lo_u32 v2, v2, s21
	v_mul_lo_u32 v1, v1, s2
	s_waitcnt lgkmcnt(0)
	v_add_f32_e32 v3, 0, v8
	v_add_f32_e32 v7, v3, v9
	v_add3_u32 v2, v4, v2, v1
	v_mov_b32_e32 v3, 0
	v_lshlrev_b64 v[2:3], 2, v[2:3]
	v_mov_b32_e32 v1, s15
	v_add_co_u32_e32 v2, vcc, s14, v2
	v_addc_co_u32_e32 v3, vcc, v1, v3, vcc
	global_store_dword v[2:3], v7, off
.LBB126_153:
	s_or_b64 exec, exec, s[0:1]
	v_add_u32_e32 v1, 2, v0
	v_cmp_gt_i32_e64 s[0:1], s33, v1
	v_cmp_gt_u32_e32 vcc, 11, v108
	s_and_b64 s[0:1], s[4:5], s[0:1]
	s_and_b64 s[10:11], vcc, s[0:1]
	s_and_saveexec_b64 s[0:1], s[10:11]
	s_cbranch_execz .LBB126_156
; %bb.154:
	s_ashr_i32 s7, s6, 31
	v_mov_b32_e32 v1, s7
	v_add_co_u32_e32 v2, vcc, s6, v108
	v_addc_co_u32_e32 v3, vcc, 0, v1, vcc
	v_lshlrev_b64 v[2:3], 2, v[2:3]
	v_mov_b32_e32 v1, s8
	v_add_co_u32_e32 v2, vcc, s3, v2
	v_addc_co_u32_e32 v3, vcc, v1, v3, vcc
	global_load_dword v1, v[2:3], off offset:8
	v_mov_b32_e32 v3, 0
	s_waitcnt vmcnt(0)
	v_mul_hi_u32 v2, v1, s19
	v_add_u32_e32 v2, v1, v2
	v_lshrrev_b32_e32 v2, s24, v2
	v_cmp_gt_i32_e32 vcc, s13, v2
	s_and_b64 exec, exec, vcc
	s_cbranch_execz .LBB126_156
; %bb.155:
	v_add_u32_e32 v7, v6, v5
	v_add_u32_e32 v7, 16, v7
	ds_read2st64_b32 v[8:9], v7 offset0:4 offset1:5
	v_mul_lo_u32 v7, v2, s25
	v_sub_u32_e32 v1, v1, v7
	v_mul_lo_u32 v2, v2, s21
	v_mul_lo_u32 v1, v1, s2
	v_add3_u32 v2, v4, v2, v1
	v_lshlrev_b64 v[2:3], 2, v[2:3]
	s_waitcnt lgkmcnt(0)
	v_add_f32_e32 v7, 0, v8
	v_mov_b32_e32 v1, s15
	v_add_co_u32_e32 v2, vcc, s14, v2
	v_add_f32_e32 v7, v7, v9
	v_addc_co_u32_e32 v3, vcc, v1, v3, vcc
	global_store_dword v[2:3], v7, off
.LBB126_156:
	s_or_b64 exec, exec, s[0:1]
	v_add_u32_e32 v1, 4, v0
	v_cmp_gt_i32_e64 s[0:1], s33, v1
	v_cmp_gt_u32_e32 vcc, 9, v108
	s_and_b64 s[0:1], s[4:5], s[0:1]
	s_and_b64 s[10:11], vcc, s[0:1]
	s_and_saveexec_b64 s[0:1], s[10:11]
	s_cbranch_execz .LBB126_159
; %bb.157:
	s_ashr_i32 s7, s6, 31
	v_mov_b32_e32 v1, s7
	v_add_co_u32_e32 v2, vcc, s6, v108
	v_addc_co_u32_e32 v3, vcc, 0, v1, vcc
	v_lshlrev_b64 v[2:3], 2, v[2:3]
	v_mov_b32_e32 v1, s8
	v_add_co_u32_e32 v2, vcc, s3, v2
	v_addc_co_u32_e32 v3, vcc, v1, v3, vcc
	global_load_dword v1, v[2:3], off offset:16
	v_mov_b32_e32 v3, 0
	s_waitcnt vmcnt(0)
	v_mul_hi_u32 v2, v1, s19
	v_add_u32_e32 v2, v1, v2
	v_lshrrev_b32_e32 v2, s24, v2
	v_cmp_gt_i32_e32 vcc, s13, v2
	s_and_b64 exec, exec, vcc
	s_cbranch_execz .LBB126_159
; %bb.158:
	v_add_u32_e32 v7, v5, v6
	v_add_u32_e32 v7, 32, v7
	ds_read2st64_b32 v[8:9], v7 offset0:8 offset1:9
	v_mul_lo_u32 v7, v2, s25
	v_sub_u32_e32 v1, v1, v7
	v_mul_lo_u32 v2, v2, s21
	v_mul_lo_u32 v1, v1, s2
	v_add3_u32 v2, v4, v2, v1
	v_lshlrev_b64 v[2:3], 2, v[2:3]
	s_waitcnt lgkmcnt(0)
	v_add_f32_e32 v7, 0, v8
	v_mov_b32_e32 v1, s15
	v_add_co_u32_e32 v2, vcc, s14, v2
	v_add_f32_e32 v7, v7, v9
	v_addc_co_u32_e32 v3, vcc, v1, v3, vcc
	global_store_dword v[2:3], v7, off
.LBB126_159:
	;; [unrolled: 44-line block ×5, first 2 shown]
	s_or_b64 exec, exec, s[0:1]
	v_cmp_eq_u32_e32 vcc, 0, v108
	s_and_saveexec_b64 s[0:1], vcc
	s_cbranch_execz .LBB126_172
; %bb.169:
	s_add_i32 s0, s6, 12
	s_cmp_ge_i32 s0, s33
	s_cselect_b64 s[0:1], -1, 0
	s_xor_b64 s[4:5], s[4:5], -1
	s_or_b64 s[0:1], s[4:5], s[0:1]
	s_and_b64 vcc, exec, s[0:1]
	s_cbranch_vccnz .LBB126_172
; %bb.170:
	s_ashr_i32 s7, s6, 31
	s_lshl_b64 s[0:1], s[6:7], 2
	s_add_u32 s0, s3, s0
	s_addc_u32 s1, s8, s1
	s_load_dword s0, s[0:1], 0x30
	s_waitcnt lgkmcnt(0)
	s_mul_hi_u32 s1, s0, s19
	s_add_i32 s1, s0, s1
	s_lshr_b32 s1, s1, s24
	s_cmp_ge_i32 s1, s13
	s_cbranch_scc1 .LBB126_172
; %bb.171:
	v_add_u32_e32 v0, 0x60, v5
	ds_read2st64_b32 v[0:1], v0 offset0:24 offset1:25
	s_mul_i32 s3, s1, s25
	s_sub_i32 s0, s0, s3
	s_mul_i32 s1, s1, s21
	s_mul_i32 s0, s0, s2
	s_waitcnt lgkmcnt(0)
	v_add_f32_e32 v0, 0, v0
	s_add_i32 s0, s0, s1
	v_add_f32_e32 v2, v0, v1
	v_add_u32_e32 v0, s0, v4
	v_mov_b32_e32 v1, 0
	v_lshlrev_b64 v[0:1], 2, v[0:1]
	v_mov_b32_e32 v3, s15
	v_add_co_u32_e32 v0, vcc, s14, v0
	v_addc_co_u32_e32 v1, vcc, v3, v1, vcc
	global_store_dword v[0:1], v2, off
.LBB126_172:
	s_endpgm
	.section	.rodata,"a",@progbits
	.p2align	6, 0x0
	.amdhsa_kernel _ZL13mul_mat_f_idsI15__hip_bfloat162Li64ELi13ELi2EEvPKT_PKfPKiS7_S7_Pfiiiiiiiiiiiiii15HIP_vector_typeIjLj3EESA_
		.amdhsa_group_segment_fixed_size 0
		.amdhsa_private_segment_fixed_size 0
		.amdhsa_kernarg_size 128
		.amdhsa_user_sgpr_count 6
		.amdhsa_user_sgpr_private_segment_buffer 1
		.amdhsa_user_sgpr_dispatch_ptr 0
		.amdhsa_user_sgpr_queue_ptr 0
		.amdhsa_user_sgpr_kernarg_segment_ptr 1
		.amdhsa_user_sgpr_dispatch_id 0
		.amdhsa_user_sgpr_flat_scratch_init 0
		.amdhsa_user_sgpr_kernarg_preload_length 0
		.amdhsa_user_sgpr_kernarg_preload_offset 0
		.amdhsa_user_sgpr_private_segment_size 0
		.amdhsa_uses_dynamic_stack 0
		.amdhsa_system_sgpr_private_segment_wavefront_offset 0
		.amdhsa_system_sgpr_workgroup_id_x 1
		.amdhsa_system_sgpr_workgroup_id_y 1
		.amdhsa_system_sgpr_workgroup_id_z 1
		.amdhsa_system_sgpr_workgroup_info 0
		.amdhsa_system_vgpr_workitem_id 1
		.amdhsa_next_free_vgpr 136
		.amdhsa_next_free_sgpr 96
		.amdhsa_accum_offset 120
		.amdhsa_reserve_vcc 1
		.amdhsa_reserve_flat_scratch 0
		.amdhsa_float_round_mode_32 0
		.amdhsa_float_round_mode_16_64 0
		.amdhsa_float_denorm_mode_32 3
		.amdhsa_float_denorm_mode_16_64 3
		.amdhsa_dx10_clamp 1
		.amdhsa_ieee_mode 1
		.amdhsa_fp16_overflow 0
		.amdhsa_tg_split 0
		.amdhsa_exception_fp_ieee_invalid_op 0
		.amdhsa_exception_fp_denorm_src 0
		.amdhsa_exception_fp_ieee_div_zero 0
		.amdhsa_exception_fp_ieee_overflow 0
		.amdhsa_exception_fp_ieee_underflow 0
		.amdhsa_exception_fp_ieee_inexact 0
		.amdhsa_exception_int_div_zero 0
	.end_amdhsa_kernel
	.section	.text._ZL13mul_mat_f_idsI15__hip_bfloat162Li64ELi13ELi2EEvPKT_PKfPKiS7_S7_Pfiiiiiiiiiiiiii15HIP_vector_typeIjLj3EESA_,"axG",@progbits,_ZL13mul_mat_f_idsI15__hip_bfloat162Li64ELi13ELi2EEvPKT_PKfPKiS7_S7_Pfiiiiiiiiiiiiii15HIP_vector_typeIjLj3EESA_,comdat
.Lfunc_end126:
	.size	_ZL13mul_mat_f_idsI15__hip_bfloat162Li64ELi13ELi2EEvPKT_PKfPKiS7_S7_Pfiiiiiiiiiiiiii15HIP_vector_typeIjLj3EESA_, .Lfunc_end126-_ZL13mul_mat_f_idsI15__hip_bfloat162Li64ELi13ELi2EEvPKT_PKfPKiS7_S7_Pfiiiiiiiiiiiiii15HIP_vector_typeIjLj3EESA_
                                        ; -- End function
	.section	.AMDGPU.csdata,"",@progbits
; Kernel info:
; codeLenInByte = 10256
; NumSgprs: 100
; NumVgprs: 120
; NumAgprs: 16
; TotalNumVgprs: 136
; ScratchSize: 0
; MemoryBound: 0
; FloatMode: 240
; IeeeMode: 1
; LDSByteSize: 0 bytes/workgroup (compile time only)
; SGPRBlocks: 12
; VGPRBlocks: 16
; NumSGPRsForWavesPerEU: 100
; NumVGPRsForWavesPerEU: 136
; AccumOffset: 120
; Occupancy: 3
; WaveLimiterHint : 1
; COMPUTE_PGM_RSRC2:SCRATCH_EN: 0
; COMPUTE_PGM_RSRC2:USER_SGPR: 6
; COMPUTE_PGM_RSRC2:TRAP_HANDLER: 0
; COMPUTE_PGM_RSRC2:TGID_X_EN: 1
; COMPUTE_PGM_RSRC2:TGID_Y_EN: 1
; COMPUTE_PGM_RSRC2:TGID_Z_EN: 1
; COMPUTE_PGM_RSRC2:TIDIG_COMP_CNT: 1
; COMPUTE_PGM_RSRC3_GFX90A:ACCUM_OFFSET: 29
; COMPUTE_PGM_RSRC3_GFX90A:TG_SPLIT: 0
	.section	.text._ZL9mul_mat_fI15__hip_bfloat162Li64ELi13ELi2ELb1EEvPKT_PKfPKiPfiiiiiiiiiiiiiiii,"axG",@progbits,_ZL9mul_mat_fI15__hip_bfloat162Li64ELi13ELi2ELb1EEvPKT_PKfPKiPfiiiiiiiiiiiiiiii,comdat
	.globl	_ZL9mul_mat_fI15__hip_bfloat162Li64ELi13ELi2ELb1EEvPKT_PKfPKiPfiiiiiiiiiiiiiiii ; -- Begin function _ZL9mul_mat_fI15__hip_bfloat162Li64ELi13ELi2ELb1EEvPKT_PKfPKiPfiiiiiiiiiiiiiiii
	.p2align	8
	.type	_ZL9mul_mat_fI15__hip_bfloat162Li64ELi13ELi2ELb1EEvPKT_PKfPKiPfiiiiiiiiiiiiiiii,@function
_ZL9mul_mat_fI15__hip_bfloat162Li64ELi13ELi2ELb1EEvPKT_PKfPKiPfiiiiiiiiiiiiiiii: ; @_ZL9mul_mat_fI15__hip_bfloat162Li64ELi13ELi2ELb1EEvPKT_PKfPKiPfiiiiiiiiiiiiiiii
; %bb.0:
	s_load_dwordx8 s[24:31], s[4:5], 0x20
	v_and_b32_e32 v16, 0x3ff, v0
	v_bfe_u32 v17, v0, 10, 10
	v_cmp_eq_u32_e32 vcc, 0, v16
	s_waitcnt lgkmcnt(0)
	s_add_i32 s0, s25, 12
	s_mul_hi_i32 s0, s0, 0x4ec4ec4f
	s_lshr_b32 s1, s0, 31
	s_ashr_i32 s0, s0, 2
	s_add_i32 s0, s0, s1
	v_cvt_f32_u32_e32 v1, s0
	s_load_dwordx4 s[36:39], s[4:5], 0x44
	s_load_dword s1, s[4:5], 0x64
	s_add_u32 s34, s4, 0x60
	s_addc_u32 s35, s5, 0
	v_rcp_iflag_f32_e32 v1, v1
	s_sub_i32 s2, 0, s0
	v_mul_f32_e32 v1, 0x4f7ffffe, v1
	v_cvt_u32_f32_e32 v1, v1
	v_readfirstlane_b32 s3, v1
	s_mul_i32 s2, s2, s3
	s_mul_hi_u32 s2, s3, s2
	s_add_i32 s3, s3, s2
	s_waitcnt lgkmcnt(0)
	s_mul_hi_u32 s2, s1, s3
	s_mul_i32 s3, s2, s0
	s_sub_i32 s1, s1, s3
	s_add_i32 s9, s2, 1
	s_sub_i32 s3, s1, s0
	s_cmp_ge_u32 s1, s0
	s_cselect_b32 s2, s9, s2
	s_cselect_b32 s1, s3, s1
	s_add_i32 s3, s2, 1
	s_cmp_ge_u32 s1, s0
	s_cselect_b32 s9, s3, s2
	v_cvt_f32_u32_e32 v1, s9
	s_abs_i32 s48, s39
	v_cvt_f32_u32_e32 v2, s48
	s_load_dwordx2 s[0:1], s[4:5], 0x10
	v_rcp_iflag_f32_e32 v1, v1
	s_sub_i32 s2, 0, s9
	v_rcp_iflag_f32_e32 v2, v2
	v_mul_f32_e32 v1, 0x4f7ffffe, v1
	v_cvt_u32_f32_e32 v1, v1
	v_mul_f32_e32 v2, 0x4f7ffffe, v2
	v_cvt_u32_f32_e32 v2, v2
	v_readfirstlane_b32 s3, v1
	s_mul_i32 s2, s2, s3
	s_mul_hi_u32 s2, s3, s2
	s_add_i32 s3, s3, s2
	v_readfirstlane_b32 s33, v2
	s_mul_hi_u32 s10, s7, s3
	s_and_saveexec_b64 s[2:3], vcc
	s_cbranch_execz .LBB127_2
; %bb.1:
	v_mov_b32_e32 v1, 0x100
	v_lshl_add_u32 v1, v17, 2, v1
	v_mov_b32_e32 v2, -1
	ds_write_b32 v1, v2
.LBB127_2:
	s_or_b64 exec, exec, s[2:3]
	s_mul_i32 s2, s10, s9
	s_sub_i32 s2, s7, s2
	s_add_i32 s3, s10, 1
	s_sub_i32 s11, s2, s9
	s_cmp_ge_u32 s2, s9
	s_cselect_b32 s3, s3, s10
	s_cselect_b32 s2, s11, s2
	s_add_i32 s10, s3, 1
	s_cmp_ge_u32 s2, s9
	s_cselect_b32 s2, s10, s3
	s_mul_i32 s3, s2, s9
	s_mul_i32 s9, s2, 13
	s_sub_i32 s7, s7, s3
	s_mul_hi_i32 s3, s9, s31
	s_mul_i32 s2, s9, s31
	s_lshl_b64 s[2:3], s[2:3], 2
	s_waitcnt lgkmcnt(0)
	s_add_u32 s0, s0, s2
	v_add_u32_e32 v1, s9, v17
	s_addc_u32 s1, s1, s3
	v_cmp_gt_i32_e64 s[16:17], s26, v16
	v_cmp_gt_i32_e64 s[50:51], s25, v1
	v_mov_b32_e32 v1, 0
	s_and_saveexec_b64 s[12:13], s[50:51]
	s_cbranch_execz .LBB127_10
; %bb.3:
	v_mov_b32_e32 v1, 0
	s_and_saveexec_b64 s[14:15], s[16:17]
	s_cbranch_execz .LBB127_9
; %bb.4:
	v_mul_lo_u32 v2, v17, s31
	v_ashrrev_i32_e32 v3, 31, v2
	v_lshlrev_b64 v[2:3], 2, v[2:3]
	v_mov_b32_e32 v1, s1
	v_add_co_u32_e64 v4, s[2:3], s0, v2
	v_addc_co_u32_e64 v5, s[2:3], v1, v3, s[2:3]
	v_mov_b32_e32 v1, 0x100
	v_lshl_add_u32 v6, v17, 2, v1
	v_mul_lo_u32 v2, v16, s30
	s_lshl_b32 s22, s30, 6
	s_mov_b64 s[18:19], 0
	v_mov_b32_e32 v1, 0
	v_mov_b32_e32 v7, v16
	s_branch .LBB127_6
.LBB127_5:                              ;   in Loop: Header=BB127_6 Depth=1
	s_or_b64 exec, exec, s[20:21]
	v_add_u32_e32 v7, 64, v7
	v_cmp_le_i32_e64 s[10:11], s26, v7
	s_xor_b64 s[2:3], s[2:3], -1
	s_or_b64 s[2:3], s[2:3], s[10:11]
	s_and_b64 s[2:3], exec, s[2:3]
	s_or_b64 s[18:19], s[2:3], s[18:19]
	v_add_u32_e32 v2, s22, v2
	s_andn2_b64 exec, exec, s[18:19]
	s_cbranch_execz .LBB127_8
.LBB127_6:                              ; =>This Inner Loop Header: Depth=1
	v_ashrrev_i32_e32 v3, 31, v2
	v_lshlrev_b64 v[8:9], 2, v[2:3]
	v_add_co_u32_e64 v8, s[2:3], v4, v8
	v_addc_co_u32_e64 v9, s[2:3], v5, v9, s[2:3]
	global_load_dword v3, v[8:9], off
	s_waitcnt vmcnt(0)
	v_cmp_ne_u32_e64 s[2:3], s7, v3
	v_cmp_eq_u32_e64 s[10:11], s7, v3
	s_and_saveexec_b64 s[20:21], s[10:11]
	s_cbranch_execz .LBB127_5
; %bb.7:                                ;   in Loop: Header=BB127_6 Depth=1
	v_mov_b32_e32 v1, 1
	ds_write_b32 v6, v7
	s_branch .LBB127_5
.LBB127_8:
	s_or_b64 exec, exec, s[18:19]
.LBB127_9:
	s_or_b64 exec, exec, s[14:15]
.LBB127_10:
	s_or_b64 exec, exec, s[12:13]
	s_and_saveexec_b64 s[2:3], vcc
	s_cbranch_execz .LBB127_12
; %bb.11:
	v_mov_b32_e32 v2, 0x100
	v_lshl_add_u32 v2, v17, 2, v2
	v_mov_b32_e32 v3, -1
	ds_write_b32 v2, v3 offset:8
.LBB127_12:
	s_or_b64 exec, exec, s[2:3]
	v_add_u32_e32 v86, 2, v17
	v_add_u32_e32 v2, s9, v86
	v_cmp_gt_i32_e64 s[2:3], s25, v2
	s_mov_b64 s[14:15], exec
                                        ; implicit-def: $vgpr106 : SGPR spill to VGPR lane
	v_writelane_b32 v106, s2, 0
	v_writelane_b32 v106, s3, 1
	s_and_b64 s[2:3], s[14:15], s[2:3]
	s_mov_b64 exec, s[2:3]
	s_cbranch_execz .LBB127_20
; %bb.13:
	s_and_saveexec_b64 s[18:19], s[16:17]
	s_cbranch_execz .LBB127_19
; %bb.14:
	v_mul_lo_u32 v2, v86, s31
	v_ashrrev_i32_e32 v3, 31, v2
	v_lshlrev_b64 v[2:3], 2, v[2:3]
	v_mov_b32_e32 v5, s1
	v_add_co_u32_e64 v4, s[10:11], s0, v2
	v_mov_b32_e32 v2, 0x100
	v_addc_co_u32_e64 v5, s[10:11], v5, v3, s[10:11]
	v_lshl_add_u32 v6, v17, 2, v2
	v_mul_lo_u32 v2, v16, s30
	s_lshl_b32 s2, s30, 6
	s_mov_b64 s[20:21], 0
	v_mov_b32_e32 v7, v16
	s_branch .LBB127_16
.LBB127_15:                             ;   in Loop: Header=BB127_16 Depth=1
	s_or_b64 exec, exec, s[22:23]
	v_add_u32_e32 v7, 64, v7
	v_cmp_le_i32_e64 s[12:13], s26, v7
	s_xor_b64 s[10:11], s[10:11], -1
	s_or_b64 s[10:11], s[10:11], s[12:13]
	s_and_b64 s[10:11], exec, s[10:11]
	s_or_b64 s[20:21], s[10:11], s[20:21]
	v_add_u32_e32 v2, s2, v2
	s_andn2_b64 exec, exec, s[20:21]
	s_cbranch_execz .LBB127_18
.LBB127_16:                             ; =>This Inner Loop Header: Depth=1
	v_ashrrev_i32_e32 v3, 31, v2
	v_lshlrev_b64 v[8:9], 2, v[2:3]
	v_add_co_u32_e64 v8, s[10:11], v4, v8
	v_addc_co_u32_e64 v9, s[10:11], v5, v9, s[10:11]
	global_load_dword v3, v[8:9], off
	s_waitcnt vmcnt(0)
	v_cmp_ne_u32_e64 s[10:11], s7, v3
	v_cmp_eq_u32_e64 s[12:13], s7, v3
	s_and_saveexec_b64 s[22:23], s[12:13]
	s_cbranch_execz .LBB127_15
; %bb.17:                               ;   in Loop: Header=BB127_16 Depth=1
	v_mov_b32_e32 v1, 1
	ds_write_b32 v6, v7 offset:8
	s_branch .LBB127_15
.LBB127_18:
	s_or_b64 exec, exec, s[20:21]
.LBB127_19:
	s_or_b64 exec, exec, s[18:19]
.LBB127_20:
	s_or_b64 exec, exec, s[14:15]
	s_and_saveexec_b64 s[10:11], vcc
	s_cbranch_execz .LBB127_22
; %bb.21:
	v_mov_b32_e32 v2, 0x100
	v_lshl_add_u32 v2, v17, 2, v2
	v_mov_b32_e32 v3, -1
	ds_write_b32 v2, v3 offset:16
.LBB127_22:
	s_or_b64 exec, exec, s[10:11]
	v_add_u32_e32 v87, 4, v17
	v_add_u32_e32 v2, s9, v87
	v_cmp_gt_i32_e64 s[2:3], s25, v2
	s_mov_b64 s[18:19], exec
	v_writelane_b32 v106, s2, 2
	v_writelane_b32 v106, s3, 3
	s_and_b64 s[2:3], s[18:19], s[2:3]
	s_mov_b64 exec, s[2:3]
	s_cbranch_execz .LBB127_30
; %bb.23:
	s_and_saveexec_b64 s[20:21], s[16:17]
	s_cbranch_execz .LBB127_29
; %bb.24:
	v_mul_lo_u32 v2, v87, s31
	v_ashrrev_i32_e32 v3, 31, v2
	v_lshlrev_b64 v[2:3], 2, v[2:3]
	v_mov_b32_e32 v5, s1
	v_add_co_u32_e64 v4, s[10:11], s0, v2
	v_mov_b32_e32 v2, 0x100
	v_addc_co_u32_e64 v5, s[10:11], v5, v3, s[10:11]
	v_lshl_add_u32 v6, v17, 2, v2
	v_mul_lo_u32 v2, v16, s30
	s_lshl_b32 s2, s30, 6
	s_mov_b64 s[22:23], 0
	v_mov_b32_e32 v7, v16
	s_branch .LBB127_26
.LBB127_25:                             ;   in Loop: Header=BB127_26 Depth=1
	s_or_b64 exec, exec, s[40:41]
	v_add_u32_e32 v7, 64, v7
	v_cmp_le_i32_e64 s[12:13], s26, v7
	s_xor_b64 s[10:11], s[10:11], -1
	s_or_b64 s[10:11], s[10:11], s[12:13]
	s_and_b64 s[10:11], exec, s[10:11]
	s_or_b64 s[22:23], s[10:11], s[22:23]
	v_add_u32_e32 v2, s2, v2
	s_andn2_b64 exec, exec, s[22:23]
	s_cbranch_execz .LBB127_28
.LBB127_26:                             ; =>This Inner Loop Header: Depth=1
	v_ashrrev_i32_e32 v3, 31, v2
	v_lshlrev_b64 v[8:9], 2, v[2:3]
	v_add_co_u32_e64 v8, s[10:11], v4, v8
	v_addc_co_u32_e64 v9, s[10:11], v5, v9, s[10:11]
	global_load_dword v3, v[8:9], off
	s_waitcnt vmcnt(0)
	v_cmp_ne_u32_e64 s[10:11], s7, v3
	v_cmp_eq_u32_e64 s[12:13], s7, v3
	s_and_saveexec_b64 s[40:41], s[12:13]
	s_cbranch_execz .LBB127_25
; %bb.27:                               ;   in Loop: Header=BB127_26 Depth=1
	v_mov_b32_e32 v1, 1
	ds_write_b32 v6, v7 offset:16
	s_branch .LBB127_25
.LBB127_28:
	s_or_b64 exec, exec, s[22:23]
.LBB127_29:
	s_or_b64 exec, exec, s[20:21]
.LBB127_30:
	s_or_b64 exec, exec, s[18:19]
	s_and_saveexec_b64 s[10:11], vcc
	s_cbranch_execz .LBB127_32
; %bb.31:
	v_mov_b32_e32 v2, 0x100
	v_lshl_add_u32 v2, v17, 2, v2
	v_mov_b32_e32 v3, -1
	ds_write_b32 v2, v3 offset:24
.LBB127_32:
	s_or_b64 exec, exec, s[10:11]
	v_add_u32_e32 v88, 6, v17
	v_add_u32_e32 v2, s9, v88
	v_cmp_gt_i32_e64 s[2:3], s25, v2
	s_mov_b64 s[18:19], exec
	v_writelane_b32 v106, s2, 4
	v_writelane_b32 v106, s3, 5
	s_and_b64 s[2:3], s[18:19], s[2:3]
	s_mov_b64 exec, s[2:3]
	s_cbranch_execz .LBB127_40
; %bb.33:
	s_and_saveexec_b64 s[22:23], s[16:17]
	s_cbranch_execz .LBB127_39
; %bb.34:
	v_mul_lo_u32 v2, v88, s31
	v_ashrrev_i32_e32 v3, 31, v2
	v_lshlrev_b64 v[2:3], 2, v[2:3]
	v_mov_b32_e32 v5, s1
	v_add_co_u32_e64 v4, s[10:11], s0, v2
	v_mov_b32_e32 v2, 0x100
	v_addc_co_u32_e64 v5, s[10:11], v5, v3, s[10:11]
	v_lshl_add_u32 v6, v17, 2, v2
	v_mul_lo_u32 v2, v16, s30
	s_lshl_b32 s2, s30, 6
	s_mov_b64 s[40:41], 0
	v_mov_b32_e32 v7, v16
	s_branch .LBB127_36
.LBB127_35:                             ;   in Loop: Header=BB127_36 Depth=1
	s_or_b64 exec, exec, s[42:43]
	v_add_u32_e32 v7, 64, v7
	v_cmp_le_i32_e64 s[12:13], s26, v7
	s_xor_b64 s[10:11], s[10:11], -1
	s_or_b64 s[10:11], s[10:11], s[12:13]
	s_and_b64 s[10:11], exec, s[10:11]
	s_or_b64 s[40:41], s[10:11], s[40:41]
	v_add_u32_e32 v2, s2, v2
	s_andn2_b64 exec, exec, s[40:41]
	s_cbranch_execz .LBB127_38
.LBB127_36:                             ; =>This Inner Loop Header: Depth=1
	v_ashrrev_i32_e32 v3, 31, v2
	v_lshlrev_b64 v[8:9], 2, v[2:3]
	v_add_co_u32_e64 v8, s[10:11], v4, v8
	v_addc_co_u32_e64 v9, s[10:11], v5, v9, s[10:11]
	global_load_dword v3, v[8:9], off
	s_waitcnt vmcnt(0)
	v_cmp_ne_u32_e64 s[10:11], s7, v3
	v_cmp_eq_u32_e64 s[12:13], s7, v3
	s_and_saveexec_b64 s[42:43], s[12:13]
	s_cbranch_execz .LBB127_35
; %bb.37:                               ;   in Loop: Header=BB127_36 Depth=1
	v_mov_b32_e32 v1, 1
	ds_write_b32 v6, v7 offset:24
	s_branch .LBB127_35
.LBB127_38:
	s_or_b64 exec, exec, s[40:41]
.LBB127_39:
	s_or_b64 exec, exec, s[22:23]
.LBB127_40:
	s_or_b64 exec, exec, s[18:19]
	s_and_saveexec_b64 s[10:11], vcc
	s_cbranch_execz .LBB127_42
; %bb.41:
	v_mov_b32_e32 v2, 0x100
	v_lshl_add_u32 v2, v17, 2, v2
	v_mov_b32_e32 v3, -1
	ds_write_b32 v2, v3 offset:32
.LBB127_42:
	s_or_b64 exec, exec, s[10:11]
	v_add_u32_e32 v89, 8, v17
	v_add_u32_e32 v2, s9, v89
	v_cmp_gt_i32_e64 s[2:3], s25, v2
	s_mov_b64 s[22:23], exec
	v_writelane_b32 v106, s2, 6
	v_writelane_b32 v106, s3, 7
	s_and_b64 s[2:3], s[22:23], s[2:3]
	s_mov_b64 exec, s[2:3]
	s_cbranch_execz .LBB127_50
; %bb.43:
	s_and_saveexec_b64 s[40:41], s[16:17]
	s_cbranch_execz .LBB127_49
; %bb.44:
	v_mul_lo_u32 v2, v89, s31
	v_ashrrev_i32_e32 v3, 31, v2
	v_lshlrev_b64 v[2:3], 2, v[2:3]
	v_mov_b32_e32 v5, s1
	v_add_co_u32_e64 v4, s[10:11], s0, v2
	v_mov_b32_e32 v2, 0x100
	v_addc_co_u32_e64 v5, s[10:11], v5, v3, s[10:11]
	v_lshl_add_u32 v6, v17, 2, v2
	v_mul_lo_u32 v2, v16, s30
	s_lshl_b32 s2, s30, 6
	s_mov_b64 s[42:43], 0
	v_mov_b32_e32 v7, v16
	s_branch .LBB127_46
.LBB127_45:                             ;   in Loop: Header=BB127_46 Depth=1
	s_or_b64 exec, exec, s[44:45]
	v_add_u32_e32 v7, 64, v7
	v_cmp_le_i32_e64 s[12:13], s26, v7
	s_xor_b64 s[10:11], s[10:11], -1
	s_or_b64 s[10:11], s[10:11], s[12:13]
	s_and_b64 s[10:11], exec, s[10:11]
	s_or_b64 s[42:43], s[10:11], s[42:43]
	v_add_u32_e32 v2, s2, v2
	s_andn2_b64 exec, exec, s[42:43]
	s_cbranch_execz .LBB127_48
.LBB127_46:                             ; =>This Inner Loop Header: Depth=1
	v_ashrrev_i32_e32 v3, 31, v2
	v_lshlrev_b64 v[8:9], 2, v[2:3]
	v_add_co_u32_e64 v8, s[10:11], v4, v8
	v_addc_co_u32_e64 v9, s[10:11], v5, v9, s[10:11]
	global_load_dword v3, v[8:9], off
	s_waitcnt vmcnt(0)
	v_cmp_ne_u32_e64 s[10:11], s7, v3
	v_cmp_eq_u32_e64 s[12:13], s7, v3
	s_and_saveexec_b64 s[44:45], s[12:13]
	s_cbranch_execz .LBB127_45
; %bb.47:                               ;   in Loop: Header=BB127_46 Depth=1
	v_mov_b32_e32 v1, 1
	ds_write_b32 v6, v7 offset:32
	s_branch .LBB127_45
.LBB127_48:
	s_or_b64 exec, exec, s[42:43]
.LBB127_49:
	s_or_b64 exec, exec, s[40:41]
.LBB127_50:
	s_or_b64 exec, exec, s[22:23]
	s_sub_i32 s2, 0, s48
	s_and_saveexec_b64 s[10:11], vcc
	s_cbranch_execz .LBB127_52
; %bb.51:
	v_mov_b32_e32 v2, 0x100
	v_lshl_add_u32 v2, v17, 2, v2
	v_mov_b32_e32 v3, -1
	ds_write_b32 v2, v3 offset:40
.LBB127_52:
	s_or_b64 exec, exec, s[10:11]
	v_add_u32_e32 v90, 10, v17
	s_mul_i32 s2, s2, s33
	v_add_u32_e32 v2, s9, v90
	v_cmp_gt_i32_e64 s[10:11], s25, v2
	s_mov_b64 s[40:41], exec
	v_writelane_b32 v106, s10, 8
	v_writelane_b32 v106, s11, 9
	s_and_b64 s[10:11], s[40:41], s[10:11]
	s_mov_b64 exec, s[10:11]
	s_cbranch_execz .LBB127_60
; %bb.53:
	s_and_saveexec_b64 s[42:43], s[16:17]
	s_cbranch_execz .LBB127_59
; %bb.54:
	v_mul_lo_u32 v2, v90, s31
	v_ashrrev_i32_e32 v3, 31, v2
	v_lshlrev_b64 v[2:3], 2, v[2:3]
	v_mov_b32_e32 v5, s1
	v_add_co_u32_e64 v4, s[12:13], s0, v2
	v_mov_b32_e32 v2, 0x100
	v_addc_co_u32_e64 v5, s[12:13], v5, v3, s[12:13]
	v_lshl_add_u32 v6, v17, 2, v2
	v_mul_lo_u32 v2, v16, s30
	s_lshl_b32 s3, s30, 6
	s_mov_b64 s[44:45], 0
	v_mov_b32_e32 v7, v16
	s_branch .LBB127_56
.LBB127_55:                             ;   in Loop: Header=BB127_56 Depth=1
	s_or_b64 exec, exec, s[46:47]
	v_add_u32_e32 v7, 64, v7
	v_cmp_le_i32_e64 s[22:23], s26, v7
	s_xor_b64 s[10:11], s[12:13], -1
	s_or_b64 s[10:11], s[10:11], s[22:23]
	s_and_b64 s[10:11], exec, s[10:11]
	s_or_b64 s[44:45], s[10:11], s[44:45]
	v_add_u32_e32 v2, s3, v2
	s_andn2_b64 exec, exec, s[44:45]
	s_cbranch_execz .LBB127_58
.LBB127_56:                             ; =>This Inner Loop Header: Depth=1
	v_ashrrev_i32_e32 v3, 31, v2
	v_lshlrev_b64 v[8:9], 2, v[2:3]
	v_add_co_u32_e64 v8, s[12:13], v4, v8
	v_addc_co_u32_e64 v9, s[12:13], v5, v9, s[12:13]
	global_load_dword v3, v[8:9], off
	s_waitcnt vmcnt(0)
	v_cmp_ne_u32_e64 s[12:13], s7, v3
	v_cmp_eq_u32_e64 s[22:23], s7, v3
	s_and_saveexec_b64 s[46:47], s[22:23]
	s_cbranch_execz .LBB127_55
; %bb.57:                               ;   in Loop: Header=BB127_56 Depth=1
	v_mov_b32_e32 v1, 1
	ds_write_b32 v6, v7 offset:40
	s_branch .LBB127_55
.LBB127_58:
	s_or_b64 exec, exec, s[44:45]
.LBB127_59:
	s_or_b64 exec, exec, s[42:43]
.LBB127_60:
	s_or_b64 exec, exec, s[40:41]
	s_mul_hi_u32 s3, s33, s2
	s_and_saveexec_b64 s[12:13], vcc
	s_cbranch_execz .LBB127_62
; %bb.61:
	v_mov_b32_e32 v2, 0x100
	v_lshl_add_u32 v2, v17, 2, v2
	v_mov_b32_e32 v3, -1
	ds_write_b32 v2, v3 offset:48
.LBB127_62:
	s_or_b64 exec, exec, s[12:13]
	s_load_dwordx4 s[40:43], s[4:5], 0x54
	v_add_u32_e32 v91, 12, v17
	s_abs_i32 s2, s8
	s_add_i32 s33, s33, s3
	v_add_u32_e32 v2, s9, v91
	v_cmp_gt_i32_e64 s[10:11], s25, v2
	s_mov_b64 s[22:23], exec
	v_writelane_b32 v106, s10, 10
	v_writelane_b32 v106, s11, 11
	s_and_b64 s[10:11], s[22:23], s[10:11]
	s_mov_b64 exec, s[10:11]
	s_cbranch_execz .LBB127_70
; %bb.63:
	s_and_saveexec_b64 s[44:45], s[16:17]
	s_cbranch_execz .LBB127_69
; %bb.64:
	v_mul_lo_u32 v2, v91, s31
	v_ashrrev_i32_e32 v3, 31, v2
	v_lshlrev_b64 v[2:3], 2, v[2:3]
	v_mov_b32_e32 v5, s1
	v_add_co_u32_e32 v4, vcc, s0, v2
	v_mov_b32_e32 v2, 0x100
	v_addc_co_u32_e32 v5, vcc, v5, v3, vcc
	v_lshl_add_u32 v6, v17, 2, v2
	v_mul_lo_u32 v2, v16, s30
	s_lshl_b32 s0, s30, 6
	s_mov_b64 s[30:31], 0
	v_mov_b32_e32 v7, v16
	s_branch .LBB127_66
.LBB127_65:                             ;   in Loop: Header=BB127_66 Depth=1
	s_or_b64 exec, exec, s[46:47]
	v_add_u32_e32 v7, 64, v7
	v_cmp_le_i32_e64 s[16:17], s26, v7
	s_xor_b64 s[10:11], vcc, -1
	s_or_b64 s[10:11], s[10:11], s[16:17]
	s_and_b64 s[10:11], exec, s[10:11]
	s_or_b64 s[30:31], s[10:11], s[30:31]
	v_add_u32_e32 v2, s0, v2
	s_andn2_b64 exec, exec, s[30:31]
	s_cbranch_execz .LBB127_68
.LBB127_66:                             ; =>This Inner Loop Header: Depth=1
	v_ashrrev_i32_e32 v3, 31, v2
	v_lshlrev_b64 v[8:9], 2, v[2:3]
	v_add_co_u32_e32 v8, vcc, v4, v8
	v_addc_co_u32_e32 v9, vcc, v5, v9, vcc
	global_load_dword v3, v[8:9], off
	s_waitcnt vmcnt(0)
	v_cmp_ne_u32_e32 vcc, s7, v3
	v_cmp_eq_u32_e64 s[16:17], s7, v3
	s_and_saveexec_b64 s[46:47], s[16:17]
	s_cbranch_execz .LBB127_65
; %bb.67:                               ;   in Loop: Header=BB127_66 Depth=1
	v_mov_b32_e32 v1, 1
	ds_write_b32 v6, v7 offset:48
	s_branch .LBB127_65
.LBB127_68:
	s_or_b64 exec, exec, s[30:31]
.LBB127_69:
	s_or_b64 exec, exec, s[44:45]
.LBB127_70:
	s_or_b64 exec, exec, s[22:23]
	s_load_dwordx2 s[10:11], s[34:35], 0xc
	s_load_dwordx4 s[44:47], s[4:5], 0x0
	s_load_dwordx2 s[0:1], s[4:5], 0x18
	v_cmp_ne_u32_e32 vcc, 0, v1
	v_cndmask_b32_e64 v1, 0, 1, vcc
                                        ; kill: killed $sgpr4 killed $sgpr5
	s_waitcnt lgkmcnt(0)
	s_lshr_b32 s4, s10, 16
	s_and_b32 s3, s10, 0xffff
	v_or_b32_dpp v1, v1, v1 row_shl:1 row_mask:0xf bank_mask:0xf bound_ctrl:1
	v_writelane_b32 v106, s0, 12
	s_mul_i32 s5, s4, s3
	v_or_b32_dpp v1, v1, v1 row_shl:2 row_mask:0xf bank_mask:0xf bound_ctrl:1
	v_writelane_b32 v106, s1, 13
	s_and_b32 s1, s11, 0xffff
	v_or_b32_dpp v1, v1, v1 row_shl:4 row_mask:0xf bank_mask:0xf bound_ctrl:1
	s_bfe_i32 s5, s5, 0x180000
	s_mul_i32 s1, s5, s1
	v_or_b32_dpp v1, v1, v1 row_shl:8 row_mask:0xf bank_mask:0xf bound_ctrl:1
	s_add_i32 s5, s1, 63
	s_bitcmp1_b32 exec_hi, 0
	v_mov_b32_dpp v2, v1 wave_shl:1 row_mask:0xf bank_mask:0xf bound_ctrl:1
	s_mul_hi_u32 s0, s2, s33
                                        ; kill: killed $sgpr34 killed $sgpr35
	s_nop 0
	v_or_b32_dpp v1, v2, v1 row_mirror row_mask:0xf bank_mask:0xf bound_ctrl:1
	v_readlane_b32 s1, v1, 32
	s_cselect_b32 s1, s1, 0
	v_readlane_b32 s10, v1, 0
	s_or_b32 s1, s1, s10
	s_andn2_b32 s5, s5, 63
	s_cmp_lg_u32 s5, 64
	v_mov_b32_e32 v1, s1
	s_cbranch_scc0 .LBB127_77
; %bb.71:
	v_bfe_u32 v0, v0, 20, 10
	v_mbcnt_lo_u32_b32 v1, -1, 0
	v_mad_u32_u24 v0, v0, s4, v17
	v_mbcnt_hi_u32_b32 v2, -1, v1
	v_mad_u64_u32 v[0:1], s[4:5], v0, s3, v[16:17]
	v_lshrrev_b32_e32 v1, 6, v0
	v_or_b32_e32 v1, v2, v1
	v_cmp_eq_u32_e32 vcc, 0, v1
	s_and_saveexec_b64 s[4:5], vcc
	s_cbranch_execz .LBB127_73
; %bb.72:
	v_mov_b32_e32 v1, 0
	v_mov_b32_e32 v3, s1
	ds_write_b32 v1, v3
.LBB127_73:
	s_or_b64 exec, exec, s[4:5]
	v_cmp_eq_u32_e32 vcc, 0, v2
	v_cmp_lt_u32_e64 s[4:5], 63, v0
	s_and_b64 s[10:11], s[4:5], vcc
	s_waitcnt lgkmcnt(0)
	s_barrier
	s_and_saveexec_b64 s[4:5], s[10:11]
	s_cbranch_execz .LBB127_76
; %bb.74:
	v_mbcnt_lo_u32_b32 v0, exec_lo, 0
	v_mbcnt_hi_u32_b32 v0, exec_hi, v0
	v_cmp_eq_u32_e32 vcc, 0, v0
	s_and_b64 exec, exec, vcc
	s_cbranch_execz .LBB127_76
; %bb.75:
	v_mov_b32_e32 v0, 0
	v_mov_b32_e32 v1, s1
	ds_or_b32 v0, v1
.LBB127_76:
	s_or_b64 exec, exec, s[4:5]
	v_mov_b32_e32 v0, 0
	s_waitcnt lgkmcnt(0)
	s_barrier
	ds_read_b32 v1, v0
	s_waitcnt lgkmcnt(0)
	s_barrier
.LBB127_77:
	v_cmp_ne_u32_e32 vcc, 0, v1
	s_ashr_i32 s1, s8, 31
	s_ashr_i32 s3, s39, 31
	s_cbranch_vccz .LBB127_254
; %bb.78:
	v_lshlrev_b32_e32 v92, 6, v17
	v_add_u32_e32 v94, v92, v16
	v_cmp_le_i32_e32 vcc, s24, v94
	v_and_b32_e32 v93, 15, v16
                                        ; implicit-def: $sgpr10
	s_and_saveexec_b64 s[4:5], vcc
	s_xor_b64 s[4:5], exec, s[4:5]
; %bb.79:
	v_and_b32_e32 v93, 15, v16
	s_mov_b32 s10, 0
                                        ; implicit-def: $vgpr94
; %bb.80:
	s_or_saveexec_b64 s[4:5], s[4:5]
	s_lshl_b32 s6, s6, 6
	v_accvgpr_write_b32 a8, s10
	v_accvgpr_write_b32 a9, s10
	;; [unrolled: 1-line block ×16, first 2 shown]
	v_writelane_b32 v106, s4, 14
	v_writelane_b32 v106, s5, 15
	s_xor_b64 exec, exec, s[4:5]
	s_cbranch_execz .LBB127_227
; %bb.81:
	s_xor_b32 s1, s1, s3
	s_mul_i32 s3, s0, s48
	s_sub_i32 s2, s2, s3
	s_add_i32 s3, s0, 1
	s_sub_i32 s4, s2, s48
	s_cmp_ge_u32 s2, s48
	s_cselect_b32 s0, s3, s0
	s_cselect_b32 s2, s4, s2
	s_add_i32 s3, s0, 1
	s_cmp_ge_u32 s2, s48
	s_cselect_b32 s0, s3, s0
	s_xor_b32 s0, s0, s1
	s_sub_i32 s0, s0, s1
	s_mul_hi_i32 s1, s0, s40
	s_mul_i32 s0, s0, s40
	s_mul_i32 s2, s7, s36
	v_writelane_b32 v106, s50, 16
	s_ashr_i32 s3, s2, 31
	s_lshl_b64 s[0:1], s[0:1], 2
	v_writelane_b32 v106, s51, 17
	s_add_u32 s5, s44, s0
	v_writelane_b32 v106, s6, 18
	s_mul_i32 s4, s6, s27
	s_addc_u32 s6, s45, s1
	s_lshl_b64 s[2:3], s[2:3], 2
	s_add_u32 s7, s5, s2
	s_addc_u32 s6, s6, s3
	s_ashr_i32 s5, s4, 31
	s_lshl_b64 s[4:5], s[4:5], 2
	s_add_u32 s36, s7, s4
	s_addc_u32 s12, s6, s5
	s_movk_i32 s6, 0x1080
	v_mov_b32_e32 v95, 0x100
	v_writelane_b32 v106, s8, 19
	v_mad_u32_u24 v0, v17, s6, v95
	s_mul_hi_i32 s7, s41, s8
	v_writelane_b32 v106, s40, 20
	s_mul_i32 s6, s41, s8
	s_mul_hi_i32 s11, s28, s9
	s_mul_i32 s10, s28, s9
	s_lshl_b64 s[10:11], s[10:11], 3
	s_lshl_b64 s[6:7], s[6:7], 2
	s_add_u32 s6, s46, s6
	v_writelane_b32 v106, s41, 21
	s_addc_u32 s7, s47, s7
	v_writelane_b32 v106, s42, 22
	s_add_u32 s39, s6, s10
	v_writelane_b32 v106, s43, 23
	s_addc_u32 s43, s7, s11
	s_cmp_lt_i32 s9, s25
	s_cselect_b64 s[6:7], -1, 0
	s_add_i32 s10, s9, 1
	s_cmp_lt_i32 s10, s25
	s_cselect_b64 s[22:23], -1, 0
	s_add_i32 s10, s9, 2
	s_cmp_lt_i32 s10, s25
	s_cselect_b64 s[30:31], -1, 0
	s_lshl_b32 s8, s28, 2
	s_add_i32 s10, s9, 3
	s_cmp_lt_i32 s10, s25
	s_cselect_b64 s[34:35], -1, 0
	s_add_i32 s10, s9, 4
	s_cmp_lt_i32 s10, s25
	v_writelane_b32 v106, s8, 24
	s_cselect_b64 s[40:41], -1, 0
	s_lshl_b32 s8, s28, 3
	s_add_i32 s10, s9, 5
	s_cmp_lt_i32 s10, s25
	s_cselect_b64 s[46:47], -1, 0
	s_add_i32 s10, s9, 6
	s_cmp_lt_i32 s10, s25
	s_cselect_b64 s[48:49], -1, 0
	;; [unrolled: 3-line block ×3, first 2 shown]
	s_add_i32 s10, s9, 8
	v_writelane_b32 v106, s8, 25
	s_mul_i32 s8, s28, 6
	s_cmp_lt_i32 s10, s25
	v_writelane_b32 v106, s8, 26
	s_cselect_b64 s[52:53], -1, 0
	s_lshl_b32 s8, s28, 4
	s_add_i32 s10, s9, 9
	s_cmp_lt_i32 s10, s25
	s_cselect_b64 s[54:55], -1, 0
	s_add_i32 s10, s9, 10
	s_cmp_lt_i32 s10, s25
	s_cselect_b64 s[56:57], -1, 0
	;; [unrolled: 3-line block ×4, first 2 shown]
	s_ashr_i32 s11, s27, 31
	s_mov_b32 s10, s27
	s_lshl_b64 s[62:63], s[10:11], 2
	s_add_u32 s0, s0, s4
	v_lshrrev_b32_e32 v2, 1, v16
	s_addc_u32 s1, s1, s5
	v_mul_u32_u24_e32 v1, 0x108, v93
	v_and_b32_e32 v2, 0x1f8, v2
	s_add_u32 s0, s0, s2
	v_lshl_add_u32 v96, v16, 2, v0
	v_add3_u32 v97, v0, v1, v2
	v_writelane_b32 v106, s8, 27
	s_mul_i32 s8, s28, 10
	v_lshlrev_b32_e32 v0, 1, v16
	s_addc_u32 s1, s1, s3
	v_writelane_b32 v106, s8, 28
	s_mul_i32 s8, s28, 12
	v_lshl_add_u32 v98, v17, 7, v0
	v_lshlrev_b32_e32 v0, 2, v94
	s_add_u32 s0, s44, s0
	v_writelane_b32 v106, s8, 29
	v_add_co_u32_e32 v18, vcc, s0, v0
	s_mul_i32 s0, s28, 24
	v_writelane_b32 v106, s0, 30
	s_mul_i32 s0, s28, 22
	v_writelane_b32 v106, s0, 31
	;; [unrolled: 2-line block ×4, first 2 shown]
	s_mul_i32 s0, s28, 14
	s_addc_u32 s1, s45, s1
	v_writelane_b32 v106, s0, 34
	s_lshl_b32 s0, s28, 1
	v_writelane_b32 v106, s0, 35
	s_mul_i32 s0, s27, 3
	v_writelane_b32 v106, s0, 36
	s_mul_i32 s0, s27, 5
	;; [unrolled: 2-line block ×8, first 2 shown]
	v_mov_b32_e32 v1, s1
	v_writelane_b32 v106, s0, 43
	s_mul_i32 s0, s27, 13
	v_addc_co_u32_e32 v19, vcc, 0, v1, vcc
	s_lshl_b32 s74, s27, 1
	s_lshl_b32 s76, s27, 2
	;; [unrolled: 1-line block ×3, first 2 shown]
	v_writelane_b32 v106, s0, 44
	s_mul_i32 s86, s27, 14
	s_mul_i32 s87, s27, 15
	s_lshl_b32 s88, s27, 4
	v_mov_b32_e32 v99, s12
	s_mul_i32 s89, s27, 17
	v_mov_b32_e32 v100, 0
	v_accvgpr_write_b32 a15, 0
	v_accvgpr_write_b32 a14, 0
	;; [unrolled: 1-line block ×16, first 2 shown]
	v_mov_b32_e32 v101, s63
	s_mul_i32 s63, s27, 18
	s_mul_i32 s90, s27, 19
	;; [unrolled: 1-line block ×14, first 2 shown]
	s_lshl_b32 s69, s27, 5
	s_mul_i32 s70, s27, 33
	s_mul_i32 s71, s27, 34
	;; [unrolled: 1-line block ×31, first 2 shown]
	s_mov_b32 s83, 0x7f800000
	s_movk_i32 s84, 0x7fff
	s_mov_b32 s85, 0x7060302
	s_mov_b64 s[26:27], 0
	s_branch .LBB127_83
.LBB127_82:                             ;   in Loop: Header=BB127_83 Depth=1
	s_or_b64 exec, exec, s[44:45]
	v_perm_b32 v84, v84, v102, s85
	v_add_u32_e32 v85, 0xc00, v96
	ds_write2_b32 v85, v84, v100 offset0:40 offset1:106
	ds_write2_b32 v85, v100, v100 offset0:172 offset1:238
	ds_read2_b64 v[102:105], v97 offset0:8 offset1:12
	v_accvgpr_write_b32 a0, v0
	v_accvgpr_write_b32 a4, v4
	;; [unrolled: 1-line block ×16, first 2 shown]
	s_waitcnt lgkmcnt(0)
	v_mfma_f32_16x16x16bf16_1k a[0:3], v[34:35], v[102:103], a[0:3]
	ds_read2_b64 v[0:3], v97 offset0:16 offset1:20
	v_add_co_u32_e32 v18, vcc, 0x200, v18
	v_add_u32_e32 v94, 0x80, v94
	v_addc_co_u32_e32 v19, vcc, 0, v19, vcc
	v_cmp_le_i32_e32 vcc, s24, v94
	v_mfma_f32_16x16x16bf16_1k a[4:7], v[52:53], v[102:103], a[4:7]
	v_add_u32_e32 v98, 0x100, v98
	s_or_b64 s[26:27], vcc, s[26:27]
	v_mfma_f32_16x16x16bf16_1k a[8:11], v[66:67], v[102:103], a[8:11]
	v_mfma_f32_16x16x16bf16_1k a[12:15], v[82:83], v[102:103], a[12:15]
	;; [unrolled: 1-line block ×6, first 2 shown]
	s_waitcnt lgkmcnt(0)
	v_mfma_f32_16x16x16bf16_1k a[0:3], v[28:29], v[0:1], a[0:3]
	v_mfma_f32_16x16x16bf16_1k a[4:7], v[46:47], v[0:1], a[4:7]
	;; [unrolled: 1-line block ×8, first 2 shown]
	ds_read2_b64 v[0:3], v97 offset0:24 offset1:28
	s_waitcnt lgkmcnt(0)
	v_mfma_f32_16x16x16bf16_1k a[0:3], v[30:31], v[0:1], a[0:3]
	v_mfma_f32_16x16x16bf16_1k a[4:7], v[42:43], v[0:1], a[4:7]
	;; [unrolled: 1-line block ×8, first 2 shown]
	ds_read2_b64 v[0:3], v97 offset0:32 offset1:36
	s_waitcnt lgkmcnt(0)
	v_mfma_f32_16x16x16bf16_1k a[0:3], v[22:23], v[0:1], a[0:3]
	v_mfma_f32_16x16x16bf16_1k a[4:7], v[38:39], v[0:1], a[4:7]
	;; [unrolled: 1-line block ×8, first 2 shown]
	s_andn2_b64 exec, exec, s[26:27]
	s_cbranch_execz .LBB127_226
.LBB127_83:                             ; =>This Inner Loop Header: Depth=1
	v_add_co_u32_e32 v0, vcc, s62, v18
	v_addc_co_u32_e32 v1, vcc, v19, v101, vcc
	global_load_dword v20, v[18:19], off
	global_load_dword v21, v[0:1], off
	v_add_u32_e32 v0, s74, v94
	v_ashrrev_i32_e32 v1, 31, v0
	v_readlane_b32 s44, v106, 36
	v_lshlrev_b64 v[0:1], 2, v[0:1]
	v_add_u32_e32 v2, s44, v94
	v_add_co_u32_e32 v0, vcc, s36, v0
	v_ashrrev_i32_e32 v3, 31, v2
	v_addc_co_u32_e32 v1, vcc, v99, v1, vcc
	v_lshlrev_b64 v[2:3], 2, v[2:3]
	v_add_u32_e32 v4, s76, v94
	v_add_co_u32_e32 v2, vcc, s36, v2
	v_ashrrev_i32_e32 v5, 31, v4
	v_readlane_b32 s44, v106, 37
	v_addc_co_u32_e32 v3, vcc, v99, v3, vcc
	v_lshlrev_b64 v[4:5], 2, v[4:5]
	v_add_u32_e32 v6, s44, v94
	v_add_co_u32_e32 v4, vcc, s36, v4
	v_ashrrev_i32_e32 v7, 31, v6
	v_readlane_b32 s44, v106, 38
	;; [unrolled: 6-line block ×3, first 2 shown]
	v_addc_co_u32_e32 v7, vcc, v99, v7, vcc
	v_lshlrev_b64 v[8:9], 2, v[8:9]
	v_add_u32_e32 v10, s44, v94
	v_add_co_u32_e32 v8, vcc, s36, v8
	v_ashrrev_i32_e32 v11, 31, v10
	v_addc_co_u32_e32 v9, vcc, v99, v9, vcc
	v_lshlrev_b64 v[10:11], 2, v[10:11]
	v_add_u32_e32 v12, s80, v94
	v_add_co_u32_e32 v10, vcc, s36, v10
	v_ashrrev_i32_e32 v13, 31, v12
	v_readlane_b32 s44, v106, 40
	v_addc_co_u32_e32 v11, vcc, v99, v11, vcc
	v_lshlrev_b64 v[12:13], 2, v[12:13]
	v_add_u32_e32 v14, s44, v94
	v_add_co_u32_e32 v12, vcc, s36, v12
	v_ashrrev_i32_e32 v15, 31, v14
	v_addc_co_u32_e32 v13, vcc, v99, v13, vcc
	v_lshlrev_b64 v[14:15], 2, v[14:15]
	v_add_co_u32_e32 v14, vcc, s36, v14
	v_readlane_b32 s44, v106, 41
	v_addc_co_u32_e32 v15, vcc, v99, v15, vcc
	global_load_dword v22, v[0:1], off
	global_load_dword v23, v[2:3], off
	;; [unrolled: 1-line block ×6, first 2 shown]
	s_nop 0
	global_load_dword v12, v[12:13], off
	s_nop 0
	global_load_dword v13, v[14:15], off
	v_add_u32_e32 v0, s44, v94
	v_ashrrev_i32_e32 v1, 31, v0
	v_readlane_b32 s44, v106, 42
	v_lshlrev_b64 v[0:1], 2, v[0:1]
	v_add_u32_e32 v2, s44, v94
	v_add_co_u32_e32 v0, vcc, s36, v0
	v_ashrrev_i32_e32 v3, 31, v2
	v_readlane_b32 s44, v106, 43
	v_addc_co_u32_e32 v1, vcc, v99, v1, vcc
	v_lshlrev_b64 v[2:3], 2, v[2:3]
	v_add_u32_e32 v4, s44, v94
	v_add_co_u32_e32 v2, vcc, s36, v2
	v_ashrrev_i32_e32 v5, 31, v4
	v_readlane_b32 s44, v106, 44
	v_addc_co_u32_e32 v3, vcc, v99, v3, vcc
	v_lshlrev_b64 v[4:5], 2, v[4:5]
	v_add_u32_e32 v6, s44, v94
	v_add_co_u32_e32 v4, vcc, s36, v4
	v_ashrrev_i32_e32 v7, 31, v6
	v_addc_co_u32_e32 v5, vcc, v99, v5, vcc
	v_lshlrev_b64 v[6:7], 2, v[6:7]
	v_add_u32_e32 v8, s86, v94
	v_add_co_u32_e32 v6, vcc, s36, v6
	v_ashrrev_i32_e32 v9, 31, v8
	;; [unrolled: 5-line block ×3, first 2 shown]
	v_addc_co_u32_e32 v9, vcc, v99, v9, vcc
	v_lshlrev_b64 v[10:11], 2, v[10:11]
	v_add_co_u32_e32 v10, vcc, s36, v10
	v_addc_co_u32_e32 v11, vcc, v99, v11, vcc
	global_load_dword v14, v[0:1], off
	global_load_dword v15, v[2:3], off
	s_nop 0
	global_load_dword v4, v[4:5], off
	s_nop 0
	;; [unrolled: 2-line block ×3, first 2 shown]
	global_load_dword v6, v[8:9], off
	global_load_dword v7, v[10:11], off
	v_add_u32_e32 v0, s88, v94
	v_ashrrev_i32_e32 v1, 31, v0
	v_lshlrev_b64 v[0:1], 2, v[0:1]
	v_add_u32_e32 v2, s89, v94
	v_add_co_u32_e32 v0, vcc, s36, v0
	v_ashrrev_i32_e32 v3, 31, v2
	v_addc_co_u32_e32 v1, vcc, v99, v1, vcc
	v_lshlrev_b64 v[2:3], 2, v[2:3]
	s_waitcnt vmcnt(15)
	ds_write_b32 v96, v20 offset:64
	s_waitcnt vmcnt(14)
	ds_write_b32 v96, v21 offset:328
	;; [unrolled: 2-line block ×10, first 2 shown]
	v_add_co_u32_e32 v2, vcc, s36, v2
	v_addc_co_u32_e32 v3, vcc, v99, v3, vcc
	global_load_dword v0, v[0:1], off
	s_nop 0
	global_load_dword v1, v[2:3], off
	v_add_u32_e32 v2, s63, v94
	v_ashrrev_i32_e32 v3, 31, v2
	s_waitcnt vmcnt(7)
	ds_write_b32 v96, v14 offset:2704
	s_waitcnt vmcnt(6)
	ds_write_b32 v96, v15 offset:2968
	;; [unrolled: 2-line block ×6, first 2 shown]
	v_lshlrev_b64 v[2:3], 2, v[2:3]
	v_add_u32_e32 v4, s90, v94
	v_add_co_u32_e32 v2, vcc, s36, v2
	v_ashrrev_i32_e32 v5, 31, v4
	v_addc_co_u32_e32 v3, vcc, v99, v3, vcc
	v_lshlrev_b64 v[4:5], 2, v[4:5]
	v_add_u32_e32 v6, s91, v94
	v_add_co_u32_e32 v4, vcc, s36, v4
	v_ashrrev_i32_e32 v7, 31, v6
	v_addc_co_u32_e32 v5, vcc, v99, v5, vcc
	v_lshlrev_b64 v[6:7], 2, v[6:7]
	v_add_u32_e32 v8, s92, v94
	v_add_co_u32_e32 v6, vcc, s36, v6
	v_ashrrev_i32_e32 v9, 31, v8
	v_addc_co_u32_e32 v7, vcc, v99, v7, vcc
	v_lshlrev_b64 v[8:9], 2, v[8:9]
	v_add_u32_e32 v10, s93, v94
	v_add_co_u32_e32 v8, vcc, s36, v8
	v_ashrrev_i32_e32 v11, 31, v10
	v_addc_co_u32_e32 v9, vcc, v99, v9, vcc
	v_lshlrev_b64 v[10:11], 2, v[10:11]
	v_add_u32_e32 v12, s94, v94
	v_add_co_u32_e32 v10, vcc, s36, v10
	v_ashrrev_i32_e32 v13, 31, v12
	v_addc_co_u32_e32 v11, vcc, v99, v11, vcc
	v_lshlrev_b64 v[12:13], 2, v[12:13]
	v_add_u32_e32 v14, s95, v94
	v_add_co_u32_e32 v12, vcc, s36, v12
	v_ashrrev_i32_e32 v15, 31, v14
	v_addc_co_u32_e32 v13, vcc, v99, v13, vcc
	v_lshlrev_b64 v[14:15], 2, v[14:15]
	v_add_u32_e32 v20, s16, v94
	v_add_co_u32_e32 v14, vcc, s36, v14
	v_ashrrev_i32_e32 v21, 31, v20
	v_addc_co_u32_e32 v15, vcc, v99, v15, vcc
	v_lshlrev_b64 v[20:21], 2, v[20:21]
	v_add_co_u32_e32 v20, vcc, s36, v20
	v_addc_co_u32_e32 v21, vcc, v99, v21, vcc
	global_load_dword v36, v[2:3], off
	global_load_dword v37, v[4:5], off
	global_load_dword v38, v[6:7], off
	global_load_dword v39, v[8:9], off
	global_load_dword v40, v[10:11], off
	global_load_dword v41, v[12:13], off
	global_load_dword v42, v[14:15], off
	global_load_dword v43, v[20:21], off
	v_add_u32_e32 v2, s17, v94
	v_ashrrev_i32_e32 v3, 31, v2
	v_lshlrev_b64 v[2:3], 2, v[2:3]
	v_add_u32_e32 v4, s33, v94
	v_add_co_u32_e32 v2, vcc, s36, v2
	v_ashrrev_i32_e32 v5, 31, v4
	v_addc_co_u32_e32 v3, vcc, v99, v3, vcc
	v_lshlrev_b64 v[4:5], 2, v[4:5]
	v_add_u32_e32 v6, s42, v94
	v_add_co_u32_e32 v4, vcc, s36, v4
	v_ashrrev_i32_e32 v7, 31, v6
	v_addc_co_u32_e32 v5, vcc, v99, v5, vcc
	v_lshlrev_b64 v[6:7], 2, v[6:7]
	v_add_u32_e32 v8, s66, v94
	v_add_co_u32_e32 v6, vcc, s36, v6
	v_ashrrev_i32_e32 v9, 31, v8
	v_addc_co_u32_e32 v7, vcc, v99, v7, vcc
	v_lshlrev_b64 v[8:9], 2, v[8:9]
	v_add_u32_e32 v10, s68, v94
	v_add_co_u32_e32 v8, vcc, s36, v8
	v_ashrrev_i32_e32 v11, 31, v10
	v_addc_co_u32_e32 v9, vcc, v99, v9, vcc
	v_lshlrev_b64 v[10:11], 2, v[10:11]
	v_add_u32_e32 v12, s25, v94
	v_add_co_u32_e32 v10, vcc, s36, v10
	v_ashrrev_i32_e32 v13, 31, v12
	v_addc_co_u32_e32 v11, vcc, v99, v11, vcc
	v_lshlrev_b64 v[12:13], 2, v[12:13]
	v_add_u32_e32 v14, s69, v94
	v_add_co_u32_e32 v12, vcc, s36, v12
	v_ashrrev_i32_e32 v15, 31, v14
	v_addc_co_u32_e32 v13, vcc, v99, v13, vcc
	v_lshlrev_b64 v[14:15], 2, v[14:15]
	v_add_u32_e32 v20, s70, v94
	v_add_co_u32_e32 v14, vcc, s36, v14
	v_ashrrev_i32_e32 v21, 31, v20
	v_addc_co_u32_e32 v15, vcc, v99, v15, vcc
	v_lshlrev_b64 v[20:21], 2, v[20:21]
	v_add_co_u32_e32 v20, vcc, s36, v20
	v_addc_co_u32_e32 v21, vcc, v99, v21, vcc
	global_load_dword v44, v[2:3], off
	global_load_dword v45, v[4:5], off
	global_load_dword v46, v[6:7], off
	global_load_dword v47, v[8:9], off
	global_load_dword v48, v[10:11], off
	global_load_dword v49, v[12:13], off
	global_load_dword v54, v[14:15], off
	global_load_dword v55, v[20:21], off
	v_add_u32_e32 v2, s71, v94
	v_ashrrev_i32_e32 v3, 31, v2
	;; [unrolled: 48-line block ×5, first 2 shown]
	v_lshlrev_b64 v[2:3], 2, v[2:3]
	v_add_u32_e32 v4, s77, v94
	v_add_co_u32_e32 v2, vcc, s36, v2
	v_ashrrev_i32_e32 v5, 31, v4
	v_addc_co_u32_e32 v3, vcc, v99, v3, vcc
	v_lshlrev_b64 v[4:5], 2, v[4:5]
	v_add_u32_e32 v6, s78, v94
	v_add_co_u32_e32 v4, vcc, s36, v4
	v_ashrrev_i32_e32 v7, 31, v6
	v_addc_co_u32_e32 v5, vcc, v99, v5, vcc
	;; [unrolled: 5-line block ×5, first 2 shown]
	v_lshlrev_b64 v[12:13], 2, v[12:13]
	v_add_co_u32_e32 v12, vcc, s36, v12
	v_addc_co_u32_e32 v13, vcc, v99, v13, vcc
	ds_read_b64 v[34:35], v97 offset:64
	ds_read_b64 v[32:33], v97 offset:96
	;; [unrolled: 1-line block ×4, first 2 shown]
	global_load_dword v80, v[2:3], off
	global_load_dword v81, v[4:5], off
	;; [unrolled: 1-line block ×6, first 2 shown]
	ds_read_b64 v[30:31], v97 offset:192
	ds_read_b64 v[26:27], v97 offset:224
	ds_read_b64 v[22:23], v97 offset:256
	ds_read_b64 v[20:21], v97 offset:288
	s_waitcnt vmcnt(47)
	ds_write_b32 v96, v0 offset:64
	s_waitcnt vmcnt(46)
	ds_write_b32 v96, v1 offset:328
	s_waitcnt vmcnt(45)
	ds_write_b32 v96, v36 offset:592
	s_waitcnt vmcnt(44)
	ds_write_b32 v96, v37 offset:856
	s_waitcnt vmcnt(43)
	ds_write_b32 v96, v38 offset:1120
	s_waitcnt vmcnt(42)
	ds_write_b32 v96, v39 offset:1384
	s_waitcnt vmcnt(41)
	ds_write_b32 v96, v40 offset:1648
	s_waitcnt vmcnt(40)
	ds_write_b32 v96, v41 offset:1912
	s_waitcnt vmcnt(39)
	ds_write_b32 v96, v42 offset:2176
	s_waitcnt vmcnt(38)
	ds_write_b32 v96, v43 offset:2440
	s_waitcnt vmcnt(37)
	ds_write_b32 v96, v44 offset:2704
	s_waitcnt vmcnt(36)
	ds_write_b32 v96, v45 offset:2968
	s_waitcnt vmcnt(35)
	ds_write_b32 v96, v46 offset:3232
	s_waitcnt vmcnt(34)
	ds_write_b32 v96, v47 offset:3496
	s_waitcnt vmcnt(33)
	ds_write_b32 v96, v48 offset:3760
	s_waitcnt vmcnt(32)
	ds_write_b32 v96, v49 offset:4024
	ds_read_b64 v[52:53], v97 offset:64
	ds_read_b64 v[50:51], v97 offset:96
	ds_read_b64 v[46:47], v97 offset:128
	ds_read_b64 v[44:45], v97 offset:160
	ds_read_b64 v[42:43], v97 offset:192
	ds_read_b64 v[40:41], v97 offset:224
	ds_read_b64 v[38:39], v97 offset:256
	ds_read_b64 v[36:37], v97 offset:288
	s_waitcnt vmcnt(31)
	ds_write_b32 v96, v54 offset:64
	s_waitcnt vmcnt(30)
	ds_write_b32 v96, v55 offset:328
	s_waitcnt vmcnt(29)
	ds_write_b32 v96, v56 offset:592
	s_waitcnt vmcnt(28)
	ds_write_b32 v96, v57 offset:856
	s_waitcnt vmcnt(27)
	ds_write_b32 v96, v58 offset:1120
	s_waitcnt vmcnt(26)
	ds_write_b32 v96, v59 offset:1384
	s_waitcnt vmcnt(25)
	ds_write_b32 v96, v60 offset:1648
	s_waitcnt vmcnt(24)
	ds_write_b32 v96, v61 offset:1912
	s_waitcnt vmcnt(23)
	ds_write_b32 v96, v62 offset:2176
	s_waitcnt vmcnt(22)
	ds_write_b32 v96, v63 offset:2440
	s_waitcnt vmcnt(21)
	ds_write_b32 v96, v64 offset:2704
	s_waitcnt vmcnt(20)
	ds_write_b32 v96, v65 offset:2968
	s_waitcnt vmcnt(19)
	ds_write_b32 v96, v66 offset:3232
	s_waitcnt vmcnt(18)
	ds_write_b32 v96, v67 offset:3496
	s_waitcnt vmcnt(17)
	ds_write_b32 v96, v68 offset:3760
	s_waitcnt vmcnt(16)
	ds_write_b32 v96, v69 offset:4024
	ds_read_b64 v[66:67], v97 offset:64
	ds_read_b64 v[64:65], v97 offset:96
	ds_read_b64 v[62:63], v97 offset:128
	ds_read_b64 v[60:61], v97 offset:160
	;; [unrolled: 40-line block ×3, first 2 shown]
	ds_read_b64 v[78:79], v97 offset:192
	ds_read_b64 v[74:75], v97 offset:224
	;; [unrolled: 1-line block ×4, first 2 shown]
	v_accvgpr_read_b32 v3, a15
	v_accvgpr_read_b32 v2, a14
	;; [unrolled: 1-line block ×16, first 2 shown]
	s_andn2_b64 vcc, exec, s[6:7]
	v_mov_b32_e32 v84, 0
	v_mov_b32_e32 v85, 0
	s_cbranch_vccnz .LBB127_86
; %bb.84:                               ;   in Loop: Header=BB127_83 Depth=1
	ds_read_b32 v102, v95
	v_mov_b32_e32 v85, 0
	v_mov_b32_e32 v84, 0
	s_waitcnt lgkmcnt(0)
	v_cmp_gt_i32_e32 vcc, 0, v102
	s_cbranch_vccnz .LBB127_86
; %bb.85:                               ;   in Loop: Header=BB127_83 Depth=1
	v_mul_lo_u32 v84, v102, s37
	v_add_u32_e32 v84, v98, v84
	v_ashrrev_i32_e32 v85, 31, v84
	v_lshlrev_b64 v[84:85], 2, v[84:85]
	v_mov_b32_e32 v102, s43
	v_add_co_u32_e32 v84, vcc, s39, v84
	v_addc_co_u32_e32 v85, vcc, v102, v85, vcc
	global_load_dwordx2 v[84:85], v[84:85], off
.LBB127_86:                             ;   in Loop: Header=BB127_83 Depth=1
	s_waitcnt vmcnt(0)
	v_and_b32_e32 v102, 0x7f800000, v84
	v_cmp_ne_u32_e32 vcc, s83, v102
                                        ; implicit-def: $vgpr102
	s_and_saveexec_b64 s[44:45], vcc
	s_xor_b64 s[44:45], exec, s[44:45]
; %bb.87:                               ;   in Loop: Header=BB127_83 Depth=1
	v_bfe_u32 v102, v84, 16, 1
	v_add3_u32 v102, v84, v102, s84
; %bb.88:                               ;   in Loop: Header=BB127_83 Depth=1
	s_andn2_saveexec_b64 s[44:45], s[44:45]
; %bb.89:                               ;   in Loop: Header=BB127_83 Depth=1
	v_or_b32_e32 v102, 0x10000, v84
	v_cmp_eq_u32_sdwa vcc, v84, v100 src0_sel:WORD_0 src1_sel:DWORD
	v_cndmask_b32_e32 v102, v102, v84, vcc
; %bb.90:                               ;   in Loop: Header=BB127_83 Depth=1
	s_or_b64 exec, exec, s[44:45]
	v_and_b32_e32 v84, 0x7f800000, v85
	v_cmp_ne_u32_e32 vcc, s83, v84
                                        ; implicit-def: $vgpr84
	s_and_saveexec_b64 s[44:45], vcc
	s_xor_b64 s[44:45], exec, s[44:45]
; %bb.91:                               ;   in Loop: Header=BB127_83 Depth=1
	v_bfe_u32 v84, v85, 16, 1
	v_add3_u32 v84, v85, v84, s84
                                        ; implicit-def: $vgpr85
; %bb.92:                               ;   in Loop: Header=BB127_83 Depth=1
	s_andn2_saveexec_b64 s[44:45], s[44:45]
; %bb.93:                               ;   in Loop: Header=BB127_83 Depth=1
	v_or_b32_e32 v84, 0x10000, v85
	v_cmp_eq_u32_sdwa vcc, v85, v100 src0_sel:WORD_0 src1_sel:DWORD
	v_cndmask_b32_e32 v84, v84, v85, vcc
; %bb.94:                               ;   in Loop: Header=BB127_83 Depth=1
	s_or_b64 exec, exec, s[44:45]
	v_perm_b32 v84, v84, v102, s85
	ds_write_b32 v96, v84 offset:64
	s_andn2_b64 vcc, exec, s[22:23]
	v_mov_b32_e32 v84, 0
	v_mov_b32_e32 v85, 0
	s_cbranch_vccnz .LBB127_97
; %bb.95:                               ;   in Loop: Header=BB127_83 Depth=1
	ds_read_b32 v102, v95 offset:4
	v_mov_b32_e32 v85, 0
	v_mov_b32_e32 v84, 0
	s_waitcnt lgkmcnt(0)
	v_cmp_gt_i32_e32 vcc, 0, v102
	s_cbranch_vccnz .LBB127_97
; %bb.96:                               ;   in Loop: Header=BB127_83 Depth=1
	v_mul_lo_u32 v84, v102, s37
	v_readlane_b32 s44, v106, 35
	v_add_u32_e32 v84, s44, v84
	v_add_u32_e32 v84, v84, v98
	v_ashrrev_i32_e32 v85, 31, v84
	v_lshlrev_b64 v[84:85], 2, v[84:85]
	v_mov_b32_e32 v102, s43
	v_add_co_u32_e32 v84, vcc, s39, v84
	v_addc_co_u32_e32 v85, vcc, v102, v85, vcc
	global_load_dwordx2 v[84:85], v[84:85], off
.LBB127_97:                             ;   in Loop: Header=BB127_83 Depth=1
	s_waitcnt vmcnt(0)
	v_and_b32_e32 v102, 0x7f800000, v84
	v_cmp_ne_u32_e32 vcc, s83, v102
                                        ; implicit-def: $vgpr102
	s_and_saveexec_b64 s[44:45], vcc
	s_xor_b64 s[44:45], exec, s[44:45]
; %bb.98:                               ;   in Loop: Header=BB127_83 Depth=1
	v_bfe_u32 v102, v84, 16, 1
	v_add3_u32 v102, v84, v102, s84
; %bb.99:                               ;   in Loop: Header=BB127_83 Depth=1
	s_andn2_saveexec_b64 s[44:45], s[44:45]
; %bb.100:                              ;   in Loop: Header=BB127_83 Depth=1
	v_or_b32_e32 v102, 0x10000, v84
	v_cmp_eq_u32_sdwa vcc, v84, v100 src0_sel:WORD_0 src1_sel:DWORD
	v_cndmask_b32_e32 v102, v102, v84, vcc
; %bb.101:                              ;   in Loop: Header=BB127_83 Depth=1
	s_or_b64 exec, exec, s[44:45]
	v_and_b32_e32 v84, 0x7f800000, v85
	v_cmp_ne_u32_e32 vcc, s83, v84
                                        ; implicit-def: $vgpr84
	s_and_saveexec_b64 s[44:45], vcc
	s_xor_b64 s[44:45], exec, s[44:45]
; %bb.102:                              ;   in Loop: Header=BB127_83 Depth=1
	v_bfe_u32 v84, v85, 16, 1
	v_add3_u32 v84, v85, v84, s84
                                        ; implicit-def: $vgpr85
; %bb.103:                              ;   in Loop: Header=BB127_83 Depth=1
	s_andn2_saveexec_b64 s[44:45], s[44:45]
; %bb.104:                              ;   in Loop: Header=BB127_83 Depth=1
	v_or_b32_e32 v84, 0x10000, v85
	v_cmp_eq_u32_sdwa vcc, v85, v100 src0_sel:WORD_0 src1_sel:DWORD
	v_cndmask_b32_e32 v84, v84, v85, vcc
; %bb.105:                              ;   in Loop: Header=BB127_83 Depth=1
	s_or_b64 exec, exec, s[44:45]
	v_perm_b32 v84, v84, v102, s85
	ds_write_b32 v96, v84 offset:328
	s_andn2_b64 vcc, exec, s[30:31]
	v_mov_b32_e32 v84, 0
	v_mov_b32_e32 v85, 0
	s_cbranch_vccnz .LBB127_108
; %bb.106:                              ;   in Loop: Header=BB127_83 Depth=1
	ds_read_b32 v102, v95 offset:8
	v_mov_b32_e32 v85, 0
	v_mov_b32_e32 v84, 0
	s_waitcnt lgkmcnt(0)
	v_cmp_gt_i32_e32 vcc, 0, v102
	s_cbranch_vccnz .LBB127_108
; %bb.107:                              ;   in Loop: Header=BB127_83 Depth=1
	v_mul_lo_u32 v84, v102, s37
	v_readlane_b32 s44, v106, 24
	v_add_u32_e32 v84, s44, v84
	v_add_u32_e32 v84, v84, v98
	v_ashrrev_i32_e32 v85, 31, v84
	v_lshlrev_b64 v[84:85], 2, v[84:85]
	v_mov_b32_e32 v102, s43
	v_add_co_u32_e32 v84, vcc, s39, v84
	v_addc_co_u32_e32 v85, vcc, v102, v85, vcc
	global_load_dwordx2 v[84:85], v[84:85], off
.LBB127_108:                            ;   in Loop: Header=BB127_83 Depth=1
	s_waitcnt vmcnt(0)
	v_and_b32_e32 v102, 0x7f800000, v84
	v_cmp_ne_u32_e32 vcc, s83, v102
                                        ; implicit-def: $vgpr102
	s_and_saveexec_b64 s[44:45], vcc
	s_xor_b64 s[44:45], exec, s[44:45]
; %bb.109:                              ;   in Loop: Header=BB127_83 Depth=1
	v_bfe_u32 v102, v84, 16, 1
	v_add3_u32 v102, v84, v102, s84
; %bb.110:                              ;   in Loop: Header=BB127_83 Depth=1
	s_andn2_saveexec_b64 s[44:45], s[44:45]
; %bb.111:                              ;   in Loop: Header=BB127_83 Depth=1
	v_or_b32_e32 v102, 0x10000, v84
	v_cmp_eq_u32_sdwa vcc, v84, v100 src0_sel:WORD_0 src1_sel:DWORD
	v_cndmask_b32_e32 v102, v102, v84, vcc
; %bb.112:                              ;   in Loop: Header=BB127_83 Depth=1
	s_or_b64 exec, exec, s[44:45]
	v_and_b32_e32 v84, 0x7f800000, v85
	v_cmp_ne_u32_e32 vcc, s83, v84
                                        ; implicit-def: $vgpr84
	s_and_saveexec_b64 s[44:45], vcc
	s_xor_b64 s[44:45], exec, s[44:45]
; %bb.113:                              ;   in Loop: Header=BB127_83 Depth=1
	v_bfe_u32 v84, v85, 16, 1
	v_add3_u32 v84, v85, v84, s84
                                        ; implicit-def: $vgpr85
; %bb.114:                              ;   in Loop: Header=BB127_83 Depth=1
	s_andn2_saveexec_b64 s[44:45], s[44:45]
; %bb.115:                              ;   in Loop: Header=BB127_83 Depth=1
	v_or_b32_e32 v84, 0x10000, v85
	v_cmp_eq_u32_sdwa vcc, v85, v100 src0_sel:WORD_0 src1_sel:DWORD
	v_cndmask_b32_e32 v84, v84, v85, vcc
; %bb.116:                              ;   in Loop: Header=BB127_83 Depth=1
	s_or_b64 exec, exec, s[44:45]
	v_perm_b32 v84, v84, v102, s85
	ds_write_b32 v96, v84 offset:592
	s_andn2_b64 vcc, exec, s[34:35]
	v_mov_b32_e32 v84, 0
	v_mov_b32_e32 v85, 0
	s_cbranch_vccnz .LBB127_119
; %bb.117:                              ;   in Loop: Header=BB127_83 Depth=1
	ds_read_b32 v102, v95 offset:12
	v_mov_b32_e32 v85, 0
	v_mov_b32_e32 v84, 0
	s_waitcnt lgkmcnt(0)
	v_cmp_gt_i32_e32 vcc, 0, v102
	s_cbranch_vccnz .LBB127_119
; %bb.118:                              ;   in Loop: Header=BB127_83 Depth=1
	v_mul_lo_u32 v84, v102, s37
	v_readlane_b32 s44, v106, 26
	v_add_u32_e32 v84, s44, v84
	v_add_u32_e32 v84, v84, v98
	v_ashrrev_i32_e32 v85, 31, v84
	v_lshlrev_b64 v[84:85], 2, v[84:85]
	v_mov_b32_e32 v102, s43
	v_add_co_u32_e32 v84, vcc, s39, v84
	v_addc_co_u32_e32 v85, vcc, v102, v85, vcc
	global_load_dwordx2 v[84:85], v[84:85], off
.LBB127_119:                            ;   in Loop: Header=BB127_83 Depth=1
	s_waitcnt vmcnt(0)
	v_and_b32_e32 v102, 0x7f800000, v84
	v_cmp_ne_u32_e32 vcc, s83, v102
                                        ; implicit-def: $vgpr102
	s_and_saveexec_b64 s[44:45], vcc
	s_xor_b64 s[44:45], exec, s[44:45]
; %bb.120:                              ;   in Loop: Header=BB127_83 Depth=1
	v_bfe_u32 v102, v84, 16, 1
	v_add3_u32 v102, v84, v102, s84
; %bb.121:                              ;   in Loop: Header=BB127_83 Depth=1
	;; [unrolled: 59-line block ×11, first 2 shown]
	s_andn2_saveexec_b64 s[44:45], s[44:45]
; %bb.221:                              ;   in Loop: Header=BB127_83 Depth=1
	v_or_b32_e32 v102, 0x10000, v84
	v_cmp_eq_u32_sdwa vcc, v84, v100 src0_sel:WORD_0 src1_sel:DWORD
	v_cndmask_b32_e32 v102, v102, v84, vcc
; %bb.222:                              ;   in Loop: Header=BB127_83 Depth=1
	s_or_b64 exec, exec, s[44:45]
	v_and_b32_e32 v84, 0x7f800000, v85
	v_cmp_ne_u32_e32 vcc, s83, v84
                                        ; implicit-def: $vgpr84
	s_and_saveexec_b64 s[44:45], vcc
	s_xor_b64 s[44:45], exec, s[44:45]
; %bb.223:                              ;   in Loop: Header=BB127_83 Depth=1
	v_bfe_u32 v84, v85, 16, 1
	v_add3_u32 v84, v85, v84, s84
                                        ; implicit-def: $vgpr85
; %bb.224:                              ;   in Loop: Header=BB127_83 Depth=1
	s_andn2_saveexec_b64 s[44:45], s[44:45]
	s_cbranch_execz .LBB127_82
; %bb.225:                              ;   in Loop: Header=BB127_83 Depth=1
	v_or_b32_e32 v84, 0x10000, v85
	v_cmp_eq_u32_sdwa vcc, v85, v100 src0_sel:WORD_0 src1_sel:DWORD
	v_cndmask_b32_e32 v84, v84, v85, vcc
	s_branch .LBB127_82
.LBB127_226:
	s_or_b64 exec, exec, s[26:27]
	v_readlane_b32 s50, v106, 16
	v_readlane_b32 s40, v106, 20
	;; [unrolled: 1-line block ×8, first 2 shown]
.LBB127_227:
	v_readlane_b32 s0, v106, 14
	v_readlane_b32 s1, v106, 15
	s_or_b64 exec, exec, s[0:1]
	v_mul_u32_u24_e32 v0, 0x208, v93
	s_movk_i32 s1, 0x100
	v_lshlrev_b32_e32 v1, 2, v92
	v_add3_u32 v0, s1, v0, v1
	v_and_b32_e32 v2, 0x3f0, v16
	v_add_u32_e32 v3, v0, v2
	s_barrier
	ds_write2_b32 v3, a12, a13 offset0:16 offset1:17
	v_or_b32_e32 v3, 12, v16
	v_add_u32_e32 v1, 64, v0
	v_and_b32_e32 v3, 0x3fc, v3
	v_add_u32_e32 v2, v1, v2
	v_add_u32_e32 v0, v0, v3
	ds_write_b32 v2, a14 offset:8
	ds_write_b32 v0, a15 offset:64
	ds_write2_b32 v2, a4, a5 offset0:16 offset1:17
	ds_write_b32 v2, a6 offset:72
	v_add_u32_e32 v0, v1, v3
	ds_write_b32 v0, a7 offset:64
	ds_write2_b32 v2, a0, a1 offset0:32 offset1:33
	ds_write_b32 v2, a2 offset:136
	ds_write_b32 v0, a3 offset:128
	ds_write2_b32 v2, a8, a9 offset0:48 offset1:49
	ds_write_b32 v2, a10 offset:200
	ds_write_b32 v0, a11 offset:192
	v_mov_b32_e32 v2, 0x100
	s_movk_i32 s0, 0x208
	v_lshl_add_u32 v3, v16, 2, v2
	v_mad_u32_u24 v0, v17, s0, v3
	s_waitcnt lgkmcnt(0)
	s_barrier
	ds_read2_b32 v[0:1], v0 offset0:16 offset1:80
	v_cmp_gt_u32_e32 vcc, 13, v17
	v_mov_b32_e32 v5, -1
	s_and_saveexec_b64 s[4:5], vcc
	s_cbranch_execz .LBB127_229
; %bb.228:
	v_lshl_add_u32 v2, v17, 2, v2
	ds_read_b32 v5, v2
.LBB127_229:
	s_or_b64 exec, exec, s[4:5]
	s_mul_hi_i32 s1, s42, s8
	s_mul_i32 s0, s42, s8
	s_lshl_b64 s[0:1], s[0:1], 2
	v_readlane_b32 s4, v106, 12
	s_mul_hi_i32 s3, s9, s29
	s_mul_i32 s2, s9, s29
	v_readlane_b32 s5, v106, 13
	s_add_u32 s4, s4, s0
	s_addc_u32 s5, s5, s1
	s_lshl_b64 s[0:1], s[2:3], 2
	s_add_u32 s2, s4, s0
	s_waitcnt lgkmcnt(0)
	v_cmp_lt_i32_e32 vcc, -1, v5
	v_mul_u32_u24_e32 v4, 0x208, v17
	v_add_u32_e32 v2, s6, v16
	s_addc_u32 s3, s5, s1
	s_and_b64 s[4:5], vcc, s[50:51]
	s_and_saveexec_b64 s[0:1], s[4:5]
	s_cbranch_execz .LBB127_231
; %bb.230:
	v_add_f32_e32 v0, 0, v0
	v_add_f32_e32 v6, v0, v1
	v_mul_lo_u32 v0, v5, s38
	v_mul_lo_u32 v1, v17, s29
	v_add3_u32 v0, v2, v1, v0
	v_mov_b32_e32 v1, 0
	v_lshlrev_b64 v[0:1], 2, v[0:1]
	v_mov_b32_e32 v5, s3
	v_add_co_u32_e32 v0, vcc, s2, v0
	v_addc_co_u32_e32 v1, vcc, v5, v1, vcc
	global_store_dword v[0:1], v6, off
.LBB127_231:
	s_or_b64 exec, exec, s[0:1]
	v_add_u32_e32 v3, v4, v3
	v_add_u32_e32 v0, 0x50, v3
	ds_read2st64_b32 v[0:1], v0 offset0:4 offset1:5
	v_cmp_gt_u32_e32 vcc, 11, v17
	v_mov_b32_e32 v4, -1
	s_and_saveexec_b64 s[0:1], vcc
	s_cbranch_execz .LBB127_233
; %bb.232:
	v_mov_b32_e32 v4, 0x100
	v_lshl_add_u32 v4, v17, 2, v4
	ds_read_b32 v4, v4 offset:8
.LBB127_233:
	s_or_b64 exec, exec, s[0:1]
	v_readlane_b32 s0, v106, 0
	s_waitcnt lgkmcnt(0)
	v_cmp_lt_i32_e32 vcc, -1, v4
	v_readlane_b32 s1, v106, 1
	s_and_b64 s[4:5], vcc, s[0:1]
	s_and_saveexec_b64 s[0:1], s[4:5]
	s_cbranch_execz .LBB127_235
; %bb.234:
	v_add_f32_e32 v0, 0, v0
	v_add_f32_e32 v5, v0, v1
	v_mul_lo_u32 v0, v4, s38
	v_mul_lo_u32 v1, v86, s29
	v_add3_u32 v0, v2, v1, v0
	v_mov_b32_e32 v1, 0
	v_lshlrev_b64 v[0:1], 2, v[0:1]
	v_mov_b32_e32 v4, s3
	v_add_co_u32_e32 v0, vcc, s2, v0
	v_addc_co_u32_e32 v1, vcc, v4, v1, vcc
	global_store_dword v[0:1], v5, off
.LBB127_235:
	s_or_b64 exec, exec, s[0:1]
	v_add_u32_e32 v0, 0x60, v3
	ds_read2st64_b32 v[0:1], v0 offset0:8 offset1:9
	v_cmp_gt_u32_e32 vcc, 9, v17
	v_mov_b32_e32 v4, -1
	s_and_saveexec_b64 s[0:1], vcc
	s_cbranch_execz .LBB127_237
; %bb.236:
	v_mov_b32_e32 v4, 0x100
	v_lshl_add_u32 v4, v17, 2, v4
	ds_read_b32 v4, v4 offset:16
.LBB127_237:
	s_or_b64 exec, exec, s[0:1]
	v_readlane_b32 s0, v106, 2
	s_waitcnt lgkmcnt(0)
	v_cmp_lt_i32_e32 vcc, -1, v4
	v_readlane_b32 s1, v106, 3
	s_and_b64 s[4:5], vcc, s[0:1]
	s_and_saveexec_b64 s[0:1], s[4:5]
	s_cbranch_execz .LBB127_239
; %bb.238:
	v_add_f32_e32 v0, 0, v0
	v_add_f32_e32 v5, v0, v1
	v_mul_lo_u32 v0, v4, s38
	v_mul_lo_u32 v1, v87, s29
	v_add3_u32 v0, v2, v1, v0
	v_mov_b32_e32 v1, 0
	v_lshlrev_b64 v[0:1], 2, v[0:1]
	v_mov_b32_e32 v4, s3
	v_add_co_u32_e32 v0, vcc, s2, v0
	v_addc_co_u32_e32 v1, vcc, v4, v1, vcc
	global_store_dword v[0:1], v5, off
.LBB127_239:
	s_or_b64 exec, exec, s[0:1]
	;; [unrolled: 33-line block ×5, first 2 shown]
	v_cmp_eq_u32_e32 vcc, 0, v17
	s_and_saveexec_b64 s[0:1], vcc
	s_cbranch_execz .LBB127_254
; %bb.252:
	v_mov_b32_e32 v0, 0x100
	ds_read_b32 v0, v0 offset:48
	v_readlane_b32 s4, v106, 10
	v_readlane_b32 s5, v106, 11
	s_waitcnt lgkmcnt(0)
	v_readfirstlane_b32 s0, v0
	s_cmp_gt_i32 s0, -1
	s_cselect_b64 s[0:1], -1, 0
	s_and_b64 s[0:1], s[0:1], s[4:5]
	s_and_b64 exec, exec, s[0:1]
	s_cbranch_execz .LBB127_254
; %bb.253:
	v_add_u32_e32 v1, 0xa0, v3
	ds_read2st64_b32 v[4:5], v1 offset0:24 offset1:25
	v_mul_lo_u32 v0, v0, s38
	v_mul_lo_u32 v3, v91, s29
	v_mov_b32_e32 v1, 0
	v_add3_u32 v0, v2, v3, v0
	v_lshlrev_b64 v[0:1], 2, v[0:1]
	s_waitcnt lgkmcnt(0)
	v_add_f32_e32 v2, 0, v4
	v_mov_b32_e32 v3, s3
	v_add_co_u32_e32 v0, vcc, s2, v0
	v_add_f32_e32 v2, v2, v5
	v_addc_co_u32_e32 v1, vcc, v3, v1, vcc
	global_store_dword v[0:1], v2, off
.LBB127_254:
	s_endpgm
	.section	.rodata,"a",@progbits
	.p2align	6, 0x0
	.amdhsa_kernel _ZL9mul_mat_fI15__hip_bfloat162Li64ELi13ELi2ELb1EEvPKT_PKfPKiPfiiiiiiiiiiiiiiii
		.amdhsa_group_segment_fixed_size 256
		.amdhsa_private_segment_fixed_size 0
		.amdhsa_kernarg_size 352
		.amdhsa_user_sgpr_count 6
		.amdhsa_user_sgpr_private_segment_buffer 1
		.amdhsa_user_sgpr_dispatch_ptr 0
		.amdhsa_user_sgpr_queue_ptr 0
		.amdhsa_user_sgpr_kernarg_segment_ptr 1
		.amdhsa_user_sgpr_dispatch_id 0
		.amdhsa_user_sgpr_flat_scratch_init 0
		.amdhsa_user_sgpr_kernarg_preload_length 0
		.amdhsa_user_sgpr_kernarg_preload_offset 0
		.amdhsa_user_sgpr_private_segment_size 0
		.amdhsa_uses_dynamic_stack 0
		.amdhsa_system_sgpr_private_segment_wavefront_offset 0
		.amdhsa_system_sgpr_workgroup_id_x 1
		.amdhsa_system_sgpr_workgroup_id_y 1
		.amdhsa_system_sgpr_workgroup_id_z 1
		.amdhsa_system_sgpr_workgroup_info 0
		.amdhsa_system_vgpr_workitem_id 2
		.amdhsa_next_free_vgpr 128
		.amdhsa_next_free_sgpr 96
		.amdhsa_accum_offset 108
		.amdhsa_reserve_vcc 1
		.amdhsa_reserve_flat_scratch 0
		.amdhsa_float_round_mode_32 0
		.amdhsa_float_round_mode_16_64 0
		.amdhsa_float_denorm_mode_32 3
		.amdhsa_float_denorm_mode_16_64 3
		.amdhsa_dx10_clamp 1
		.amdhsa_ieee_mode 1
		.amdhsa_fp16_overflow 0
		.amdhsa_tg_split 0
		.amdhsa_exception_fp_ieee_invalid_op 0
		.amdhsa_exception_fp_denorm_src 0
		.amdhsa_exception_fp_ieee_div_zero 0
		.amdhsa_exception_fp_ieee_overflow 0
		.amdhsa_exception_fp_ieee_underflow 0
		.amdhsa_exception_fp_ieee_inexact 0
		.amdhsa_exception_int_div_zero 0
	.end_amdhsa_kernel
	.section	.text._ZL9mul_mat_fI15__hip_bfloat162Li64ELi13ELi2ELb1EEvPKT_PKfPKiPfiiiiiiiiiiiiiiii,"axG",@progbits,_ZL9mul_mat_fI15__hip_bfloat162Li64ELi13ELi2ELb1EEvPKT_PKfPKiPfiiiiiiiiiiiiiiii,comdat
.Lfunc_end127:
	.size	_ZL9mul_mat_fI15__hip_bfloat162Li64ELi13ELi2ELb1EEvPKT_PKfPKiPfiiiiiiiiiiiiiiii, .Lfunc_end127-_ZL9mul_mat_fI15__hip_bfloat162Li64ELi13ELi2ELb1EEvPKT_PKfPKiPfiiiiiiiiiiiiiiii
                                        ; -- End function
	.section	.AMDGPU.csdata,"",@progbits
; Kernel info:
; codeLenInByte = 12664
; NumSgprs: 100
; NumVgprs: 107
; NumAgprs: 20
; TotalNumVgprs: 128
; ScratchSize: 0
; MemoryBound: 0
; FloatMode: 240
; IeeeMode: 1
; LDSByteSize: 256 bytes/workgroup (compile time only)
; SGPRBlocks: 12
; VGPRBlocks: 15
; NumSGPRsForWavesPerEU: 100
; NumVGPRsForWavesPerEU: 128
; AccumOffset: 108
; Occupancy: 4
; WaveLimiterHint : 0
; COMPUTE_PGM_RSRC2:SCRATCH_EN: 0
; COMPUTE_PGM_RSRC2:USER_SGPR: 6
; COMPUTE_PGM_RSRC2:TRAP_HANDLER: 0
; COMPUTE_PGM_RSRC2:TGID_X_EN: 1
; COMPUTE_PGM_RSRC2:TGID_Y_EN: 1
; COMPUTE_PGM_RSRC2:TGID_Z_EN: 1
; COMPUTE_PGM_RSRC2:TIDIG_COMP_CNT: 2
; COMPUTE_PGM_RSRC3_GFX90A:ACCUM_OFFSET: 26
; COMPUTE_PGM_RSRC3_GFX90A:TG_SPLIT: 0
	.section	.text._ZL9mul_mat_fI15__hip_bfloat162Li64ELi13ELi2ELb0EEvPKT_PKfPKiPfiiiiiiiiiiiiiiii,"axG",@progbits,_ZL9mul_mat_fI15__hip_bfloat162Li64ELi13ELi2ELb0EEvPKT_PKfPKiPfiiiiiiiiiiiiiiii,comdat
	.globl	_ZL9mul_mat_fI15__hip_bfloat162Li64ELi13ELi2ELb0EEvPKT_PKfPKiPfiiiiiiiiiiiiiiii ; -- Begin function _ZL9mul_mat_fI15__hip_bfloat162Li64ELi13ELi2ELb0EEvPKT_PKfPKiPfiiiiiiiiiiiiiiii
	.p2align	8
	.type	_ZL9mul_mat_fI15__hip_bfloat162Li64ELi13ELi2ELb0EEvPKT_PKfPKiPfiiiiiiiiiiiiiiii,@function
_ZL9mul_mat_fI15__hip_bfloat162Li64ELi13ELi2ELb0EEvPKT_PKfPKiPfiiiiiiiiiiiiiiii: ; @_ZL9mul_mat_fI15__hip_bfloat162Li64ELi13ELi2ELb0EEvPKT_PKfPKiPfiiiiiiiiiiiiiiii
; %bb.0:
	s_load_dwordx8 s[12:19], s[4:5], 0x40
	s_load_dword s9, s[4:5], 0x20
	s_load_dwordx4 s[0:3], s[4:5], 0x2c
	v_bfe_u32 v86, v0, 10, 10
	v_lshlrev_b32_e32 v88, 6, v86
	v_and_b32_e32 v87, 0x3ff, v0
	s_waitcnt lgkmcnt(0)
	s_abs_i32 s27, s12
	s_abs_i32 s26, s16
	v_cvt_f32_u32_e32 v1, s27
	v_cvt_f32_u32_e32 v2, s26
	v_add_u32_e32 v90, v88, v87
	s_mov_b32 s22, 0
	v_rcp_iflag_f32_e32 v1, v1
	v_rcp_iflag_f32_e32 v2, v2
	s_ashr_i32 s28, s8, 31
	v_cmp_le_i32_e32 vcc, s9, v90
	v_mul_f32_e32 v1, 0x4f7ffffe, v1
	v_mul_f32_e32 v2, 0x4f7ffffe, v2
	v_cvt_u32_f32_e32 v1, v1
	v_cvt_u32_f32_e32 v2, v2
	v_and_b32_e32 v89, 15, v87
	v_readfirstlane_b32 s21, v1
	v_readfirstlane_b32 s20, v2
	s_and_saveexec_b64 s[10:11], vcc
	s_xor_b64 s[10:11], exec, s[10:11]
; %bb.1:
	v_and_b32_e32 v89, 15, v87
                                        ; implicit-def: $vgpr90
; %bb.2:
	s_or_saveexec_b64 s[24:25], s[10:11]
	s_load_dwordx2 s[10:11], s[4:5], 0x18
	s_lshl_b32 s3, s6, 6
	v_accvgpr_write_b32 a0, s22
	v_accvgpr_write_b32 a1, s22
	;; [unrolled: 1-line block ×16, first 2 shown]
	s_xor_b64 exec, exec, s[24:25]
	s_cbranch_execz .LBB128_110
; %bb.3:
                                        ; implicit-def: $vgpr101 : SGPR spill to VGPR lane
	s_sub_i32 s6, 0, s27
	s_waitcnt lgkmcnt(0)
	v_writelane_b32 v101, s10, 0
	v_writelane_b32 v101, s11, 1
	s_sub_i32 s10, 0, s26
	s_mul_i32 s6, s6, s21
	s_mul_i32 s10, s10, s20
	s_mul_hi_u32 s6, s21, s6
	s_mul_hi_u32 s10, s20, s10
	s_abs_i32 s11, s7
	s_add_i32 s6, s21, s6
	s_abs_i32 s29, s8
	s_add_i32 s10, s20, s10
	s_load_dwordx4 s[20:23], s[4:5], 0x0
	s_mul_hi_u32 s4, s11, s6
	s_mul_hi_u32 s5, s29, s10
	s_ashr_i32 s6, s7, 31
	s_ashr_i32 s10, s12, 31
	s_xor_b32 s6, s6, s10
	s_mul_i32 s10, s4, s27
	s_sub_i32 s10, s11, s10
	s_ashr_i32 s12, s16, 31
	s_add_i32 s11, s4, 1
	s_sub_i32 s16, s10, s27
	s_cmp_ge_u32 s10, s27
	s_cselect_b32 s4, s11, s4
	s_cselect_b32 s10, s16, s10
	s_add_i32 s11, s4, 1
	s_cmp_ge_u32 s10, s27
	s_cselect_b32 s4, s11, s4
	s_mul_i32 s10, s5, s26
	s_xor_b32 s4, s4, s6
	s_sub_i32 s10, s29, s10
	s_sub_i32 s6, s4, s6
	s_xor_b32 s4, s28, s12
	s_add_i32 s11, s5, 1
	s_sub_i32 s12, s10, s26
	s_cmp_ge_u32 s10, s26
	s_cselect_b32 s5, s11, s5
	s_cselect_b32 s10, s12, s10
	s_add_i32 s11, s5, 1
	s_cmp_ge_u32 s10, s26
	s_cselect_b32 s5, s11, s5
	s_xor_b32 s5, s5, s4
	s_sub_i32 s4, s5, s4
	s_mul_hi_i32 s5, s4, s17
	s_mul_i32 s4, s4, s17
	s_mul_i32 s10, s6, s13
	s_ashr_i32 s11, s10, 31
	s_lshl_b64 s[16:17], s[4:5], 2
	s_mul_i32 s12, s3, s0
	s_waitcnt lgkmcnt(0)
	s_add_u32 s6, s20, s16
	s_addc_u32 s27, s21, s17
	s_ashr_i32 s13, s12, 31
	s_lshl_b64 s[12:13], s[12:13], 2
	s_lshl_b64 s[10:11], s[10:11], 2
	s_add_u32 s28, s10, s12
	s_addc_u32 s29, s11, s13
	s_mul_i32 s26, s7, s14
	s_add_u32 s6, s28, s6
	s_mul_hi_i32 s5, s18, s8
	s_mul_i32 s4, s18, s8
	s_addc_u32 s76, s29, s27
	s_ashr_i32 s27, s26, 31
	s_lshl_b64 s[10:11], s[4:5], 2
	s_lshl_b64 s[4:5], s[26:27], 2
	s_add_u32 s22, s22, s4
	s_addc_u32 s23, s23, s5
	s_add_u32 s14, s22, s10
	s_movk_i32 s4, 0x1080
	s_addc_u32 s18, s23, s11
	v_mad_u32_u24 v0, v86, s4, 0
	s_ashr_i32 s5, s0, 31
	s_mov_b32 s4, s0
	v_lshrrev_b32_e32 v3, 1, v87
	s_ashr_i32 s13, s1, 31
	s_lshl_b64 s[4:5], s[4:5], 2
	v_lshlrev_b32_e32 v1, 2, v87
	v_mul_u32_u24_e32 v2, 0x108, v89
	v_and_b32_e32 v3, 0x1f8, v3
	s_add_u32 s16, s28, s16
	v_add_u32_e32 v91, v0, v1
	v_add3_u32 v92, v0, v2, v3
	v_lshlrev_b32_e32 v0, 8, v86
	s_addc_u32 s17, s29, s17
	v_mov_b32_e32 v2, s17
	v_add_co_u32_e32 v0, vcc, s16, v0
	v_addc_co_u32_e32 v2, vcc, 0, v2, vcc
	v_add_co_u32_e32 v0, vcc, v0, v1
	v_addc_co_u32_e32 v1, vcc, 0, v2, vcc
	v_mov_b32_e32 v2, s21
	v_add_co_u32_e32 v16, vcc, s20, v0
	v_addc_co_u32_e32 v17, vcc, v2, v1, vcc
	v_lshlrev_b32_e32 v0, 9, v86
	v_mov_b32_e32 v1, s11
	v_add_co_u32_e32 v0, vcc, s10, v0
	v_addc_co_u32_e32 v1, vcc, 0, v1, vcc
	v_lshlrev_b32_e32 v2, 3, v87
	v_add_co_u32_e32 v0, vcc, v0, v2
	v_addc_co_u32_e32 v1, vcc, 0, v1, vcc
	s_mov_b32 s12, s1
	v_mov_b32_e32 v2, s23
	v_add_co_u32_e32 v18, vcc, s22, v0
	s_lshl_b64 s[12:13], s[12:13], 3
	v_addc_co_u32_e32 v19, vcc, v2, v1, vcc
	s_mul_i32 s20, s0, 63
	s_lshl_b32 s21, s1, 1
	s_mul_i32 s22, s1, 3
	s_lshl_b32 s23, s1, 2
	s_mul_i32 s26, s1, 5
	s_mul_i32 s27, s1, 6
	;; [unrolled: 1-line block ×3, first 2 shown]
	s_lshl_b32 s29, s1, 3
	s_mul_i32 s30, s1, 9
	s_mul_i32 s31, s1, 10
	;; [unrolled: 1-line block ×4, first 2 shown]
	s_lshl_b32 s35, s0, 1
	s_mul_i32 s36, s0, 3
	s_lshl_b32 s37, s0, 2
	s_mul_i32 s38, s0, 5
	s_mul_i32 s39, s0, 6
	;; [unrolled: 1-line block ×3, first 2 shown]
	s_lshl_b32 s41, s0, 3
	s_mul_i32 s42, s0, 9
	s_mul_i32 s43, s0, 10
	;; [unrolled: 1-line block ×7, first 2 shown]
	s_lshl_b32 s49, s0, 4
	s_mul_i32 s50, s0, 17
	s_mul_i32 s51, s0, 18
	;; [unrolled: 1-line block ×15, first 2 shown]
	s_lshl_b32 s65, s0, 5
	s_mul_i32 s66, s0, 33
	s_mul_i32 s67, s0, 34
	;; [unrolled: 1-line block ×10, first 2 shown]
	v_mov_b32_e32 v93, s76
	s_mul_i32 s76, s0, 43
	v_mov_b32_e32 v94, 0
	v_accvgpr_write_b32 a15, 0
	v_accvgpr_write_b32 a14, 0
	;; [unrolled: 1-line block ×16, first 2 shown]
	v_mov_b32_e32 v95, s5
	s_mul_i32 s5, s0, 44
	s_mul_i32 s77, s0, 45
	;; [unrolled: 1-line block ×19, first 2 shown]
	s_mov_b32 s95, 0x7f800000
	s_movk_i32 s10, 0x7fff
	s_mov_b32 s11, 0x7060302
	s_mov_b64 s[0:1], 0
	s_branch .LBB128_5
.LBB128_4:                              ;   in Loop: Header=BB128_5 Depth=1
	s_or_b64 exec, exec, s[16:17]
	v_perm_b32 v84, v97, v96, s11
	v_add_u32_e32 v85, 0xc00, v91
	ds_write2_b32 v85, v84, v94 offset0:24 offset1:90
	ds_write2_b32 v85, v94, v94 offset0:156 offset1:222
	ds_read2_b64 v[96:99], v92 offset1:4
	v_accvgpr_write_b32 a0, v0
	v_accvgpr_write_b32 a4, v4
	;; [unrolled: 1-line block ×16, first 2 shown]
	s_waitcnt lgkmcnt(0)
	v_mfma_f32_16x16x16bf16_1k a[0:3], v[38:39], v[96:97], a[0:3]
	ds_read2_b64 v[0:3], v92 offset0:8 offset1:12
	v_add_co_u32_e32 v16, vcc, 0x200, v16
	v_addc_co_u32_e32 v17, vcc, 0, v17, vcc
	v_add_co_u32_e32 v18, vcc, 0x400, v18
	v_mfma_f32_16x16x16bf16_1k a[4:7], v[52:53], v[96:97], a[4:7]
	v_add_u32_e32 v90, 0x80, v90
	v_addc_co_u32_e32 v19, vcc, 0, v19, vcc
	v_cmp_le_i32_e32 vcc, s9, v90
	s_or_b64 s[0:1], vcc, s[0:1]
	v_mfma_f32_16x16x16bf16_1k a[8:11], v[68:69], v[96:97], a[8:11]
	v_mfma_f32_16x16x16bf16_1k a[12:15], v[82:83], v[96:97], a[12:15]
	;; [unrolled: 1-line block ×6, first 2 shown]
	s_waitcnt lgkmcnt(0)
	v_mfma_f32_16x16x16bf16_1k a[0:3], v[30:31], v[0:1], a[0:3]
	v_mfma_f32_16x16x16bf16_1k a[4:7], v[46:47], v[0:1], a[4:7]
	v_mfma_f32_16x16x16bf16_1k a[8:11], v[64:65], v[0:1], a[8:11]
	v_mfma_f32_16x16x16bf16_1k a[12:15], v[78:79], v[0:1], a[12:15]
	v_mfma_f32_16x16x16bf16_1k a[0:3], v[28:29], v[2:3], a[0:3]
	v_mfma_f32_16x16x16bf16_1k a[4:7], v[44:45], v[2:3], a[4:7]
	v_mfma_f32_16x16x16bf16_1k a[8:11], v[62:63], v[2:3], a[8:11]
	v_mfma_f32_16x16x16bf16_1k a[12:15], v[76:77], v[2:3], a[12:15]
	ds_read2_b64 v[0:3], v92 offset0:16 offset1:20
	s_waitcnt lgkmcnt(0)
	v_mfma_f32_16x16x16bf16_1k a[0:3], v[26:27], v[0:1], a[0:3]
	v_mfma_f32_16x16x16bf16_1k a[4:7], v[42:43], v[0:1], a[4:7]
	;; [unrolled: 1-line block ×8, first 2 shown]
	ds_read2_b64 v[0:3], v92 offset0:24 offset1:28
	s_waitcnt lgkmcnt(0)
	v_mfma_f32_16x16x16bf16_1k a[0:3], v[22:23], v[0:1], a[0:3]
	v_mfma_f32_16x16x16bf16_1k a[4:7], v[36:37], v[0:1], a[4:7]
	;; [unrolled: 1-line block ×8, first 2 shown]
	s_andn2_b64 exec, exec, s[0:1]
	s_cbranch_execz .LBB128_109
.LBB128_5:                              ; =>This Inner Loop Header: Depth=1
	v_add_co_u32_e32 v0, vcc, s4, v16
	v_addc_co_u32_e32 v1, vcc, v17, v95, vcc
	global_load_dword v20, v[16:17], off
	global_load_dword v21, v[0:1], off
	v_add_u32_e32 v0, s35, v90
	v_ashrrev_i32_e32 v1, 31, v0
	v_lshlrev_b64 v[0:1], 2, v[0:1]
	v_add_u32_e32 v2, s36, v90
	v_add_co_u32_e32 v0, vcc, s6, v0
	v_ashrrev_i32_e32 v3, 31, v2
	v_addc_co_u32_e32 v1, vcc, v93, v1, vcc
	v_lshlrev_b64 v[2:3], 2, v[2:3]
	v_add_u32_e32 v4, s37, v90
	v_add_co_u32_e32 v2, vcc, s6, v2
	v_ashrrev_i32_e32 v5, 31, v4
	v_addc_co_u32_e32 v3, vcc, v93, v3, vcc
	;; [unrolled: 5-line block ×6, first 2 shown]
	v_lshlrev_b64 v[12:13], 2, v[12:13]
	v_add_co_u32_e32 v12, vcc, s6, v12
	v_addc_co_u32_e32 v13, vcc, v93, v13, vcc
	global_load_dword v22, v[0:1], off
	global_load_dword v23, v[2:3], off
	;; [unrolled: 1-line block ×7, first 2 shown]
	v_add_u32_e32 v12, s42, v90
	v_ashrrev_i32_e32 v13, 31, v12
	v_lshlrev_b64 v[12:13], 2, v[12:13]
	v_add_co_u32_e32 v12, vcc, s6, v12
	v_addc_co_u32_e32 v13, vcc, v93, v13, vcc
	v_add_u32_e32 v30, s48, v90
	v_ashrrev_i32_e32 v31, 31, v30
	v_lshlrev_b64 v[30:31], 2, v[30:31]
	v_add_u32_e32 v32, s49, v90
	v_ashrrev_i32_e32 v33, 31, v32
	v_lshlrev_b64 v[32:33], 2, v[32:33]
	v_add_u32_e32 v34, s50, v90
	v_ashrrev_i32_e32 v35, 31, v34
	v_lshlrev_b64 v[34:35], 2, v[34:35]
	v_add_u32_e32 v36, s55, v90
	v_ashrrev_i32_e32 v37, 31, v36
	v_lshlrev_b64 v[36:37], 2, v[36:37]
	v_add_u32_e32 v38, s56, v90
	v_ashrrev_i32_e32 v39, 31, v38
	v_lshlrev_b64 v[38:39], 2, v[38:39]
	v_add_u32_e32 v40, s57, v90
	v_ashrrev_i32_e32 v41, 31, v40
	v_lshlrev_b64 v[40:41], 2, v[40:41]
	s_waitcnt vmcnt(8)
	ds_write_b32 v91, v20
	s_waitcnt vmcnt(7)
	ds_write_b32 v91, v21 offset:264
	v_add_u32_e32 v20, s43, v90
	v_ashrrev_i32_e32 v21, 31, v20
	global_load_dword v12, v[12:13], off
	v_lshlrev_b64 v[20:21], 2, v[20:21]
	v_add_co_u32_e32 v20, vcc, s6, v20
	v_addc_co_u32_e32 v21, vcc, v93, v21, vcc
	v_add_u32_e32 v42, s58, v90
	v_ashrrev_i32_e32 v43, 31, v42
	v_lshlrev_b64 v[42:43], 2, v[42:43]
	v_accvgpr_read_b32 v3, a15
	v_accvgpr_read_b32 v2, a14
	s_waitcnt vmcnt(7)
	ds_write_b32 v91, v22 offset:528
	s_waitcnt vmcnt(6)
	ds_write_b32 v91, v23 offset:792
	;; [unrolled: 2-line block ×7, first 2 shown]
	v_add_u32_e32 v22, s44, v90
	v_ashrrev_i32_e32 v23, 31, v22
	v_lshlrev_b64 v[22:23], 2, v[22:23]
	v_add_u32_e32 v24, s45, v90
	v_add_co_u32_e32 v22, vcc, s6, v22
	v_ashrrev_i32_e32 v25, 31, v24
	v_addc_co_u32_e32 v23, vcc, v93, v23, vcc
	v_lshlrev_b64 v[24:25], 2, v[24:25]
	v_add_u32_e32 v26, s46, v90
	v_add_co_u32_e32 v24, vcc, s6, v24
	v_ashrrev_i32_e32 v27, 31, v26
	v_addc_co_u32_e32 v25, vcc, v93, v25, vcc
	;; [unrolled: 5-line block ×3, first 2 shown]
	v_lshlrev_b64 v[28:29], 2, v[28:29]
	v_add_co_u32_e32 v28, vcc, s6, v28
	v_addc_co_u32_e32 v29, vcc, v93, v29, vcc
	v_add_co_u32_e32 v30, vcc, s6, v30
	v_addc_co_u32_e32 v31, vcc, v93, v31, vcc
	;; [unrolled: 2-line block ×4, first 2 shown]
	global_load_dword v20, v[20:21], off
	s_nop 0
	global_load_dword v21, v[22:23], off
	s_nop 0
	global_load_dword v22, v[24:25], off
	global_load_dword v23, v[26:27], off
	s_nop 0
	global_load_dword v24, v[28:29], off
	global_load_dword v25, v[30:31], off
	;; [unrolled: 1-line block ×3, first 2 shown]
	s_nop 0
	global_load_dword v34, v[34:35], off
	v_add_u32_e32 v26, s51, v90
	v_ashrrev_i32_e32 v27, 31, v26
	v_lshlrev_b64 v[26:27], 2, v[26:27]
	v_add_u32_e32 v28, s52, v90
	v_add_co_u32_e32 v26, vcc, s6, v26
	v_ashrrev_i32_e32 v29, 31, v28
	v_addc_co_u32_e32 v27, vcc, v93, v27, vcc
	v_lshlrev_b64 v[28:29], 2, v[28:29]
	v_add_u32_e32 v30, s53, v90
	v_add_co_u32_e32 v28, vcc, s6, v28
	v_ashrrev_i32_e32 v31, 31, v30
	v_addc_co_u32_e32 v29, vcc, v93, v29, vcc
	;; [unrolled: 5-line block ×3, first 2 shown]
	v_lshlrev_b64 v[32:33], 2, v[32:33]
	v_add_co_u32_e32 v32, vcc, s6, v32
	v_addc_co_u32_e32 v33, vcc, v93, v33, vcc
	v_add_co_u32_e32 v36, vcc, s6, v36
	v_addc_co_u32_e32 v37, vcc, v93, v37, vcc
	;; [unrolled: 2-line block ×5, first 2 shown]
	global_load_dword v35, v[26:27], off
	global_load_dword v44, v[28:29], off
	global_load_dword v45, v[30:31], off
	global_load_dword v46, v[32:33], off
	global_load_dword v47, v[36:37], off
	global_load_dword v48, v[38:39], off
	global_load_dword v49, v[40:41], off
	global_load_dword v50, v[42:43], off
	v_add_u32_e32 v26, s59, v90
	v_ashrrev_i32_e32 v27, 31, v26
	v_lshlrev_b64 v[26:27], 2, v[26:27]
	v_add_u32_e32 v28, s60, v90
	v_add_co_u32_e32 v26, vcc, s6, v26
	v_ashrrev_i32_e32 v29, 31, v28
	v_addc_co_u32_e32 v27, vcc, v93, v27, vcc
	v_lshlrev_b64 v[28:29], 2, v[28:29]
	v_add_u32_e32 v30, s61, v90
	v_add_co_u32_e32 v28, vcc, s6, v28
	v_ashrrev_i32_e32 v31, 31, v30
	v_addc_co_u32_e32 v29, vcc, v93, v29, vcc
	v_lshlrev_b64 v[30:31], 2, v[30:31]
	v_add_u32_e32 v32, s62, v90
	v_add_co_u32_e32 v30, vcc, s6, v30
	v_ashrrev_i32_e32 v33, 31, v32
	v_addc_co_u32_e32 v31, vcc, v93, v31, vcc
	v_lshlrev_b64 v[32:33], 2, v[32:33]
	v_add_u32_e32 v36, s63, v90
	v_add_co_u32_e32 v32, vcc, s6, v32
	v_ashrrev_i32_e32 v37, 31, v36
	v_addc_co_u32_e32 v33, vcc, v93, v33, vcc
	v_lshlrev_b64 v[36:37], 2, v[36:37]
	v_add_u32_e32 v38, s64, v90
	v_add_co_u32_e32 v36, vcc, s6, v36
	v_ashrrev_i32_e32 v39, 31, v38
	v_addc_co_u32_e32 v37, vcc, v93, v37, vcc
	v_lshlrev_b64 v[38:39], 2, v[38:39]
	v_add_u32_e32 v40, s65, v90
	v_add_co_u32_e32 v38, vcc, s6, v38
	v_ashrrev_i32_e32 v41, 31, v40
	v_addc_co_u32_e32 v39, vcc, v93, v39, vcc
	v_lshlrev_b64 v[40:41], 2, v[40:41]
	v_add_u32_e32 v42, s66, v90
	v_add_co_u32_e32 v40, vcc, s6, v40
	v_ashrrev_i32_e32 v43, 31, v42
	v_addc_co_u32_e32 v41, vcc, v93, v41, vcc
	v_lshlrev_b64 v[42:43], 2, v[42:43]
	v_add_co_u32_e32 v42, vcc, s6, v42
	v_addc_co_u32_e32 v43, vcc, v93, v43, vcc
	global_load_dword v51, v[26:27], off
	global_load_dword v52, v[28:29], off
	global_load_dword v53, v[30:31], off
	global_load_dword v54, v[32:33], off
	global_load_dword v55, v[36:37], off
	global_load_dword v56, v[38:39], off
	global_load_dword v57, v[40:41], off
	global_load_dword v58, v[42:43], off
	v_add_u32_e32 v26, s67, v90
	v_ashrrev_i32_e32 v27, 31, v26
	v_lshlrev_b64 v[26:27], 2, v[26:27]
	v_add_u32_e32 v28, s68, v90
	v_add_co_u32_e32 v26, vcc, s6, v26
	v_ashrrev_i32_e32 v29, 31, v28
	v_addc_co_u32_e32 v27, vcc, v93, v27, vcc
	v_lshlrev_b64 v[28:29], 2, v[28:29]
	v_add_u32_e32 v30, s69, v90
	v_add_co_u32_e32 v28, vcc, s6, v28
	v_ashrrev_i32_e32 v31, 31, v30
	v_addc_co_u32_e32 v29, vcc, v93, v29, vcc
	v_lshlrev_b64 v[30:31], 2, v[30:31]
	v_add_u32_e32 v32, s70, v90
	v_add_co_u32_e32 v30, vcc, s6, v30
	v_ashrrev_i32_e32 v33, 31, v32
	v_addc_co_u32_e32 v31, vcc, v93, v31, vcc
	v_lshlrev_b64 v[32:33], 2, v[32:33]
	v_add_u32_e32 v36, s71, v90
	v_add_co_u32_e32 v32, vcc, s6, v32
	v_ashrrev_i32_e32 v37, 31, v36
	v_addc_co_u32_e32 v33, vcc, v93, v33, vcc
	v_lshlrev_b64 v[36:37], 2, v[36:37]
	v_add_u32_e32 v38, s72, v90
	v_add_co_u32_e32 v36, vcc, s6, v36
	v_ashrrev_i32_e32 v39, 31, v38
	v_addc_co_u32_e32 v37, vcc, v93, v37, vcc
	v_lshlrev_b64 v[38:39], 2, v[38:39]
	v_add_u32_e32 v40, s73, v90
	v_add_co_u32_e32 v38, vcc, s6, v38
	v_ashrrev_i32_e32 v41, 31, v40
	v_addc_co_u32_e32 v39, vcc, v93, v39, vcc
	v_lshlrev_b64 v[40:41], 2, v[40:41]
	v_add_u32_e32 v42, s74, v90
	v_add_co_u32_e32 v40, vcc, s6, v40
	v_ashrrev_i32_e32 v43, 31, v42
	v_addc_co_u32_e32 v41, vcc, v93, v41, vcc
	v_lshlrev_b64 v[42:43], 2, v[42:43]
	v_add_co_u32_e32 v42, vcc, s6, v42
	v_addc_co_u32_e32 v43, vcc, v93, v43, vcc
	;; [unrolled: 48-line block ×4, first 2 shown]
	global_load_dword v75, v[26:27], off
	global_load_dword v76, v[28:29], off
	;; [unrolled: 1-line block ×8, first 2 shown]
	v_add_u32_e32 v26, s90, v90
	v_ashrrev_i32_e32 v27, 31, v26
	v_lshlrev_b64 v[26:27], 2, v[26:27]
	v_add_u32_e32 v28, s91, v90
	v_add_co_u32_e32 v26, vcc, s6, v26
	v_ashrrev_i32_e32 v29, 31, v28
	v_addc_co_u32_e32 v27, vcc, v93, v27, vcc
	v_lshlrev_b64 v[28:29], 2, v[28:29]
	v_add_u32_e32 v30, s92, v90
	v_add_co_u32_e32 v28, vcc, s6, v28
	v_ashrrev_i32_e32 v31, 31, v30
	v_addc_co_u32_e32 v29, vcc, v93, v29, vcc
	v_lshlrev_b64 v[30:31], 2, v[30:31]
	v_add_u32_e32 v32, s93, v90
	v_add_co_u32_e32 v30, vcc, s6, v30
	v_ashrrev_i32_e32 v33, 31, v32
	v_addc_co_u32_e32 v31, vcc, v93, v31, vcc
	v_lshlrev_b64 v[32:33], 2, v[32:33]
	v_add_u32_e32 v36, s94, v90
	v_add_co_u32_e32 v32, vcc, s6, v32
	v_ashrrev_i32_e32 v37, 31, v36
	v_addc_co_u32_e32 v33, vcc, v93, v33, vcc
	v_lshlrev_b64 v[36:37], 2, v[36:37]
	v_add_u32_e32 v38, s20, v90
	v_add_co_u32_e32 v36, vcc, s6, v36
	v_ashrrev_i32_e32 v39, 31, v38
	v_addc_co_u32_e32 v37, vcc, v93, v37, vcc
	v_lshlrev_b64 v[38:39], 2, v[38:39]
	v_add_co_u32_e32 v38, vcc, s6, v38
	v_addc_co_u32_e32 v39, vcc, v93, v39, vcc
	global_load_dword v83, v[26:27], off
	global_load_dword v96, v[28:29], off
	;; [unrolled: 1-line block ×6, first 2 shown]
	s_waitcnt vmcnt(54)
	ds_write_b32 v91, v12 offset:2376
	s_waitcnt vmcnt(53)
	ds_write_b32 v91, v20 offset:2640
	;; [unrolled: 2-line block ×7, first 2 shown]
	global_load_dwordx2 v[84:85], v[18:19], off
	ds_read_b64 v[38:39], v92
	ds_read_b64 v[32:33], v92 offset:32
	ds_read_b64 v[30:31], v92 offset:64
	ds_read_b64 v[28:29], v92 offset:96
	ds_read_b64 v[26:27], v92 offset:128
	ds_read_b64 v[24:25], v92 offset:160
	ds_read_b64 v[22:23], v92 offset:192
	ds_read_b64 v[20:21], v92 offset:224
	s_waitcnt vmcnt(48)
	ds_write_b32 v91, v13
	s_waitcnt vmcnt(47)
	ds_write_b32 v91, v34 offset:264
	s_waitcnt vmcnt(46)
	ds_write_b32 v91, v35 offset:528
	s_waitcnt vmcnt(45)
	ds_write_b32 v91, v44 offset:792
	s_waitcnt vmcnt(44)
	ds_write_b32 v91, v45 offset:1056
	s_waitcnt vmcnt(43)
	ds_write_b32 v91, v46 offset:1320
	s_waitcnt vmcnt(42)
	ds_write_b32 v91, v47 offset:1584
	s_waitcnt vmcnt(41)
	ds_write_b32 v91, v48 offset:1848
	s_waitcnt vmcnt(40)
	ds_write_b32 v91, v49 offset:2112
	s_waitcnt vmcnt(39)
	ds_write_b32 v91, v50 offset:2376
	s_waitcnt vmcnt(38)
	ds_write_b32 v91, v51 offset:2640
	s_waitcnt vmcnt(37)
	ds_write_b32 v91, v52 offset:2904
	s_waitcnt vmcnt(36)
	ds_write_b32 v91, v53 offset:3168
	s_waitcnt vmcnt(35)
	ds_write_b32 v91, v54 offset:3432
	s_waitcnt vmcnt(34)
	ds_write_b32 v91, v55 offset:3696
	s_waitcnt vmcnt(33)
	ds_write_b32 v91, v56 offset:3960
	ds_read_b64 v[52:53], v92
	ds_read_b64 v[50:51], v92 offset:32
	ds_read_b64 v[46:47], v92 offset:64
	ds_read_b64 v[44:45], v92 offset:96
	ds_read_b64 v[42:43], v92 offset:128
	ds_read_b64 v[40:41], v92 offset:160
	ds_read_b64 v[36:37], v92 offset:192
	ds_read_b64 v[34:35], v92 offset:224
	s_waitcnt vmcnt(32)
	ds_write_b32 v91, v57
	s_waitcnt vmcnt(31)
	ds_write_b32 v91, v58 offset:264
	s_waitcnt vmcnt(30)
	ds_write_b32 v91, v59 offset:528
	s_waitcnt vmcnt(29)
	ds_write_b32 v91, v60 offset:792
	s_waitcnt vmcnt(28)
	ds_write_b32 v91, v61 offset:1056
	s_waitcnt vmcnt(27)
	ds_write_b32 v91, v62 offset:1320
	s_waitcnt vmcnt(26)
	ds_write_b32 v91, v63 offset:1584
	s_waitcnt vmcnt(25)
	ds_write_b32 v91, v64 offset:1848
	s_waitcnt vmcnt(24)
	ds_write_b32 v91, v65 offset:2112
	s_waitcnt vmcnt(23)
	ds_write_b32 v91, v66 offset:2376
	s_waitcnt vmcnt(22)
	ds_write_b32 v91, v67 offset:2640
	s_waitcnt vmcnt(21)
	ds_write_b32 v91, v68 offset:2904
	s_waitcnt vmcnt(20)
	ds_write_b32 v91, v69 offset:3168
	s_waitcnt vmcnt(19)
	ds_write_b32 v91, v70 offset:3432
	s_waitcnt vmcnt(18)
	ds_write_b32 v91, v71 offset:3696
	s_waitcnt vmcnt(17)
	ds_write_b32 v91, v72 offset:3960
	;; [unrolled: 40-line block ×3, first 2 shown]
	ds_read_b64 v[82:83], v92
	ds_read_b64 v[80:81], v92 offset:32
	ds_read_b64 v[78:79], v92 offset:64
	;; [unrolled: 1-line block ×7, first 2 shown]
	s_waitcnt vmcnt(0)
	v_and_b32_e32 v96, 0x7f800000, v84
	v_accvgpr_read_b32 v1, a13
	v_accvgpr_read_b32 v0, a12
	;; [unrolled: 1-line block ×14, first 2 shown]
	v_cmp_ne_u32_e32 vcc, s95, v96
                                        ; implicit-def: $vgpr96
	s_and_saveexec_b64 s[16:17], vcc
	s_xor_b64 s[16:17], exec, s[16:17]
; %bb.6:                                ;   in Loop: Header=BB128_5 Depth=1
	v_bfe_u32 v96, v84, 16, 1
	v_add3_u32 v96, v84, v96, s10
; %bb.7:                                ;   in Loop: Header=BB128_5 Depth=1
	s_andn2_saveexec_b64 s[16:17], s[16:17]
; %bb.8:                                ;   in Loop: Header=BB128_5 Depth=1
	v_or_b32_e32 v96, 0x10000, v84
	v_cmp_eq_u32_sdwa vcc, v84, v94 src0_sel:WORD_0 src1_sel:DWORD
	v_cndmask_b32_e32 v96, v96, v84, vcc
; %bb.9:                                ;   in Loop: Header=BB128_5 Depth=1
	s_or_b64 exec, exec, s[16:17]
	v_and_b32_e32 v84, 0x7f800000, v85
	v_cmp_ne_u32_e32 vcc, s95, v84
                                        ; implicit-def: $vgpr97
	s_and_saveexec_b64 s[16:17], vcc
	s_xor_b64 s[16:17], exec, s[16:17]
; %bb.10:                               ;   in Loop: Header=BB128_5 Depth=1
	v_bfe_u32 v84, v85, 16, 1
	v_add3_u32 v97, v85, v84, s10
                                        ; implicit-def: $vgpr84_vgpr85
; %bb.11:                               ;   in Loop: Header=BB128_5 Depth=1
	s_andn2_saveexec_b64 s[16:17], s[16:17]
; %bb.12:                               ;   in Loop: Header=BB128_5 Depth=1
	v_or_b32_e32 v84, 0x10000, v85
	v_cmp_eq_u32_sdwa vcc, v85, v94 src0_sel:WORD_0 src1_sel:DWORD
	v_cndmask_b32_e32 v97, v84, v85, vcc
; %bb.13:                               ;   in Loop: Header=BB128_5 Depth=1
	s_or_b64 exec, exec, s[16:17]
	v_mov_b32_e32 v85, s13
	v_add_co_u32_e32 v84, vcc, s12, v18
	v_addc_co_u32_e32 v85, vcc, v19, v85, vcc
	global_load_dwordx2 v[84:85], v[84:85], off
	v_perm_b32 v96, v97, v96, s11
	ds_write_b32 v91, v96
	s_waitcnt vmcnt(0)
	v_and_b32_e32 v96, 0x7f800000, v84
	v_cmp_ne_u32_e32 vcc, s95, v96
                                        ; implicit-def: $vgpr96
	s_and_saveexec_b64 s[16:17], vcc
	s_xor_b64 s[16:17], exec, s[16:17]
; %bb.14:                               ;   in Loop: Header=BB128_5 Depth=1
	v_bfe_u32 v96, v84, 16, 1
	v_add3_u32 v96, v84, v96, s10
; %bb.15:                               ;   in Loop: Header=BB128_5 Depth=1
	s_andn2_saveexec_b64 s[16:17], s[16:17]
; %bb.16:                               ;   in Loop: Header=BB128_5 Depth=1
	v_or_b32_e32 v96, 0x10000, v84
	v_cmp_eq_u32_sdwa vcc, v84, v94 src0_sel:WORD_0 src1_sel:DWORD
	v_cndmask_b32_e32 v96, v96, v84, vcc
; %bb.17:                               ;   in Loop: Header=BB128_5 Depth=1
	s_or_b64 exec, exec, s[16:17]
	v_and_b32_e32 v84, 0x7f800000, v85
	v_cmp_ne_u32_e32 vcc, s95, v84
                                        ; implicit-def: $vgpr97
	s_and_saveexec_b64 s[16:17], vcc
	s_xor_b64 s[16:17], exec, s[16:17]
; %bb.18:                               ;   in Loop: Header=BB128_5 Depth=1
	v_bfe_u32 v84, v85, 16, 1
	v_add3_u32 v97, v85, v84, s10
                                        ; implicit-def: $vgpr84_vgpr85
; %bb.19:                               ;   in Loop: Header=BB128_5 Depth=1
	s_andn2_saveexec_b64 s[16:17], s[16:17]
; %bb.20:                               ;   in Loop: Header=BB128_5 Depth=1
	v_or_b32_e32 v84, 0x10000, v85
	v_cmp_eq_u32_sdwa vcc, v85, v94 src0_sel:WORD_0 src1_sel:DWORD
	v_cndmask_b32_e32 v97, v84, v85, vcc
; %bb.21:                               ;   in Loop: Header=BB128_5 Depth=1
	s_or_b64 exec, exec, s[16:17]
	v_add_u32_e32 v84, s21, v90
	v_ashrrev_i32_e32 v85, 31, v84
	v_lshlrev_b64 v[84:85], 3, v[84:85]
	v_mov_b32_e32 v98, s18
	v_add_co_u32_e32 v84, vcc, s14, v84
	v_addc_co_u32_e32 v85, vcc, v98, v85, vcc
	global_load_dwordx2 v[84:85], v[84:85], off
	v_perm_b32 v96, v97, v96, s11
	ds_write_b32 v91, v96 offset:264
	s_waitcnt vmcnt(0)
	v_and_b32_e32 v96, 0x7f800000, v84
	v_cmp_ne_u32_e32 vcc, s95, v96
                                        ; implicit-def: $vgpr96
	s_and_saveexec_b64 s[16:17], vcc
	s_xor_b64 s[16:17], exec, s[16:17]
; %bb.22:                               ;   in Loop: Header=BB128_5 Depth=1
	v_bfe_u32 v96, v84, 16, 1
	v_add3_u32 v96, v84, v96, s10
; %bb.23:                               ;   in Loop: Header=BB128_5 Depth=1
	s_andn2_saveexec_b64 s[16:17], s[16:17]
; %bb.24:                               ;   in Loop: Header=BB128_5 Depth=1
	v_or_b32_e32 v96, 0x10000, v84
	v_cmp_eq_u32_sdwa vcc, v84, v94 src0_sel:WORD_0 src1_sel:DWORD
	v_cndmask_b32_e32 v96, v96, v84, vcc
; %bb.25:                               ;   in Loop: Header=BB128_5 Depth=1
	s_or_b64 exec, exec, s[16:17]
	v_and_b32_e32 v84, 0x7f800000, v85
	v_cmp_ne_u32_e32 vcc, s95, v84
                                        ; implicit-def: $vgpr97
	s_and_saveexec_b64 s[16:17], vcc
	s_xor_b64 s[16:17], exec, s[16:17]
; %bb.26:                               ;   in Loop: Header=BB128_5 Depth=1
	v_bfe_u32 v84, v85, 16, 1
	v_add3_u32 v97, v85, v84, s10
                                        ; implicit-def: $vgpr84_vgpr85
; %bb.27:                               ;   in Loop: Header=BB128_5 Depth=1
	s_andn2_saveexec_b64 s[16:17], s[16:17]
; %bb.28:                               ;   in Loop: Header=BB128_5 Depth=1
	v_or_b32_e32 v84, 0x10000, v85
	v_cmp_eq_u32_sdwa vcc, v85, v94 src0_sel:WORD_0 src1_sel:DWORD
	v_cndmask_b32_e32 v97, v84, v85, vcc
; %bb.29:                               ;   in Loop: Header=BB128_5 Depth=1
	s_or_b64 exec, exec, s[16:17]
	v_add_u32_e32 v84, s22, v90
	v_ashrrev_i32_e32 v85, 31, v84
	v_lshlrev_b64 v[84:85], 3, v[84:85]
	v_mov_b32_e32 v98, s18
	v_add_co_u32_e32 v84, vcc, s14, v84
	v_addc_co_u32_e32 v85, vcc, v98, v85, vcc
	global_load_dwordx2 v[84:85], v[84:85], off
	v_perm_b32 v96, v97, v96, s11
	ds_write_b32 v91, v96 offset:528
	;; [unrolled: 43-line block ×10, first 2 shown]
	s_waitcnt vmcnt(0)
	v_and_b32_e32 v96, 0x7f800000, v84
	v_cmp_ne_u32_e32 vcc, s95, v96
                                        ; implicit-def: $vgpr96
	s_and_saveexec_b64 s[16:17], vcc
	s_xor_b64 s[16:17], exec, s[16:17]
; %bb.94:                               ;   in Loop: Header=BB128_5 Depth=1
	v_bfe_u32 v96, v84, 16, 1
	v_add3_u32 v96, v84, v96, s10
; %bb.95:                               ;   in Loop: Header=BB128_5 Depth=1
	s_andn2_saveexec_b64 s[16:17], s[16:17]
; %bb.96:                               ;   in Loop: Header=BB128_5 Depth=1
	v_or_b32_e32 v96, 0x10000, v84
	v_cmp_eq_u32_sdwa vcc, v84, v94 src0_sel:WORD_0 src1_sel:DWORD
	v_cndmask_b32_e32 v96, v96, v84, vcc
; %bb.97:                               ;   in Loop: Header=BB128_5 Depth=1
	s_or_b64 exec, exec, s[16:17]
	v_and_b32_e32 v84, 0x7f800000, v85
	v_cmp_ne_u32_e32 vcc, s95, v84
                                        ; implicit-def: $vgpr97
	s_and_saveexec_b64 s[16:17], vcc
	s_xor_b64 s[16:17], exec, s[16:17]
; %bb.98:                               ;   in Loop: Header=BB128_5 Depth=1
	v_bfe_u32 v84, v85, 16, 1
	v_add3_u32 v97, v85, v84, s10
                                        ; implicit-def: $vgpr84_vgpr85
; %bb.99:                               ;   in Loop: Header=BB128_5 Depth=1
	s_andn2_saveexec_b64 s[16:17], s[16:17]
; %bb.100:                              ;   in Loop: Header=BB128_5 Depth=1
	v_or_b32_e32 v84, 0x10000, v85
	v_cmp_eq_u32_sdwa vcc, v85, v94 src0_sel:WORD_0 src1_sel:DWORD
	v_cndmask_b32_e32 v97, v84, v85, vcc
; %bb.101:                              ;   in Loop: Header=BB128_5 Depth=1
	s_or_b64 exec, exec, s[16:17]
	v_add_u32_e32 v84, s34, v90
	v_ashrrev_i32_e32 v85, 31, v84
	v_lshlrev_b64 v[84:85], 3, v[84:85]
	v_mov_b32_e32 v98, s18
	v_add_co_u32_e32 v84, vcc, s14, v84
	v_addc_co_u32_e32 v85, vcc, v98, v85, vcc
	global_load_dwordx2 v[84:85], v[84:85], off
	v_perm_b32 v96, v97, v96, s11
	ds_write_b32 v91, v96 offset:2904
	s_waitcnt vmcnt(0)
	v_and_b32_e32 v96, 0x7f800000, v84
	v_cmp_ne_u32_e32 vcc, s95, v96
                                        ; implicit-def: $vgpr96
	s_and_saveexec_b64 s[16:17], vcc
	s_xor_b64 s[16:17], exec, s[16:17]
; %bb.102:                              ;   in Loop: Header=BB128_5 Depth=1
	v_bfe_u32 v96, v84, 16, 1
	v_add3_u32 v96, v84, v96, s10
; %bb.103:                              ;   in Loop: Header=BB128_5 Depth=1
	s_andn2_saveexec_b64 s[16:17], s[16:17]
; %bb.104:                              ;   in Loop: Header=BB128_5 Depth=1
	v_or_b32_e32 v96, 0x10000, v84
	v_cmp_eq_u32_sdwa vcc, v84, v94 src0_sel:WORD_0 src1_sel:DWORD
	v_cndmask_b32_e32 v96, v96, v84, vcc
; %bb.105:                              ;   in Loop: Header=BB128_5 Depth=1
	s_or_b64 exec, exec, s[16:17]
	v_and_b32_e32 v84, 0x7f800000, v85
	v_cmp_ne_u32_e32 vcc, s95, v84
                                        ; implicit-def: $vgpr97
	s_and_saveexec_b64 s[16:17], vcc
	s_xor_b64 s[16:17], exec, s[16:17]
; %bb.106:                              ;   in Loop: Header=BB128_5 Depth=1
	v_bfe_u32 v84, v85, 16, 1
	v_add3_u32 v97, v85, v84, s10
                                        ; implicit-def: $vgpr84_vgpr85
; %bb.107:                              ;   in Loop: Header=BB128_5 Depth=1
	s_andn2_saveexec_b64 s[16:17], s[16:17]
	s_cbranch_execz .LBB128_4
; %bb.108:                              ;   in Loop: Header=BB128_5 Depth=1
	v_or_b32_e32 v84, 0x10000, v85
	v_cmp_eq_u32_sdwa vcc, v85, v94 src0_sel:WORD_0 src1_sel:DWORD
	v_cndmask_b32_e32 v97, v84, v85, vcc
	s_branch .LBB128_4
.LBB128_109:
	s_or_b64 exec, exec, s[0:1]
	v_readlane_b32 s10, v101, 0
	v_readlane_b32 s11, v101, 1
.LBB128_110:
	s_or_b64 exec, exec, s[24:25]
	v_mul_u32_u24_e32 v0, 0x208, v89
	v_lshlrev_b32_e32 v1, 2, v88
	v_or_b32_e32 v2, 12, v87
	s_mul_hi_i32 s1, s19, s8
	s_mul_i32 s0, s19, s8
	v_add3_u32 v0, 0, v0, v1
	v_and_b32_e32 v1, 0x3f0, v87
	v_and_b32_e32 v2, 0x3fc, v2
	s_lshl_b64 s[0:1], s[0:1], 2
	v_add_u32_e32 v1, v0, v1
	v_add_u32_e32 v0, v0, v2
	s_waitcnt lgkmcnt(0)
	s_add_u32 s6, s10, s0
	s_barrier
	s_movk_i32 s0, 0x208
	ds_write2_b32 v1, a12, a13 offset1:1
	ds_write_b32 v1, a14 offset:8
	ds_write_b32 v0, a15
	ds_write2_b32 v1, a8, a9 offset0:16 offset1:17
	ds_write_b32 v1, a10 offset:72
	ds_write_b32 v0, a11 offset:64
	ds_write2_b32 v1, a4, a5 offset0:32 offset1:33
	ds_write_b32 v1, a6 offset:136
	ds_write_b32 v0, a7 offset:128
	;; [unrolled: 3-line block ×3, first 2 shown]
	v_lshl_add_u32 v1, v87, 2, 0
	v_mad_u32_u24 v8, v86, s0, v1
	s_waitcnt lgkmcnt(0)
	s_barrier
	ds_read2st64_b32 v[2:3], v8 offset1:1
	s_mul_i32 s4, s7, s15
	s_addc_u32 s7, s11, s1
	s_ashr_i32 s5, s4, 31
	v_add_u32_e32 v0, s3, v87
	s_waitcnt lgkmcnt(0)
	v_add_f32_e32 v2, 0, v2
	v_add_u32_e32 v6, 16, v8
	s_lshl_b64 s[0:1], s[4:5], 2
	v_add_f32_e32 v9, v2, v3
	v_mad_u64_u32 v[2:3], s[4:5], v86, s2, v[0:1]
	ds_read2st64_b32 v[6:7], v6 offset0:4 offset1:5
	s_add_u32 s0, s6, s0
	v_mov_b32_e32 v3, 0
	s_addc_u32 s1, s7, s1
	v_lshlrev_b64 v[4:5], 2, v[2:3]
	v_mov_b32_e32 v10, s1
	v_add_co_u32_e32 v4, vcc, s0, v4
	v_addc_co_u32_e32 v5, vcc, v10, v5, vcc
	global_store_dword v[4:5], v9, off
	s_waitcnt lgkmcnt(0)
	v_add_f32_e32 v4, 0, v6
	v_add_u32_e32 v6, 32, v8
	v_add_f32_e32 v9, v4, v7
	s_lshl_b32 s3, s2, 1
	ds_read2st64_b32 v[6:7], v6 offset0:8 offset1:9
	v_add_u32_e32 v2, s3, v2
	v_lshlrev_b64 v[4:5], 2, v[2:3]
	v_add_co_u32_e32 v4, vcc, s0, v4
	v_addc_co_u32_e32 v5, vcc, v10, v5, vcc
	global_store_dword v[4:5], v9, off
	s_waitcnt lgkmcnt(0)
	v_add_f32_e32 v4, 0, v6
	v_add_u32_e32 v6, 48, v8
	v_add_f32_e32 v9, v4, v7
	ds_read2st64_b32 v[6:7], v6 offset0:12 offset1:13
	v_add_u32_e32 v2, s3, v2
	v_lshlrev_b64 v[4:5], 2, v[2:3]
	v_add_co_u32_e32 v4, vcc, s0, v4
	v_addc_co_u32_e32 v5, vcc, v10, v5, vcc
	global_store_dword v[4:5], v9, off
	s_waitcnt lgkmcnt(0)
	v_add_f32_e32 v4, 0, v6
	v_add_u32_e32 v6, 64, v8
	v_add_f32_e32 v9, v4, v7
	;; [unrolled: 10-line block ×4, first 2 shown]
	v_lshlrev_b64 v[4:5], 2, v[2:3]
	v_mov_b32_e32 v2, s1
	v_add_co_u32_e32 v4, vcc, s0, v4
	v_addc_co_u32_e32 v5, vcc, v2, v5, vcc
	v_cmp_eq_u32_e32 vcc, 0, v86
	global_store_dword v[4:5], v6, off
	s_and_saveexec_b64 s[4:5], vcc
	s_cbranch_execz .LBB128_112
; %bb.111:
	v_add_u32_e32 v1, 0x60, v1
	ds_read2st64_b32 v[4:5], v1 offset0:24 offset1:25
	v_mad_u64_u32 v[0:1], s[2:3], s2, 12, v[0:1]
	v_mov_b32_e32 v1, v3
	v_lshlrev_b64 v[0:1], 2, v[0:1]
	s_waitcnt lgkmcnt(0)
	v_add_f32_e32 v2, 0, v4
	v_mov_b32_e32 v3, s1
	v_add_co_u32_e32 v0, vcc, s0, v0
	v_add_f32_e32 v2, v2, v5
	v_addc_co_u32_e32 v1, vcc, v3, v1, vcc
	global_store_dword v[0:1], v2, off
.LBB128_112:
	s_endpgm
	.section	.rodata,"a",@progbits
	.p2align	6, 0x0
	.amdhsa_kernel _ZL9mul_mat_fI15__hip_bfloat162Li64ELi13ELi2ELb0EEvPKT_PKfPKiPfiiiiiiiiiiiiiiii
		.amdhsa_group_segment_fixed_size 0
		.amdhsa_private_segment_fixed_size 0
		.amdhsa_kernarg_size 96
		.amdhsa_user_sgpr_count 6
		.amdhsa_user_sgpr_private_segment_buffer 1
		.amdhsa_user_sgpr_dispatch_ptr 0
		.amdhsa_user_sgpr_queue_ptr 0
		.amdhsa_user_sgpr_kernarg_segment_ptr 1
		.amdhsa_user_sgpr_dispatch_id 0
		.amdhsa_user_sgpr_flat_scratch_init 0
		.amdhsa_user_sgpr_kernarg_preload_length 0
		.amdhsa_user_sgpr_kernarg_preload_offset 0
		.amdhsa_user_sgpr_private_segment_size 0
		.amdhsa_uses_dynamic_stack 0
		.amdhsa_system_sgpr_private_segment_wavefront_offset 0
		.amdhsa_system_sgpr_workgroup_id_x 1
		.amdhsa_system_sgpr_workgroup_id_y 1
		.amdhsa_system_sgpr_workgroup_id_z 1
		.amdhsa_system_sgpr_workgroup_info 0
		.amdhsa_system_vgpr_workitem_id 1
		.amdhsa_next_free_vgpr 128
		.amdhsa_next_free_sgpr 96
		.amdhsa_accum_offset 104
		.amdhsa_reserve_vcc 1
		.amdhsa_reserve_flat_scratch 0
		.amdhsa_float_round_mode_32 0
		.amdhsa_float_round_mode_16_64 0
		.amdhsa_float_denorm_mode_32 3
		.amdhsa_float_denorm_mode_16_64 3
		.amdhsa_dx10_clamp 1
		.amdhsa_ieee_mode 1
		.amdhsa_fp16_overflow 0
		.amdhsa_tg_split 0
		.amdhsa_exception_fp_ieee_invalid_op 0
		.amdhsa_exception_fp_denorm_src 0
		.amdhsa_exception_fp_ieee_div_zero 0
		.amdhsa_exception_fp_ieee_overflow 0
		.amdhsa_exception_fp_ieee_underflow 0
		.amdhsa_exception_fp_ieee_inexact 0
		.amdhsa_exception_int_div_zero 0
	.end_amdhsa_kernel
	.section	.text._ZL9mul_mat_fI15__hip_bfloat162Li64ELi13ELi2ELb0EEvPKT_PKfPKiPfiiiiiiiiiiiiiiii,"axG",@progbits,_ZL9mul_mat_fI15__hip_bfloat162Li64ELi13ELi2ELb0EEvPKT_PKfPKiPfiiiiiiiiiiiiiiii,comdat
.Lfunc_end128:
	.size	_ZL9mul_mat_fI15__hip_bfloat162Li64ELi13ELi2ELb0EEvPKT_PKfPKiPfiiiiiiiiiiiiiiii, .Lfunc_end128-_ZL9mul_mat_fI15__hip_bfloat162Li64ELi13ELi2ELb0EEvPKT_PKfPKiPfiiiiiiiiiiiiiiii
                                        ; -- End function
	.section	.AMDGPU.csdata,"",@progbits
; Kernel info:
; codeLenInByte = 7892
; NumSgprs: 100
; NumVgprs: 102
; NumAgprs: 24
; TotalNumVgprs: 128
; ScratchSize: 0
; MemoryBound: 0
; FloatMode: 240
; IeeeMode: 1
; LDSByteSize: 0 bytes/workgroup (compile time only)
; SGPRBlocks: 12
; VGPRBlocks: 15
; NumSGPRsForWavesPerEU: 100
; NumVGPRsForWavesPerEU: 128
; AccumOffset: 104
; Occupancy: 4
; WaveLimiterHint : 0
; COMPUTE_PGM_RSRC2:SCRATCH_EN: 0
; COMPUTE_PGM_RSRC2:USER_SGPR: 6
; COMPUTE_PGM_RSRC2:TRAP_HANDLER: 0
; COMPUTE_PGM_RSRC2:TGID_X_EN: 1
; COMPUTE_PGM_RSRC2:TGID_Y_EN: 1
; COMPUTE_PGM_RSRC2:TGID_Z_EN: 1
; COMPUTE_PGM_RSRC2:TIDIG_COMP_CNT: 1
; COMPUTE_PGM_RSRC3_GFX90A:ACCUM_OFFSET: 25
; COMPUTE_PGM_RSRC3_GFX90A:TG_SPLIT: 0
	.section	.text._ZL13mul_mat_f_idsI15__hip_bfloat162Li64ELi13ELi3EEvPKT_PKfPKiS7_S7_Pfiiiiiiiiiiiiii15HIP_vector_typeIjLj3EESA_,"axG",@progbits,_ZL13mul_mat_f_idsI15__hip_bfloat162Li64ELi13ELi3EEvPKT_PKfPKiS7_S7_Pfiiiiiiiiiiiiii15HIP_vector_typeIjLj3EESA_,comdat
	.globl	_ZL13mul_mat_f_idsI15__hip_bfloat162Li64ELi13ELi3EEvPKT_PKfPKiS7_S7_Pfiiiiiiiiiiiiii15HIP_vector_typeIjLj3EESA_ ; -- Begin function _ZL13mul_mat_f_idsI15__hip_bfloat162Li64ELi13ELi3EEvPKT_PKfPKiS7_S7_Pfiiiiiiiiiiiiii15HIP_vector_typeIjLj3EESA_
	.p2align	8
	.type	_ZL13mul_mat_f_idsI15__hip_bfloat162Li64ELi13ELi3EEvPKT_PKfPKiS7_S7_Pfiiiiiiiiiiiiii15HIP_vector_typeIjLj3EESA_,@function
_ZL13mul_mat_f_idsI15__hip_bfloat162Li64ELi13ELi3EEvPKT_PKfPKiS7_S7_Pfiiiiiiiiiiiiii15HIP_vector_typeIjLj3EESA_: ; @_ZL13mul_mat_f_idsI15__hip_bfloat162Li64ELi13ELi3EEvPKT_PKfPKiS7_S7_Pfiiiiiiiiiiiiii15HIP_vector_typeIjLj3EESA_
; %bb.0:
	s_load_dwordx2 s[0:1], s[4:5], 0x20
	s_mov_b32 s34, s7
	s_ashr_i32 s35, s7, 31
	s_lshl_b64 s[2:3], s[34:35], 2
	s_waitcnt lgkmcnt(0)
	s_add_u32 s0, s0, s2
	s_addc_u32 s1, s1, s3
	s_load_dwordx2 s[26:27], s[0:1], 0x0
	s_waitcnt lgkmcnt(0)
	s_sub_i32 s33, s27, s26
	s_add_i32 s0, s33, 12
	s_mul_hi_i32 s0, s0, 0x4ec4ec4f
	s_lshr_b32 s1, s0, 31
	s_ashr_i32 s0, s0, 2
	s_add_i32 s0, s0, s1
	s_cmp_ge_i32 s8, s0
	s_cbranch_scc1 .LBB129_166
; %bb.1:
	v_bfe_u32 v108, v0, 10, 10
	v_lshlrev_b32_e32 v110, 6, v108
	v_and_b32_e32 v109, 0x3ff, v0
	s_load_dwordx4 s[12:15], s[4:5], 0x30
	s_load_dwordx2 s[20:21], s[4:5], 0x40
	s_load_dwordx4 s[0:3], s[4:5], 0x4c
	s_load_dwordx4 s[16:19], s[4:5], 0x68
	s_load_dwordx2 s[24:25], s[4:5], 0x78
	v_add_u32_e32 v112, v110, v109
	s_ashr_i32 s27, s26, 31
	s_waitcnt lgkmcnt(0)
	v_cmp_le_i32_e32 vcc, s12, v112
	v_and_b32_e32 v111, 15, v109
                                        ; implicit-def: $sgpr3
	s_and_saveexec_b64 s[10:11], vcc
	s_xor_b64 s[10:11], exec, s[10:11]
; %bb.2:
	v_and_b32_e32 v111, 15, v109
	s_mov_b32 s3, 0
                                        ; implicit-def: $vgpr112
; %bb.3:
	s_or_saveexec_b64 s[22:23], s[10:11]
	s_load_dwordx2 s[10:11], s[4:5], 0x18
                                        ; implicit-def: $vgpr119 : SGPR spill to VGPR lane
	s_lshl_b32 s7, s6, 6
	s_mul_i32 s6, s8, 13
	v_accvgpr_write_b32 a0, s3
	v_accvgpr_write_b32 a1, s3
	s_waitcnt lgkmcnt(0)
	v_writelane_b32 v119, s10, 0
	v_writelane_b32 v119, s11, 1
	s_load_dwordx2 s[10:11], s[4:5], 0x28
	v_accvgpr_write_b32 a2, s3
	v_accvgpr_write_b32 a3, s3
	;; [unrolled: 1-line block ×4, first 2 shown]
	s_waitcnt lgkmcnt(0)
	v_writelane_b32 v119, s10, 2
	v_writelane_b32 v119, s11, 3
	v_accvgpr_write_b32 a6, s3
	v_accvgpr_write_b32 a7, s3
	;; [unrolled: 1-line block ×10, first 2 shown]
	v_writelane_b32 v119, s22, 4
	v_writelane_b32 v119, s23, 5
	s_xor_b64 exec, exec, s[22:23]
	s_cbranch_execz .LBB129_150
; %bb.4:
	v_writelane_b32 v119, s24, 6
	v_writelane_b32 v119, s25, 7
	s_load_dwordx4 s[8:11], s[4:5], 0x0
	s_load_dwordx2 s[22:23], s[4:5], 0x10
	s_mul_i32 s4, s34, s0
	s_mul_i32 s24, s7, s15
	s_ashr_i32 s5, s4, 31
	s_ashr_i32 s25, s24, 31
	s_lshl_b64 s[24:25], s[24:25], 2
	s_lshl_b64 s[4:5], s[4:5], 2
	s_add_u32 s3, s4, s24
	s_addc_u32 s24, s5, s25
	v_writelane_b32 v119, s7, 8
	s_waitcnt lgkmcnt(0)
	s_add_u32 s0, s3, s8
	s_addc_u32 s25, s24, s9
	v_writelane_b32 v119, s26, 9
	s_lshl_b64 s[4:5], s[26:27], 2
	v_writelane_b32 v119, s27, 10
	s_add_u32 s26, s22, s4
	s_addc_u32 s27, s23, s5
	s_movk_i32 s4, 0x1080
	s_cmp_lt_i32 s6, s33
	v_mad_u32_u24 v0, v108, s4, 0
	s_cselect_b64 s[4:5], -1, 0
	s_ashr_i32 s7, s6, 31
	s_lshl_b64 s[22:23], s[6:7], 2
	s_add_u32 s34, s26, s22
	s_addc_u32 s35, s27, s23
	s_add_i32 s7, s6, 1
	s_cmp_lt_i32 s7, s33
	s_cselect_b64 s[36:37], -1, 0
	s_add_i32 s7, s6, 2
	s_cmp_lt_i32 s7, s33
	v_lshrrev_b32_e32 v3, 1, v109
	s_cselect_b64 s[38:39], -1, 0
	s_add_i32 s7, s6, 3
	v_lshlrev_b32_e32 v1, 2, v109
	v_mul_u32_u24_e32 v2, 0x108, v111
	v_and_b32_e32 v3, 0x1f8, v3
	s_cmp_lt_i32 s7, s33
	v_add_u32_e32 v113, v0, v1
	v_add3_u32 v114, v0, v2, v3
	s_cselect_b64 s[40:41], -1, 0
	s_add_i32 s7, s6, 4
	v_lshlrev_b32_e32 v0, 8, v108
	s_cmp_lt_i32 s7, s33
	v_add_co_u32_e32 v0, vcc, s3, v0
	s_mul_i32 s3, s15, 3
	s_cselect_b64 s[42:43], -1, 0
	s_add_i32 s7, s6, 5
	v_writelane_b32 v119, s3, 11
	s_mul_i32 s3, s15, 5
	s_cmp_lt_i32 s7, s33
	v_writelane_b32 v119, s3, 12
	s_mul_i32 s3, s15, 6
	s_cselect_b64 s[44:45], -1, 0
	s_add_i32 s7, s6, 6
	v_writelane_b32 v119, s3, 13
	s_mul_i32 s3, s15, 7
	s_cmp_lt_i32 s7, s33
	v_writelane_b32 v119, s3, 14
	;; [unrolled: 7-line block ×6, first 2 shown]
	s_mul_i32 s3, s15, 18
	s_cselect_b64 s[54:55], -1, 0
	s_add_i32 s7, s6, 11
	v_writelane_b32 v119, s3, 23
	s_mul_i32 s3, s15, 19
	s_cmp_lt_i32 s7, s33
	v_mov_b32_e32 v2, s24
	v_writelane_b32 v119, s3, 24
	s_mul_i32 s3, s15, 20
	s_cselect_b64 s[56:57], -1, 0
	s_add_i32 s7, s6, 12
	v_addc_co_u32_e32 v2, vcc, 0, v2, vcc
	v_writelane_b32 v119, s3, 25
	s_mul_i32 s3, s15, 21
	s_cmp_lt_i32 s7, s33
	v_add_co_u32_e32 v0, vcc, v0, v1
	v_writelane_b32 v119, s3, 26
	s_mul_i32 s3, s15, 22
	s_cselect_b64 s[58:59], -1, 0
	s_ashr_i32 s23, s15, 31
	s_mov_b32 s22, s15
	v_addc_co_u32_e32 v1, vcc, 0, v2, vcc
	v_writelane_b32 v119, s3, 27
	s_mul_i32 s3, s15, 23
	s_lshl_b64 s[60:61], s[22:23], 2
	v_mov_b32_e32 v2, s9
	v_add_co_u32_e32 v16, vcc, s8, v0
	v_writelane_b32 v119, s3, 28
	s_mul_i32 s3, s15, 24
	v_addc_co_u32_e32 v17, vcc, v2, v1, vcc
	s_lshl_b32 s7, s15, 1
	s_lshl_b32 s65, s15, 2
	s_lshl_b32 s69, s15, 3
	s_lshl_b32 s77, s15, 4
	v_writelane_b32 v119, s3, 29
	s_mul_i32 s86, s15, 25
	s_mul_i32 s87, s15, 26
	;; [unrolled: 1-line block ×5, first 2 shown]
	v_mov_b32_e32 v115, s25
	s_mul_i32 s91, s15, 30
	v_mov_b32_e32 v116, 0
	v_accvgpr_write_b32 a15, 0
	v_accvgpr_write_b32 a14, 0
	;; [unrolled: 1-line block ×16, first 2 shown]
	v_mov_b32_e32 v117, s61
	s_mul_i32 s61, s15, 31
	s_lshl_b32 s92, s15, 5
	s_mul_i32 s93, s15, 33
	s_mul_i32 s94, s15, 34
	;; [unrolled: 1-line block ×31, first 2 shown]
	s_mov_b32 s83, 0x7f800000
	s_movk_i32 s84, 0x7fff
	s_mov_b32 s85, 0x7060302
	s_mov_b64 s[8:9], 0
	s_branch .LBB129_6
.LBB129_5:                              ;   in Loop: Header=BB129_6 Depth=1
	s_or_b64 exec, exec, s[62:63]
	v_perm_b32 v82, v82, v84, s85
	v_add_u32_e32 v83, 0xc00, v113
	ds_write2_b32 v83, v82, v116 offset0:24 offset1:90
	ds_write2_b32 v83, v116, v116 offset0:156 offset1:222
	ds_read2_b64 v[82:85], v114 offset1:4
	v_accvgpr_write_b32 a0, v12
	v_accvgpr_write_b32 a4, v8
	;; [unrolled: 1-line block ×16, first 2 shown]
	s_waitcnt lgkmcnt(0)
	v_mfma_f32_16x16x16bf16_1k a[0:3], v[32:33], v[82:83], a[0:3]
	ds_read2_b64 v[0:3], v114 offset0:8 offset1:12
	v_add_co_u32_e32 v16, vcc, 0x300, v16
	v_add_u32_e32 v112, 0xc0, v112
	v_addc_co_u32_e32 v17, vcc, 0, v17, vcc
	v_cmp_le_i32_e32 vcc, s12, v112
	v_mfma_f32_16x16x16bf16_1k a[4:7], v[50:51], v[82:83], a[4:7]
	s_or_b64 s[8:9], vcc, s[8:9]
	v_mfma_f32_16x16x16bf16_1k a[8:11], v[64:65], v[82:83], a[8:11]
	v_mfma_f32_16x16x16bf16_1k a[12:15], v[80:81], v[82:83], a[12:15]
	;; [unrolled: 1-line block ×6, first 2 shown]
	s_waitcnt lgkmcnt(0)
	v_mfma_f32_16x16x16bf16_1k a[0:3], v[26:27], v[0:1], a[0:3]
	v_mfma_f32_16x16x16bf16_1k a[4:7], v[44:45], v[0:1], a[4:7]
	;; [unrolled: 1-line block ×8, first 2 shown]
	ds_read2_b64 v[0:3], v114 offset0:16 offset1:20
	s_waitcnt lgkmcnt(0)
	v_mfma_f32_16x16x16bf16_1k a[0:3], v[28:29], v[0:1], a[0:3]
	v_mfma_f32_16x16x16bf16_1k a[4:7], v[40:41], v[0:1], a[4:7]
	;; [unrolled: 1-line block ×8, first 2 shown]
	ds_read2_b64 v[0:3], v114 offset0:24 offset1:28
	s_waitcnt lgkmcnt(0)
	v_mfma_f32_16x16x16bf16_1k a[0:3], v[20:21], v[0:1], a[0:3]
	v_mfma_f32_16x16x16bf16_1k a[4:7], v[36:37], v[0:1], a[4:7]
	;; [unrolled: 1-line block ×8, first 2 shown]
	s_andn2_b64 exec, exec, s[8:9]
	s_cbranch_execz .LBB129_149
.LBB129_6:                              ; =>This Inner Loop Header: Depth=1
	v_add_co_u32_e32 v0, vcc, s60, v16
	v_addc_co_u32_e32 v1, vcc, v17, v117, vcc
	global_load_dword v18, v[16:17], off
	global_load_dword v19, v[0:1], off
	v_add_u32_e32 v0, s7, v112
	v_ashrrev_i32_e32 v1, 31, v0
	v_readlane_b32 s62, v119, 11
	v_lshlrev_b64 v[0:1], 2, v[0:1]
	v_add_u32_e32 v2, s62, v112
	v_add_co_u32_e32 v0, vcc, s0, v0
	v_ashrrev_i32_e32 v3, 31, v2
	v_addc_co_u32_e32 v1, vcc, v115, v1, vcc
	v_lshlrev_b64 v[2:3], 2, v[2:3]
	v_add_u32_e32 v4, s65, v112
	v_add_co_u32_e32 v2, vcc, s0, v2
	v_ashrrev_i32_e32 v5, 31, v4
	v_readlane_b32 s62, v119, 12
	v_addc_co_u32_e32 v3, vcc, v115, v3, vcc
	v_lshlrev_b64 v[4:5], 2, v[4:5]
	v_add_u32_e32 v6, s62, v112
	v_add_co_u32_e32 v4, vcc, s0, v4
	v_ashrrev_i32_e32 v7, 31, v6
	v_readlane_b32 s62, v119, 13
	;; [unrolled: 6-line block ×3, first 2 shown]
	v_addc_co_u32_e32 v7, vcc, v115, v7, vcc
	v_lshlrev_b64 v[8:9], 2, v[8:9]
	v_add_u32_e32 v10, s62, v112
	v_add_co_u32_e32 v8, vcc, s0, v8
	v_ashrrev_i32_e32 v11, 31, v10
	v_addc_co_u32_e32 v9, vcc, v115, v9, vcc
	v_lshlrev_b64 v[10:11], 2, v[10:11]
	v_add_u32_e32 v12, s69, v112
	v_add_co_u32_e32 v10, vcc, s0, v10
	v_ashrrev_i32_e32 v13, 31, v12
	v_readlane_b32 s62, v119, 15
	v_addc_co_u32_e32 v11, vcc, v115, v11, vcc
	v_lshlrev_b64 v[12:13], 2, v[12:13]
	v_add_u32_e32 v14, s62, v112
	v_add_co_u32_e32 v12, vcc, s0, v12
	v_ashrrev_i32_e32 v15, 31, v14
	v_addc_co_u32_e32 v13, vcc, v115, v13, vcc
	v_lshlrev_b64 v[14:15], 2, v[14:15]
	v_add_co_u32_e32 v14, vcc, s0, v14
	v_readlane_b32 s62, v119, 16
	v_addc_co_u32_e32 v15, vcc, v115, v15, vcc
	global_load_dword v20, v[0:1], off
	global_load_dword v21, v[2:3], off
	;; [unrolled: 1-line block ×6, first 2 shown]
	s_nop 0
	global_load_dword v12, v[12:13], off
	s_nop 0
	global_load_dword v13, v[14:15], off
	v_add_u32_e32 v0, s62, v112
	v_ashrrev_i32_e32 v1, 31, v0
	v_readlane_b32 s62, v119, 17
	v_lshlrev_b64 v[0:1], 2, v[0:1]
	v_add_u32_e32 v2, s62, v112
	v_add_co_u32_e32 v0, vcc, s0, v0
	v_ashrrev_i32_e32 v3, 31, v2
	v_readlane_b32 s62, v119, 18
	v_addc_co_u32_e32 v1, vcc, v115, v1, vcc
	v_lshlrev_b64 v[2:3], 2, v[2:3]
	v_add_u32_e32 v4, s62, v112
	v_add_co_u32_e32 v2, vcc, s0, v2
	v_ashrrev_i32_e32 v5, 31, v4
	v_readlane_b32 s62, v119, 19
	v_addc_co_u32_e32 v3, vcc, v115, v3, vcc
	;; [unrolled: 6-line block ×4, first 2 shown]
	v_lshlrev_b64 v[8:9], 2, v[8:9]
	v_add_u32_e32 v10, s62, v112
	v_add_co_u32_e32 v8, vcc, s0, v8
	v_ashrrev_i32_e32 v11, 31, v10
	v_addc_co_u32_e32 v9, vcc, v115, v9, vcc
	v_lshlrev_b64 v[10:11], 2, v[10:11]
	v_add_co_u32_e32 v10, vcc, s0, v10
	v_addc_co_u32_e32 v11, vcc, v115, v11, vcc
	global_load_dword v14, v[0:1], off
	global_load_dword v15, v[2:3], off
	s_nop 0
	global_load_dword v4, v[4:5], off
	s_nop 0
	global_load_dword v5, v[6:7], off
	s_nop 0
	global_load_dword v6, v[8:9], off
	global_load_dword v7, v[10:11], off
	v_add_u32_e32 v0, s77, v112
	v_ashrrev_i32_e32 v1, 31, v0
	v_readlane_b32 s62, v119, 22
	v_lshlrev_b64 v[0:1], 2, v[0:1]
	v_add_u32_e32 v2, s62, v112
	v_add_co_u32_e32 v0, vcc, s0, v0
	v_ashrrev_i32_e32 v3, 31, v2
	v_addc_co_u32_e32 v1, vcc, v115, v1, vcc
	v_lshlrev_b64 v[2:3], 2, v[2:3]
	s_waitcnt vmcnt(15)
	ds_write_b32 v113, v18
	s_waitcnt vmcnt(14)
	ds_write_b32 v113, v19 offset:264
	s_waitcnt vmcnt(13)
	ds_write_b32 v113, v20 offset:528
	;; [unrolled: 2-line block ×9, first 2 shown]
	v_add_co_u32_e32 v2, vcc, s0, v2
	v_readlane_b32 s62, v119, 23
	v_addc_co_u32_e32 v3, vcc, v115, v3, vcc
	global_load_dword v0, v[0:1], off
	s_nop 0
	global_load_dword v1, v[2:3], off
	v_add_u32_e32 v2, s62, v112
	v_ashrrev_i32_e32 v3, 31, v2
	v_readlane_b32 s62, v119, 24
	s_waitcnt vmcnt(7)
	ds_write_b32 v113, v14 offset:2640
	s_waitcnt vmcnt(6)
	ds_write_b32 v113, v15 offset:2904
	s_waitcnt vmcnt(5)
	ds_write_b32 v113, v4 offset:3168
	s_waitcnt vmcnt(4)
	ds_write_b32 v113, v5 offset:3432
	s_waitcnt vmcnt(3)
	ds_write_b32 v113, v6 offset:3696
	s_waitcnt vmcnt(2)
	ds_write_b32 v113, v7 offset:3960
	v_lshlrev_b64 v[2:3], 2, v[2:3]
	v_add_u32_e32 v4, s62, v112
	v_add_co_u32_e32 v2, vcc, s0, v2
	v_ashrrev_i32_e32 v5, 31, v4
	v_readlane_b32 s62, v119, 25
	v_addc_co_u32_e32 v3, vcc, v115, v3, vcc
	v_lshlrev_b64 v[4:5], 2, v[4:5]
	v_add_u32_e32 v6, s62, v112
	v_add_co_u32_e32 v4, vcc, s0, v4
	v_ashrrev_i32_e32 v7, 31, v6
	v_readlane_b32 s62, v119, 26
	v_addc_co_u32_e32 v5, vcc, v115, v5, vcc
	;; [unrolled: 6-line block ×5, first 2 shown]
	v_lshlrev_b64 v[12:13], 2, v[12:13]
	v_add_u32_e32 v14, s62, v112
	v_add_co_u32_e32 v12, vcc, s0, v12
	v_ashrrev_i32_e32 v15, 31, v14
	v_addc_co_u32_e32 v13, vcc, v115, v13, vcc
	v_lshlrev_b64 v[14:15], 2, v[14:15]
	v_add_u32_e32 v18, s86, v112
	v_add_co_u32_e32 v14, vcc, s0, v14
	v_ashrrev_i32_e32 v19, 31, v18
	v_addc_co_u32_e32 v15, vcc, v115, v15, vcc
	v_lshlrev_b64 v[18:19], 2, v[18:19]
	v_add_co_u32_e32 v18, vcc, s0, v18
	v_addc_co_u32_e32 v19, vcc, v115, v19, vcc
	global_load_dword v34, v[2:3], off
	global_load_dword v35, v[4:5], off
	global_load_dword v36, v[6:7], off
	global_load_dword v37, v[8:9], off
	global_load_dword v38, v[10:11], off
	global_load_dword v39, v[12:13], off
	global_load_dword v40, v[14:15], off
	global_load_dword v41, v[18:19], off
	v_add_u32_e32 v2, s87, v112
	v_ashrrev_i32_e32 v3, 31, v2
	v_lshlrev_b64 v[2:3], 2, v[2:3]
	v_add_u32_e32 v4, s88, v112
	v_add_co_u32_e32 v2, vcc, s0, v2
	v_ashrrev_i32_e32 v5, 31, v4
	v_addc_co_u32_e32 v3, vcc, v115, v3, vcc
	v_lshlrev_b64 v[4:5], 2, v[4:5]
	v_add_u32_e32 v6, s89, v112
	v_add_co_u32_e32 v4, vcc, s0, v4
	v_ashrrev_i32_e32 v7, 31, v6
	v_addc_co_u32_e32 v5, vcc, v115, v5, vcc
	v_lshlrev_b64 v[6:7], 2, v[6:7]
	v_add_u32_e32 v8, s90, v112
	v_add_co_u32_e32 v6, vcc, s0, v6
	v_ashrrev_i32_e32 v9, 31, v8
	v_addc_co_u32_e32 v7, vcc, v115, v7, vcc
	v_lshlrev_b64 v[8:9], 2, v[8:9]
	v_add_u32_e32 v10, s91, v112
	v_add_co_u32_e32 v8, vcc, s0, v8
	v_ashrrev_i32_e32 v11, 31, v10
	v_addc_co_u32_e32 v9, vcc, v115, v9, vcc
	v_lshlrev_b64 v[10:11], 2, v[10:11]
	v_add_u32_e32 v12, s61, v112
	v_add_co_u32_e32 v10, vcc, s0, v10
	v_ashrrev_i32_e32 v13, 31, v12
	v_addc_co_u32_e32 v11, vcc, v115, v11, vcc
	v_lshlrev_b64 v[12:13], 2, v[12:13]
	v_add_u32_e32 v14, s92, v112
	v_add_co_u32_e32 v12, vcc, s0, v12
	v_ashrrev_i32_e32 v15, 31, v14
	v_addc_co_u32_e32 v13, vcc, v115, v13, vcc
	v_lshlrev_b64 v[14:15], 2, v[14:15]
	v_add_u32_e32 v18, s93, v112
	v_add_co_u32_e32 v14, vcc, s0, v14
	v_ashrrev_i32_e32 v19, 31, v18
	v_addc_co_u32_e32 v15, vcc, v115, v15, vcc
	v_lshlrev_b64 v[18:19], 2, v[18:19]
	v_add_co_u32_e32 v18, vcc, s0, v18
	v_addc_co_u32_e32 v19, vcc, v115, v19, vcc
	global_load_dword v42, v[2:3], off
	global_load_dword v43, v[4:5], off
	global_load_dword v44, v[6:7], off
	global_load_dword v45, v[8:9], off
	global_load_dword v46, v[10:11], off
	global_load_dword v47, v[12:13], off
	global_load_dword v48, v[14:15], off
	global_load_dword v49, v[18:19], off
	v_add_u32_e32 v2, s94, v112
	v_ashrrev_i32_e32 v3, 31, v2
	v_lshlrev_b64 v[2:3], 2, v[2:3]
	v_add_u32_e32 v4, s95, v112
	v_add_co_u32_e32 v2, vcc, s0, v2
	v_ashrrev_i32_e32 v5, 31, v4
	v_addc_co_u32_e32 v3, vcc, v115, v3, vcc
	v_lshlrev_b64 v[4:5], 2, v[4:5]
	v_add_u32_e32 v6, s24, v112
	v_add_co_u32_e32 v4, vcc, s0, v4
	v_ashrrev_i32_e32 v7, 31, v6
	v_addc_co_u32_e32 v5, vcc, v115, v5, vcc
	v_lshlrev_b64 v[6:7], 2, v[6:7]
	v_add_u32_e32 v8, s25, v112
	v_add_co_u32_e32 v6, vcc, s0, v6
	v_ashrrev_i32_e32 v9, 31, v8
	v_addc_co_u32_e32 v7, vcc, v115, v7, vcc
	v_lshlrev_b64 v[8:9], 2, v[8:9]
	v_add_u32_e32 v10, s28, v112
	v_add_co_u32_e32 v8, vcc, s0, v8
	v_ashrrev_i32_e32 v11, 31, v10
	v_addc_co_u32_e32 v9, vcc, v115, v9, vcc
	v_lshlrev_b64 v[10:11], 2, v[10:11]
	v_add_u32_e32 v12, s29, v112
	v_add_co_u32_e32 v10, vcc, s0, v10
	v_ashrrev_i32_e32 v13, 31, v12
	v_addc_co_u32_e32 v11, vcc, v115, v11, vcc
	;; [unrolled: 48-line block ×5, first 2 shown]
	v_lshlrev_b64 v[12:13], 2, v[12:13]
	v_add_co_u32_e32 v12, vcc, s0, v12
	v_addc_co_u32_e32 v13, vcc, v115, v13, vcc
	ds_read_b64 v[32:33], v114
	ds_read_b64 v[30:31], v114 offset:32
	ds_read_b64 v[26:27], v114 offset:64
	;; [unrolled: 1-line block ×3, first 2 shown]
	global_load_dword v76, v[2:3], off
	global_load_dword v77, v[4:5], off
	global_load_dword v78, v[6:7], off
	global_load_dword v79, v[8:9], off
	global_load_dword v80, v[10:11], off
	global_load_dword v81, v[12:13], off
	ds_read_b64 v[28:29], v114 offset:128
	ds_read_b64 v[24:25], v114 offset:160
	ds_read_b64 v[20:21], v114 offset:192
	ds_read_b64 v[18:19], v114 offset:224
	s_waitcnt vmcnt(47)
	ds_write_b32 v113, v0
	s_waitcnt vmcnt(46)
	ds_write_b32 v113, v1 offset:264
	s_waitcnt vmcnt(45)
	ds_write_b32 v113, v34 offset:528
	s_waitcnt vmcnt(44)
	ds_write_b32 v113, v35 offset:792
	s_waitcnt vmcnt(43)
	ds_write_b32 v113, v36 offset:1056
	s_waitcnt vmcnt(42)
	ds_write_b32 v113, v37 offset:1320
	s_waitcnt vmcnt(41)
	ds_write_b32 v113, v38 offset:1584
	s_waitcnt vmcnt(40)
	ds_write_b32 v113, v39 offset:1848
	s_waitcnt vmcnt(39)
	ds_write_b32 v113, v40 offset:2112
	s_waitcnt vmcnt(38)
	ds_write_b32 v113, v41 offset:2376
	s_waitcnt vmcnt(37)
	ds_write_b32 v113, v42 offset:2640
	s_waitcnt vmcnt(36)
	ds_write_b32 v113, v43 offset:2904
	s_waitcnt vmcnt(35)
	ds_write_b32 v113, v44 offset:3168
	s_waitcnt vmcnt(34)
	ds_write_b32 v113, v45 offset:3432
	s_waitcnt vmcnt(33)
	ds_write_b32 v113, v46 offset:3696
	s_waitcnt vmcnt(32)
	ds_write_b32 v113, v47 offset:3960
	ds_read_b64 v[50:51], v114
	ds_read_b64 v[46:47], v114 offset:32
	ds_read_b64 v[44:45], v114 offset:64
	ds_read_b64 v[42:43], v114 offset:96
	ds_read_b64 v[40:41], v114 offset:128
	ds_read_b64 v[38:39], v114 offset:160
	ds_read_b64 v[36:37], v114 offset:192
	ds_read_b64 v[34:35], v114 offset:224
	s_waitcnt vmcnt(31)
	ds_write_b32 v113, v48
	s_waitcnt vmcnt(30)
	ds_write_b32 v113, v49 offset:264
	s_waitcnt vmcnt(29)
	ds_write_b32 v113, v52 offset:528
	s_waitcnt vmcnt(28)
	ds_write_b32 v113, v53 offset:792
	s_waitcnt vmcnt(27)
	ds_write_b32 v113, v54 offset:1056
	s_waitcnt vmcnt(26)
	ds_write_b32 v113, v55 offset:1320
	s_waitcnt vmcnt(25)
	ds_write_b32 v113, v56 offset:1584
	s_waitcnt vmcnt(24)
	ds_write_b32 v113, v57 offset:1848
	s_waitcnt vmcnt(23)
	ds_write_b32 v113, v58 offset:2112
	s_waitcnt vmcnt(22)
	ds_write_b32 v113, v59 offset:2376
	s_waitcnt vmcnt(21)
	ds_write_b32 v113, v60 offset:2640
	s_waitcnt vmcnt(20)
	ds_write_b32 v113, v61 offset:2904
	s_waitcnt vmcnt(19)
	ds_write_b32 v113, v62 offset:3168
	s_waitcnt vmcnt(18)
	ds_write_b32 v113, v63 offset:3432
	s_waitcnt vmcnt(17)
	ds_write_b32 v113, v64 offset:3696
	s_waitcnt vmcnt(16)
	ds_write_b32 v113, v65 offset:3960
	ds_read_b64 v[64:65], v114
	ds_read_b64 v[62:63], v114 offset:32
	ds_read_b64 v[60:61], v114 offset:64
	ds_read_b64 v[58:59], v114 offset:96
	;; [unrolled: 40-line block ×3, first 2 shown]
	ds_read_b64 v[76:77], v114 offset:128
	ds_read_b64 v[72:73], v114 offset:160
	;; [unrolled: 1-line block ×4, first 2 shown]
	v_accvgpr_read_b32 v3, a15
	v_accvgpr_read_b32 v2, a14
	;; [unrolled: 1-line block ×16, first 2 shown]
	s_andn2_b64 vcc, exec, s[4:5]
	v_mov_b32_e32 v106, 0
	v_mov_b32_e32 v107, 0
	s_cbranch_vccnz .LBB129_9
; %bb.7:                                ;   in Loop: Header=BB129_6 Depth=1
	s_load_dword s62, s[34:35], 0x0
	v_mov_b32_e32 v107, 0
	v_mov_b32_e32 v106, 0
	s_waitcnt lgkmcnt(0)
	s_mul_hi_u32 s63, s62, s16
	s_add_i32 s63, s62, s63
	s_lshr_b32 s63, s63, s17
	s_cmp_ge_i32 s63, s13
	s_cbranch_scc1 .LBB129_9
; %bb.8:                                ;   in Loop: Header=BB129_6 Depth=1
	s_mul_i32 vcc_lo, s63, s18
	s_sub_i32 s62, s62, vcc_lo
	s_mul_i32 s63, s63, s20
	s_mul_i32 s62, s62, s1
	v_add_u32_e32 v82, s63, v112
	v_lshl_add_u32 v82, v82, 1, s62
	v_ashrrev_i32_e32 v83, 31, v82
	v_lshlrev_b64 v[82:83], 2, v[82:83]
	v_mov_b32_e32 v84, s11
	v_add_co_u32_e32 v82, vcc, s10, v82
	v_addc_co_u32_e32 v83, vcc, v84, v83, vcc
	global_load_dwordx2 v[106:107], v[82:83], off
.LBB129_9:                              ;   in Loop: Header=BB129_6 Depth=1
	s_andn2_b64 vcc, exec, s[36:37]
	v_mov_b32_e32 v100, 0
	v_mov_b32_e32 v104, 0
	v_mov_b32_e32 v105, 0
	s_cbranch_vccnz .LBB129_12
; %bb.10:                               ;   in Loop: Header=BB129_6 Depth=1
	s_load_dword s62, s[34:35], 0x4
	v_mov_b32_e32 v105, 0
	v_mov_b32_e32 v104, 0
	s_waitcnt lgkmcnt(0)
	s_mul_hi_u32 s63, s62, s16
	s_add_i32 s63, s62, s63
	s_lshr_b32 s63, s63, s17
	s_cmp_ge_i32 s63, s13
	s_cbranch_scc1 .LBB129_12
; %bb.11:                               ;   in Loop: Header=BB129_6 Depth=1
	s_mul_i32 vcc_lo, s63, s18
	s_sub_i32 s62, s62, vcc_lo
	s_mul_i32 s63, s63, s20
	s_mul_i32 s62, s62, s1
	v_add_u32_e32 v82, s63, v112
	v_lshl_add_u32 v82, v82, 1, s62
	v_ashrrev_i32_e32 v83, 31, v82
	v_lshlrev_b64 v[82:83], 2, v[82:83]
	v_mov_b32_e32 v84, s11
	v_add_co_u32_e32 v82, vcc, s10, v82
	v_addc_co_u32_e32 v83, vcc, v84, v83, vcc
	global_load_dwordx2 v[104:105], v[82:83], off
.LBB129_12:                             ;   in Loop: Header=BB129_6 Depth=1
	s_andn2_b64 vcc, exec, s[38:39]
	v_mov_b32_e32 v101, 0
	s_cbranch_vccnz .LBB129_15
; %bb.13:                               ;   in Loop: Header=BB129_6 Depth=1
	s_load_dword s62, s[34:35], 0x8
	v_mov_b32_e32 v101, 0
	v_mov_b32_e32 v100, 0
	s_waitcnt lgkmcnt(0)
	s_mul_hi_u32 s63, s62, s16
	s_add_i32 s63, s62, s63
	s_lshr_b32 s63, s63, s17
	s_cmp_ge_i32 s63, s13
	s_cbranch_scc1 .LBB129_15
; %bb.14:                               ;   in Loop: Header=BB129_6 Depth=1
	s_mul_i32 vcc_lo, s63, s18
	s_sub_i32 s62, s62, vcc_lo
	s_mul_i32 s63, s63, s20
	s_mul_i32 s62, s62, s1
	v_add_u32_e32 v82, s63, v112
	v_lshl_add_u32 v82, v82, 1, s62
	v_ashrrev_i32_e32 v83, 31, v82
	v_lshlrev_b64 v[82:83], 2, v[82:83]
	v_mov_b32_e32 v84, s11
	v_add_co_u32_e32 v82, vcc, s10, v82
	v_addc_co_u32_e32 v83, vcc, v84, v83, vcc
	global_load_dwordx2 v[100:101], v[82:83], off
.LBB129_15:                             ;   in Loop: Header=BB129_6 Depth=1
	s_andn2_b64 vcc, exec, s[40:41]
	v_mov_b32_e32 v96, 0
	v_mov_b32_e32 v102, 0
	v_mov_b32_e32 v103, 0
	s_cbranch_vccnz .LBB129_18
; %bb.16:                               ;   in Loop: Header=BB129_6 Depth=1
	s_load_dword s62, s[34:35], 0xc
	v_mov_b32_e32 v103, 0
	v_mov_b32_e32 v102, 0
	s_waitcnt lgkmcnt(0)
	s_mul_hi_u32 s63, s62, s16
	s_add_i32 s63, s62, s63
	s_lshr_b32 s63, s63, s17
	s_cmp_ge_i32 s63, s13
	s_cbranch_scc1 .LBB129_18
; %bb.17:                               ;   in Loop: Header=BB129_6 Depth=1
	s_mul_i32 vcc_lo, s63, s18
	s_sub_i32 s62, s62, vcc_lo
	s_mul_i32 s63, s63, s20
	s_mul_i32 s62, s62, s1
	v_add_u32_e32 v82, s63, v112
	v_lshl_add_u32 v82, v82, 1, s62
	v_ashrrev_i32_e32 v83, 31, v82
	v_lshlrev_b64 v[82:83], 2, v[82:83]
	v_mov_b32_e32 v84, s11
	v_add_co_u32_e32 v82, vcc, s10, v82
	v_addc_co_u32_e32 v83, vcc, v84, v83, vcc
	global_load_dwordx2 v[102:103], v[82:83], off
.LBB129_18:                             ;   in Loop: Header=BB129_6 Depth=1
	s_andn2_b64 vcc, exec, s[42:43]
	v_mov_b32_e32 v97, 0
	s_cbranch_vccnz .LBB129_21
; %bb.19:                               ;   in Loop: Header=BB129_6 Depth=1
	s_load_dword s62, s[34:35], 0x10
	v_mov_b32_e32 v97, 0
	v_mov_b32_e32 v96, 0
	s_waitcnt lgkmcnt(0)
	s_mul_hi_u32 s63, s62, s16
	s_add_i32 s63, s62, s63
	s_lshr_b32 s63, s63, s17
	s_cmp_ge_i32 s63, s13
	s_cbranch_scc1 .LBB129_21
; %bb.20:                               ;   in Loop: Header=BB129_6 Depth=1
	s_mul_i32 vcc_lo, s63, s18
	s_sub_i32 s62, s62, vcc_lo
	s_mul_i32 s63, s63, s20
	s_mul_i32 s62, s62, s1
	v_add_u32_e32 v82, s63, v112
	v_lshl_add_u32 v82, v82, 1, s62
	v_ashrrev_i32_e32 v83, 31, v82
	v_lshlrev_b64 v[82:83], 2, v[82:83]
	v_mov_b32_e32 v84, s11
	v_add_co_u32_e32 v82, vcc, s10, v82
	v_addc_co_u32_e32 v83, vcc, v84, v83, vcc
	global_load_dwordx2 v[96:97], v[82:83], off
.LBB129_21:                             ;   in Loop: Header=BB129_6 Depth=1
	;; [unrolled: 56-line block ×6, first 2 shown]
	s_waitcnt vmcnt(0)
	v_and_b32_e32 v118, 0x7f800000, v106
	v_cmp_ne_u32_e32 vcc, s83, v118
                                        ; implicit-def: $vgpr118
	s_and_saveexec_b64 s[62:63], vcc
	s_xor_b64 s[62:63], exec, s[62:63]
; %bb.46:                               ;   in Loop: Header=BB129_6 Depth=1
	v_bfe_u32 v118, v106, 16, 1
	v_add3_u32 v118, v106, v118, s84
; %bb.47:                               ;   in Loop: Header=BB129_6 Depth=1
	s_andn2_saveexec_b64 s[62:63], s[62:63]
; %bb.48:                               ;   in Loop: Header=BB129_6 Depth=1
	v_or_b32_e32 v118, 0x10000, v106
	v_cmp_eq_u32_sdwa vcc, v106, v116 src0_sel:WORD_0 src1_sel:DWORD
	v_cndmask_b32_e32 v118, v118, v106, vcc
; %bb.49:                               ;   in Loop: Header=BB129_6 Depth=1
	s_or_b64 exec, exec, s[62:63]
	v_and_b32_e32 v106, 0x7f800000, v107
	v_cmp_ne_u32_e32 vcc, s83, v106
                                        ; implicit-def: $vgpr106
	s_and_saveexec_b64 s[62:63], vcc
	s_xor_b64 s[62:63], exec, s[62:63]
; %bb.50:                               ;   in Loop: Header=BB129_6 Depth=1
	v_bfe_u32 v106, v107, 16, 1
	v_add3_u32 v106, v107, v106, s84
                                        ; implicit-def: $vgpr107
; %bb.51:                               ;   in Loop: Header=BB129_6 Depth=1
	s_andn2_saveexec_b64 s[62:63], s[62:63]
; %bb.52:                               ;   in Loop: Header=BB129_6 Depth=1
	v_or_b32_e32 v106, 0x10000, v107
	v_cmp_eq_u32_sdwa vcc, v107, v116 src0_sel:WORD_0 src1_sel:DWORD
	v_cndmask_b32_e32 v106, v106, v107, vcc
; %bb.53:                               ;   in Loop: Header=BB129_6 Depth=1
	s_or_b64 exec, exec, s[62:63]
	v_perm_b32 v106, v106, v118, s85
	ds_write_b32 v113, v106
	v_and_b32_e32 v106, 0x7f800000, v104
	v_cmp_ne_u32_e32 vcc, s83, v106
                                        ; implicit-def: $vgpr106
	s_and_saveexec_b64 s[62:63], vcc
	s_xor_b64 s[62:63], exec, s[62:63]
; %bb.54:                               ;   in Loop: Header=BB129_6 Depth=1
	v_bfe_u32 v106, v104, 16, 1
	v_add3_u32 v106, v104, v106, s84
; %bb.55:                               ;   in Loop: Header=BB129_6 Depth=1
	s_andn2_saveexec_b64 s[62:63], s[62:63]
; %bb.56:                               ;   in Loop: Header=BB129_6 Depth=1
	v_or_b32_e32 v106, 0x10000, v104
	v_cmp_eq_u32_sdwa vcc, v104, v116 src0_sel:WORD_0 src1_sel:DWORD
	v_cndmask_b32_e32 v106, v106, v104, vcc
; %bb.57:                               ;   in Loop: Header=BB129_6 Depth=1
	s_or_b64 exec, exec, s[62:63]
	v_and_b32_e32 v104, 0x7f800000, v105
	v_cmp_ne_u32_e32 vcc, s83, v104
                                        ; implicit-def: $vgpr104
	s_and_saveexec_b64 s[62:63], vcc
	s_xor_b64 s[62:63], exec, s[62:63]
; %bb.58:                               ;   in Loop: Header=BB129_6 Depth=1
	v_bfe_u32 v104, v105, 16, 1
	v_add3_u32 v104, v105, v104, s84
                                        ; implicit-def: $vgpr105
; %bb.59:                               ;   in Loop: Header=BB129_6 Depth=1
	s_andn2_saveexec_b64 s[62:63], s[62:63]
; %bb.60:                               ;   in Loop: Header=BB129_6 Depth=1
	v_or_b32_e32 v104, 0x10000, v105
	v_cmp_eq_u32_sdwa vcc, v105, v116 src0_sel:WORD_0 src1_sel:DWORD
	v_cndmask_b32_e32 v104, v104, v105, vcc
; %bb.61:                               ;   in Loop: Header=BB129_6 Depth=1
	s_or_b64 exec, exec, s[62:63]
	v_perm_b32 v104, v104, v106, s85
	ds_write_b32 v113, v104 offset:264
	v_and_b32_e32 v104, 0x7f800000, v100
	v_cmp_ne_u32_e32 vcc, s83, v104
                                        ; implicit-def: $vgpr104
	s_and_saveexec_b64 s[62:63], vcc
	s_xor_b64 s[62:63], exec, s[62:63]
; %bb.62:                               ;   in Loop: Header=BB129_6 Depth=1
	v_bfe_u32 v104, v100, 16, 1
	v_add3_u32 v104, v100, v104, s84
; %bb.63:                               ;   in Loop: Header=BB129_6 Depth=1
	s_andn2_saveexec_b64 s[62:63], s[62:63]
; %bb.64:                               ;   in Loop: Header=BB129_6 Depth=1
	v_or_b32_e32 v104, 0x10000, v100
	v_cmp_eq_u32_sdwa vcc, v100, v116 src0_sel:WORD_0 src1_sel:DWORD
	v_cndmask_b32_e32 v104, v104, v100, vcc
; %bb.65:                               ;   in Loop: Header=BB129_6 Depth=1
	s_or_b64 exec, exec, s[62:63]
	v_and_b32_e32 v100, 0x7f800000, v101
	v_cmp_ne_u32_e32 vcc, s83, v100
                                        ; implicit-def: $vgpr100
	s_and_saveexec_b64 s[62:63], vcc
	s_xor_b64 s[62:63], exec, s[62:63]
; %bb.66:                               ;   in Loop: Header=BB129_6 Depth=1
	v_bfe_u32 v100, v101, 16, 1
	v_add3_u32 v100, v101, v100, s84
                                        ; implicit-def: $vgpr101
; %bb.67:                               ;   in Loop: Header=BB129_6 Depth=1
	s_andn2_saveexec_b64 s[62:63], s[62:63]
; %bb.68:                               ;   in Loop: Header=BB129_6 Depth=1
	v_or_b32_e32 v100, 0x10000, v101
	v_cmp_eq_u32_sdwa vcc, v101, v116 src0_sel:WORD_0 src1_sel:DWORD
	v_cndmask_b32_e32 v100, v100, v101, vcc
; %bb.69:                               ;   in Loop: Header=BB129_6 Depth=1
	s_or_b64 exec, exec, s[62:63]
	v_perm_b32 v100, v100, v104, s85
	ds_write_b32 v113, v100 offset:528
	v_and_b32_e32 v100, 0x7f800000, v102
	v_cmp_ne_u32_e32 vcc, s83, v100
                                        ; implicit-def: $vgpr100
	s_and_saveexec_b64 s[62:63], vcc
	s_xor_b64 s[62:63], exec, s[62:63]
; %bb.70:                               ;   in Loop: Header=BB129_6 Depth=1
	v_bfe_u32 v100, v102, 16, 1
	v_add3_u32 v100, v102, v100, s84
; %bb.71:                               ;   in Loop: Header=BB129_6 Depth=1
	s_andn2_saveexec_b64 s[62:63], s[62:63]
; %bb.72:                               ;   in Loop: Header=BB129_6 Depth=1
	v_or_b32_e32 v100, 0x10000, v102
	v_cmp_eq_u32_sdwa vcc, v102, v116 src0_sel:WORD_0 src1_sel:DWORD
	v_cndmask_b32_e32 v100, v100, v102, vcc
; %bb.73:                               ;   in Loop: Header=BB129_6 Depth=1
	s_or_b64 exec, exec, s[62:63]
	v_and_b32_e32 v101, 0x7f800000, v103
	v_cmp_ne_u32_e32 vcc, s83, v101
                                        ; implicit-def: $vgpr101
	s_and_saveexec_b64 s[62:63], vcc
	s_xor_b64 s[62:63], exec, s[62:63]
; %bb.74:                               ;   in Loop: Header=BB129_6 Depth=1
	v_bfe_u32 v101, v103, 16, 1
	v_add3_u32 v101, v103, v101, s84
                                        ; implicit-def: $vgpr103
; %bb.75:                               ;   in Loop: Header=BB129_6 Depth=1
	s_andn2_saveexec_b64 s[62:63], s[62:63]
; %bb.76:                               ;   in Loop: Header=BB129_6 Depth=1
	v_or_b32_e32 v101, 0x10000, v103
	v_cmp_eq_u32_sdwa vcc, v103, v116 src0_sel:WORD_0 src1_sel:DWORD
	v_cndmask_b32_e32 v101, v101, v103, vcc
; %bb.77:                               ;   in Loop: Header=BB129_6 Depth=1
	s_or_b64 exec, exec, s[62:63]
	v_perm_b32 v100, v101, v100, s85
	ds_write_b32 v113, v100 offset:792
	v_and_b32_e32 v100, 0x7f800000, v96
	v_cmp_ne_u32_e32 vcc, s83, v100
                                        ; implicit-def: $vgpr100
	s_and_saveexec_b64 s[62:63], vcc
	s_xor_b64 s[62:63], exec, s[62:63]
; %bb.78:                               ;   in Loop: Header=BB129_6 Depth=1
	v_bfe_u32 v100, v96, 16, 1
	v_add3_u32 v100, v96, v100, s84
; %bb.79:                               ;   in Loop: Header=BB129_6 Depth=1
	s_andn2_saveexec_b64 s[62:63], s[62:63]
; %bb.80:                               ;   in Loop: Header=BB129_6 Depth=1
	v_or_b32_e32 v100, 0x10000, v96
	v_cmp_eq_u32_sdwa vcc, v96, v116 src0_sel:WORD_0 src1_sel:DWORD
	v_cndmask_b32_e32 v100, v100, v96, vcc
; %bb.81:                               ;   in Loop: Header=BB129_6 Depth=1
	s_or_b64 exec, exec, s[62:63]
	v_and_b32_e32 v96, 0x7f800000, v97
	v_cmp_ne_u32_e32 vcc, s83, v96
                                        ; implicit-def: $vgpr96
	s_and_saveexec_b64 s[62:63], vcc
	s_xor_b64 s[62:63], exec, s[62:63]
; %bb.82:                               ;   in Loop: Header=BB129_6 Depth=1
	v_bfe_u32 v96, v97, 16, 1
	v_add3_u32 v96, v97, v96, s84
                                        ; implicit-def: $vgpr97
; %bb.83:                               ;   in Loop: Header=BB129_6 Depth=1
	s_andn2_saveexec_b64 s[62:63], s[62:63]
; %bb.84:                               ;   in Loop: Header=BB129_6 Depth=1
	v_or_b32_e32 v96, 0x10000, v97
	v_cmp_eq_u32_sdwa vcc, v97, v116 src0_sel:WORD_0 src1_sel:DWORD
	v_cndmask_b32_e32 v96, v96, v97, vcc
; %bb.85:                               ;   in Loop: Header=BB129_6 Depth=1
	s_or_b64 exec, exec, s[62:63]
	v_perm_b32 v96, v96, v100, s85
	ds_write_b32 v113, v96 offset:1056
	v_and_b32_e32 v96, 0x7f800000, v98
	v_cmp_ne_u32_e32 vcc, s83, v96
                                        ; implicit-def: $vgpr96
	s_and_saveexec_b64 s[62:63], vcc
	s_xor_b64 s[62:63], exec, s[62:63]
; %bb.86:                               ;   in Loop: Header=BB129_6 Depth=1
	v_bfe_u32 v96, v98, 16, 1
	v_add3_u32 v96, v98, v96, s84
; %bb.87:                               ;   in Loop: Header=BB129_6 Depth=1
	s_andn2_saveexec_b64 s[62:63], s[62:63]
; %bb.88:                               ;   in Loop: Header=BB129_6 Depth=1
	v_or_b32_e32 v96, 0x10000, v98
	v_cmp_eq_u32_sdwa vcc, v98, v116 src0_sel:WORD_0 src1_sel:DWORD
	v_cndmask_b32_e32 v96, v96, v98, vcc
; %bb.89:                               ;   in Loop: Header=BB129_6 Depth=1
	s_or_b64 exec, exec, s[62:63]
	v_and_b32_e32 v97, 0x7f800000, v99
	v_cmp_ne_u32_e32 vcc, s83, v97
                                        ; implicit-def: $vgpr97
	s_and_saveexec_b64 s[62:63], vcc
	s_xor_b64 s[62:63], exec, s[62:63]
; %bb.90:                               ;   in Loop: Header=BB129_6 Depth=1
	v_bfe_u32 v97, v99, 16, 1
	v_add3_u32 v97, v99, v97, s84
                                        ; implicit-def: $vgpr99
; %bb.91:                               ;   in Loop: Header=BB129_6 Depth=1
	s_andn2_saveexec_b64 s[62:63], s[62:63]
; %bb.92:                               ;   in Loop: Header=BB129_6 Depth=1
	v_or_b32_e32 v97, 0x10000, v99
	v_cmp_eq_u32_sdwa vcc, v99, v116 src0_sel:WORD_0 src1_sel:DWORD
	v_cndmask_b32_e32 v97, v97, v99, vcc
; %bb.93:                               ;   in Loop: Header=BB129_6 Depth=1
	s_or_b64 exec, exec, s[62:63]
	v_perm_b32 v96, v97, v96, s85
	ds_write_b32 v113, v96 offset:1320
	v_and_b32_e32 v96, 0x7f800000, v92
	v_cmp_ne_u32_e32 vcc, s83, v96
                                        ; implicit-def: $vgpr96
	s_and_saveexec_b64 s[62:63], vcc
	s_xor_b64 s[62:63], exec, s[62:63]
; %bb.94:                               ;   in Loop: Header=BB129_6 Depth=1
	v_bfe_u32 v96, v92, 16, 1
	v_add3_u32 v96, v92, v96, s84
; %bb.95:                               ;   in Loop: Header=BB129_6 Depth=1
	s_andn2_saveexec_b64 s[62:63], s[62:63]
; %bb.96:                               ;   in Loop: Header=BB129_6 Depth=1
	v_or_b32_e32 v96, 0x10000, v92
	v_cmp_eq_u32_sdwa vcc, v92, v116 src0_sel:WORD_0 src1_sel:DWORD
	v_cndmask_b32_e32 v96, v96, v92, vcc
; %bb.97:                               ;   in Loop: Header=BB129_6 Depth=1
	s_or_b64 exec, exec, s[62:63]
	v_and_b32_e32 v92, 0x7f800000, v93
	v_cmp_ne_u32_e32 vcc, s83, v92
                                        ; implicit-def: $vgpr92
	s_and_saveexec_b64 s[62:63], vcc
	s_xor_b64 s[62:63], exec, s[62:63]
; %bb.98:                               ;   in Loop: Header=BB129_6 Depth=1
	v_bfe_u32 v92, v93, 16, 1
	v_add3_u32 v92, v93, v92, s84
                                        ; implicit-def: $vgpr93
; %bb.99:                               ;   in Loop: Header=BB129_6 Depth=1
	s_andn2_saveexec_b64 s[62:63], s[62:63]
; %bb.100:                              ;   in Loop: Header=BB129_6 Depth=1
	v_or_b32_e32 v92, 0x10000, v93
	v_cmp_eq_u32_sdwa vcc, v93, v116 src0_sel:WORD_0 src1_sel:DWORD
	v_cndmask_b32_e32 v92, v92, v93, vcc
; %bb.101:                              ;   in Loop: Header=BB129_6 Depth=1
	s_or_b64 exec, exec, s[62:63]
	v_perm_b32 v92, v92, v96, s85
	ds_write_b32 v113, v92 offset:1584
	v_and_b32_e32 v92, 0x7f800000, v94
	v_cmp_ne_u32_e32 vcc, s83, v92
                                        ; implicit-def: $vgpr92
	s_and_saveexec_b64 s[62:63], vcc
	s_xor_b64 s[62:63], exec, s[62:63]
; %bb.102:                              ;   in Loop: Header=BB129_6 Depth=1
	v_bfe_u32 v92, v94, 16, 1
	v_add3_u32 v92, v94, v92, s84
; %bb.103:                              ;   in Loop: Header=BB129_6 Depth=1
	s_andn2_saveexec_b64 s[62:63], s[62:63]
; %bb.104:                              ;   in Loop: Header=BB129_6 Depth=1
	v_or_b32_e32 v92, 0x10000, v94
	v_cmp_eq_u32_sdwa vcc, v94, v116 src0_sel:WORD_0 src1_sel:DWORD
	v_cndmask_b32_e32 v92, v92, v94, vcc
; %bb.105:                              ;   in Loop: Header=BB129_6 Depth=1
	s_or_b64 exec, exec, s[62:63]
	v_and_b32_e32 v93, 0x7f800000, v95
	v_cmp_ne_u32_e32 vcc, s83, v93
                                        ; implicit-def: $vgpr93
	s_and_saveexec_b64 s[62:63], vcc
	s_xor_b64 s[62:63], exec, s[62:63]
; %bb.106:                              ;   in Loop: Header=BB129_6 Depth=1
	v_bfe_u32 v93, v95, 16, 1
	v_add3_u32 v93, v95, v93, s84
                                        ; implicit-def: $vgpr95
; %bb.107:                              ;   in Loop: Header=BB129_6 Depth=1
	s_andn2_saveexec_b64 s[62:63], s[62:63]
; %bb.108:                              ;   in Loop: Header=BB129_6 Depth=1
	v_or_b32_e32 v93, 0x10000, v95
	v_cmp_eq_u32_sdwa vcc, v95, v116 src0_sel:WORD_0 src1_sel:DWORD
	v_cndmask_b32_e32 v93, v93, v95, vcc
; %bb.109:                              ;   in Loop: Header=BB129_6 Depth=1
	s_or_b64 exec, exec, s[62:63]
	v_perm_b32 v92, v93, v92, s85
	ds_write_b32 v113, v92 offset:1848
	v_and_b32_e32 v92, 0x7f800000, v88
	v_cmp_ne_u32_e32 vcc, s83, v92
                                        ; implicit-def: $vgpr92
	s_and_saveexec_b64 s[62:63], vcc
	s_xor_b64 s[62:63], exec, s[62:63]
; %bb.110:                              ;   in Loop: Header=BB129_6 Depth=1
	v_bfe_u32 v92, v88, 16, 1
	v_add3_u32 v92, v88, v92, s84
; %bb.111:                              ;   in Loop: Header=BB129_6 Depth=1
	s_andn2_saveexec_b64 s[62:63], s[62:63]
; %bb.112:                              ;   in Loop: Header=BB129_6 Depth=1
	v_or_b32_e32 v92, 0x10000, v88
	v_cmp_eq_u32_sdwa vcc, v88, v116 src0_sel:WORD_0 src1_sel:DWORD
	v_cndmask_b32_e32 v92, v92, v88, vcc
; %bb.113:                              ;   in Loop: Header=BB129_6 Depth=1
	s_or_b64 exec, exec, s[62:63]
	v_and_b32_e32 v88, 0x7f800000, v89
	v_cmp_ne_u32_e32 vcc, s83, v88
                                        ; implicit-def: $vgpr88
	s_and_saveexec_b64 s[62:63], vcc
	s_xor_b64 s[62:63], exec, s[62:63]
; %bb.114:                              ;   in Loop: Header=BB129_6 Depth=1
	v_bfe_u32 v88, v89, 16, 1
	v_add3_u32 v88, v89, v88, s84
                                        ; implicit-def: $vgpr89
; %bb.115:                              ;   in Loop: Header=BB129_6 Depth=1
	s_andn2_saveexec_b64 s[62:63], s[62:63]
; %bb.116:                              ;   in Loop: Header=BB129_6 Depth=1
	v_or_b32_e32 v88, 0x10000, v89
	v_cmp_eq_u32_sdwa vcc, v89, v116 src0_sel:WORD_0 src1_sel:DWORD
	v_cndmask_b32_e32 v88, v88, v89, vcc
; %bb.117:                              ;   in Loop: Header=BB129_6 Depth=1
	s_or_b64 exec, exec, s[62:63]
	v_perm_b32 v88, v88, v92, s85
	ds_write_b32 v113, v88 offset:2112
	v_and_b32_e32 v88, 0x7f800000, v90
	v_cmp_ne_u32_e32 vcc, s83, v88
                                        ; implicit-def: $vgpr88
	s_and_saveexec_b64 s[62:63], vcc
	s_xor_b64 s[62:63], exec, s[62:63]
; %bb.118:                              ;   in Loop: Header=BB129_6 Depth=1
	v_bfe_u32 v88, v90, 16, 1
	v_add3_u32 v88, v90, v88, s84
; %bb.119:                              ;   in Loop: Header=BB129_6 Depth=1
	s_andn2_saveexec_b64 s[62:63], s[62:63]
; %bb.120:                              ;   in Loop: Header=BB129_6 Depth=1
	v_or_b32_e32 v88, 0x10000, v90
	v_cmp_eq_u32_sdwa vcc, v90, v116 src0_sel:WORD_0 src1_sel:DWORD
	v_cndmask_b32_e32 v88, v88, v90, vcc
; %bb.121:                              ;   in Loop: Header=BB129_6 Depth=1
	s_or_b64 exec, exec, s[62:63]
	v_and_b32_e32 v89, 0x7f800000, v91
	v_cmp_ne_u32_e32 vcc, s83, v89
                                        ; implicit-def: $vgpr89
	s_and_saveexec_b64 s[62:63], vcc
	s_xor_b64 s[62:63], exec, s[62:63]
; %bb.122:                              ;   in Loop: Header=BB129_6 Depth=1
	v_bfe_u32 v89, v91, 16, 1
	v_add3_u32 v89, v91, v89, s84
                                        ; implicit-def: $vgpr91
; %bb.123:                              ;   in Loop: Header=BB129_6 Depth=1
	s_andn2_saveexec_b64 s[62:63], s[62:63]
; %bb.124:                              ;   in Loop: Header=BB129_6 Depth=1
	v_or_b32_e32 v89, 0x10000, v91
	v_cmp_eq_u32_sdwa vcc, v91, v116 src0_sel:WORD_0 src1_sel:DWORD
	v_cndmask_b32_e32 v89, v89, v91, vcc
; %bb.125:                              ;   in Loop: Header=BB129_6 Depth=1
	s_or_b64 exec, exec, s[62:63]
	v_perm_b32 v88, v89, v88, s85
	ds_write_b32 v113, v88 offset:2376
	v_and_b32_e32 v88, 0x7f800000, v84
	v_cmp_ne_u32_e32 vcc, s83, v88
                                        ; implicit-def: $vgpr88
	s_and_saveexec_b64 s[62:63], vcc
	s_xor_b64 s[62:63], exec, s[62:63]
; %bb.126:                              ;   in Loop: Header=BB129_6 Depth=1
	v_bfe_u32 v88, v84, 16, 1
	v_add3_u32 v88, v84, v88, s84
; %bb.127:                              ;   in Loop: Header=BB129_6 Depth=1
	s_andn2_saveexec_b64 s[62:63], s[62:63]
; %bb.128:                              ;   in Loop: Header=BB129_6 Depth=1
	v_or_b32_e32 v88, 0x10000, v84
	v_cmp_eq_u32_sdwa vcc, v84, v116 src0_sel:WORD_0 src1_sel:DWORD
	v_cndmask_b32_e32 v88, v88, v84, vcc
; %bb.129:                              ;   in Loop: Header=BB129_6 Depth=1
	s_or_b64 exec, exec, s[62:63]
	v_and_b32_e32 v84, 0x7f800000, v85
	v_cmp_ne_u32_e32 vcc, s83, v84
                                        ; implicit-def: $vgpr84
	s_and_saveexec_b64 s[62:63], vcc
	s_xor_b64 s[62:63], exec, s[62:63]
; %bb.130:                              ;   in Loop: Header=BB129_6 Depth=1
	v_bfe_u32 v84, v85, 16, 1
	v_add3_u32 v84, v85, v84, s84
                                        ; implicit-def: $vgpr85
; %bb.131:                              ;   in Loop: Header=BB129_6 Depth=1
	s_andn2_saveexec_b64 s[62:63], s[62:63]
; %bb.132:                              ;   in Loop: Header=BB129_6 Depth=1
	v_or_b32_e32 v84, 0x10000, v85
	v_cmp_eq_u32_sdwa vcc, v85, v116 src0_sel:WORD_0 src1_sel:DWORD
	v_cndmask_b32_e32 v84, v84, v85, vcc
; %bb.133:                              ;   in Loop: Header=BB129_6 Depth=1
	s_or_b64 exec, exec, s[62:63]
	v_perm_b32 v84, v84, v88, s85
	ds_write_b32 v113, v84 offset:2640
	v_and_b32_e32 v84, 0x7f800000, v86
	v_cmp_ne_u32_e32 vcc, s83, v84
                                        ; implicit-def: $vgpr84
	s_and_saveexec_b64 s[62:63], vcc
	s_xor_b64 s[62:63], exec, s[62:63]
; %bb.134:                              ;   in Loop: Header=BB129_6 Depth=1
	v_bfe_u32 v84, v86, 16, 1
	v_add3_u32 v84, v86, v84, s84
; %bb.135:                              ;   in Loop: Header=BB129_6 Depth=1
	s_andn2_saveexec_b64 s[62:63], s[62:63]
; %bb.136:                              ;   in Loop: Header=BB129_6 Depth=1
	v_or_b32_e32 v84, 0x10000, v86
	v_cmp_eq_u32_sdwa vcc, v86, v116 src0_sel:WORD_0 src1_sel:DWORD
	v_cndmask_b32_e32 v84, v84, v86, vcc
; %bb.137:                              ;   in Loop: Header=BB129_6 Depth=1
	s_or_b64 exec, exec, s[62:63]
	v_and_b32_e32 v85, 0x7f800000, v87
	v_cmp_ne_u32_e32 vcc, s83, v85
                                        ; implicit-def: $vgpr85
	s_and_saveexec_b64 s[62:63], vcc
	s_xor_b64 s[62:63], exec, s[62:63]
; %bb.138:                              ;   in Loop: Header=BB129_6 Depth=1
	v_bfe_u32 v85, v87, 16, 1
	v_add3_u32 v85, v87, v85, s84
                                        ; implicit-def: $vgpr87
; %bb.139:                              ;   in Loop: Header=BB129_6 Depth=1
	s_andn2_saveexec_b64 s[62:63], s[62:63]
; %bb.140:                              ;   in Loop: Header=BB129_6 Depth=1
	v_or_b32_e32 v85, 0x10000, v87
	v_cmp_eq_u32_sdwa vcc, v87, v116 src0_sel:WORD_0 src1_sel:DWORD
	v_cndmask_b32_e32 v85, v85, v87, vcc
; %bb.141:                              ;   in Loop: Header=BB129_6 Depth=1
	s_or_b64 exec, exec, s[62:63]
	v_perm_b32 v84, v85, v84, s85
	ds_write_b32 v113, v84 offset:2904
	v_and_b32_e32 v84, 0x7f800000, v82
	v_cmp_ne_u32_e32 vcc, s83, v84
                                        ; implicit-def: $vgpr84
	s_and_saveexec_b64 s[62:63], vcc
	s_xor_b64 s[62:63], exec, s[62:63]
; %bb.142:                              ;   in Loop: Header=BB129_6 Depth=1
	v_bfe_u32 v84, v82, 16, 1
	v_add3_u32 v84, v82, v84, s84
; %bb.143:                              ;   in Loop: Header=BB129_6 Depth=1
	s_andn2_saveexec_b64 s[62:63], s[62:63]
; %bb.144:                              ;   in Loop: Header=BB129_6 Depth=1
	v_or_b32_e32 v84, 0x10000, v82
	v_cmp_eq_u32_sdwa vcc, v82, v116 src0_sel:WORD_0 src1_sel:DWORD
	v_cndmask_b32_e32 v84, v84, v82, vcc
; %bb.145:                              ;   in Loop: Header=BB129_6 Depth=1
	s_or_b64 exec, exec, s[62:63]
	v_and_b32_e32 v82, 0x7f800000, v83
	v_cmp_ne_u32_e32 vcc, s83, v82
                                        ; implicit-def: $vgpr82
	s_and_saveexec_b64 s[62:63], vcc
	s_xor_b64 s[62:63], exec, s[62:63]
; %bb.146:                              ;   in Loop: Header=BB129_6 Depth=1
	v_bfe_u32 v82, v83, 16, 1
	v_add3_u32 v82, v83, v82, s84
                                        ; implicit-def: $vgpr83
; %bb.147:                              ;   in Loop: Header=BB129_6 Depth=1
	s_andn2_saveexec_b64 s[62:63], s[62:63]
	s_cbranch_execz .LBB129_5
; %bb.148:                              ;   in Loop: Header=BB129_6 Depth=1
	v_or_b32_e32 v82, 0x10000, v83
	v_cmp_eq_u32_sdwa vcc, v83, v116 src0_sel:WORD_0 src1_sel:DWORD
	v_cndmask_b32_e32 v82, v82, v83, vcc
	s_branch .LBB129_5
.LBB129_149:
	s_or_b64 exec, exec, s[8:9]
	v_readlane_b32 s24, v119, 6
	v_readlane_b32 s26, v119, 9
	;; [unrolled: 1-line block ×5, first 2 shown]
.LBB129_150:
	v_readlane_b32 s0, v119, 4
	v_readlane_b32 s1, v119, 5
	s_or_b64 exec, exec, s[0:1]
	s_lshl_b64 s[0:1], s[26:27], 2
	v_readlane_b32 s4, v119, 0
	v_mul_u32_u24_e32 v0, 0x308, v111
	v_lshlrev_b32_e32 v1, 2, v110
	v_or_b32_e32 v2, 12, v109
	v_readlane_b32 s5, v119, 1
	s_add_u32 s3, s4, s0
	v_add3_u32 v0, 0, v0, v1
	v_and_b32_e32 v1, 0x3f0, v109
	v_and_b32_e32 v2, 0x3fc, v2
	s_addc_u32 s8, s5, s1
	v_add_u32_e32 v1, v0, v1
	v_add_u32_e32 v0, v0, v2
	s_barrier
	ds_write2_b32 v1, a0, a1 offset1:1
	ds_write_b32 v1, a2 offset:8
	ds_write_b32 v0, a3
	ds_write2_b32 v1, a4, a5 offset0:16 offset1:17
	ds_write_b32 v1, a6 offset:72
	ds_write_b32 v0, a7 offset:64
	ds_write2_b32 v1, a8, a9 offset0:32 offset1:33
	ds_write_b32 v1, a10 offset:136
	ds_write_b32 v0, a11 offset:128
	;; [unrolled: 3-line block ×3, first 2 shown]
	s_cmp_gt_i32 s14, 0
	v_add_u32_e32 v0, s6, v108
	s_cselect_b64 s[4:5], -1, 0
	v_cmp_gt_i32_e64 s[0:1], s33, v0
	v_cmp_gt_u32_e32 vcc, 13, v108
	s_and_b64 s[0:1], s[4:5], s[0:1]
	v_lshl_add_u32 v5, v109, 2, 0
	v_add_u32_e32 v4, s7, v109
	v_mul_u32_u24_e32 v6, 0x308, v108
	s_and_b64 s[10:11], vcc, s[0:1]
	s_waitcnt lgkmcnt(0)
	s_barrier
	s_and_saveexec_b64 s[0:1], s[10:11]
	v_readlane_b32 s14, v119, 2
	v_readlane_b32 s15, v119, 3
	s_cbranch_execz .LBB129_153
; %bb.151:
	v_ashrrev_i32_e32 v1, 31, v0
	v_lshlrev_b64 v[2:3], 2, v[0:1]
	v_mov_b32_e32 v1, s8
	v_add_co_u32_e32 v2, vcc, s3, v2
	v_addc_co_u32_e32 v3, vcc, v1, v3, vcc
	global_load_dword v2, v[2:3], off
	s_waitcnt vmcnt(0)
	v_mul_hi_u32 v1, v2, s19
	v_add_u32_e32 v1, v2, v1
	v_lshrrev_b32_e32 v1, s24, v1
	v_cmp_gt_i32_e32 vcc, s13, v1
	s_and_b64 exec, exec, vcc
	s_cbranch_execz .LBB129_153
; %bb.152:
	v_add_u32_e32 v3, v5, v6
	ds_read2st64_b32 v[8:9], v3 offset1:1
	ds_read_b32 v3, v3 offset:512
	v_mul_lo_u32 v7, v1, s25
	v_sub_u32_e32 v2, v2, v7
	v_mul_lo_u32 v2, v2, s2
	s_waitcnt lgkmcnt(1)
	v_add_f32_e32 v7, 0, v8
	v_add_f32_e32 v7, v7, v9
	v_mul_lo_u32 v1, v1, s21
	s_waitcnt lgkmcnt(0)
	v_add_f32_e32 v7, v7, v3
	v_add3_u32 v2, v4, v1, v2
	v_mov_b32_e32 v3, 0
	v_lshlrev_b64 v[2:3], 2, v[2:3]
	v_mov_b32_e32 v1, s15
	v_add_co_u32_e32 v2, vcc, s14, v2
	v_addc_co_u32_e32 v3, vcc, v1, v3, vcc
	global_store_dword v[2:3], v7, off
.LBB129_153:
	s_or_b64 exec, exec, s[0:1]
	v_add_u32_e32 v1, 3, v0
	v_cmp_gt_i32_e64 s[0:1], s33, v1
	v_cmp_gt_u32_e32 vcc, 10, v108
	s_and_b64 s[0:1], s[4:5], s[0:1]
	s_and_b64 s[10:11], vcc, s[0:1]
	s_and_saveexec_b64 s[0:1], s[10:11]
	s_cbranch_execz .LBB129_156
; %bb.154:
	s_ashr_i32 s7, s6, 31
	v_mov_b32_e32 v1, s7
	v_add_co_u32_e32 v2, vcc, s6, v108
	v_addc_co_u32_e32 v3, vcc, 0, v1, vcc
	v_lshlrev_b64 v[2:3], 2, v[2:3]
	v_mov_b32_e32 v1, s8
	v_add_co_u32_e32 v2, vcc, s3, v2
	v_addc_co_u32_e32 v3, vcc, v1, v3, vcc
	global_load_dword v2, v[2:3], off offset:12
	v_mov_b32_e32 v3, 0
	s_waitcnt vmcnt(0)
	v_mul_hi_u32 v1, v2, s19
	v_add_u32_e32 v1, v2, v1
	v_lshrrev_b32_e32 v1, s24, v1
	v_cmp_gt_i32_e32 vcc, s13, v1
	s_and_b64 exec, exec, vcc
	s_cbranch_execz .LBB129_156
; %bb.155:
	v_add_u32_e32 v7, v6, v5
	v_add_u32_e32 v8, 24, v7
	ds_read2st64_b32 v[8:9], v8 offset0:9 offset1:10
	v_mul_lo_u32 v10, v1, s25
	ds_read_b32 v7, v7 offset:2840
	v_sub_u32_e32 v2, v2, v10
	v_mul_lo_u32 v2, v2, s2
	v_mul_lo_u32 v1, v1, s21
	v_add3_u32 v2, v4, v1, v2
	s_waitcnt lgkmcnt(1)
	v_add_f32_e32 v8, 0, v8
	v_lshlrev_b64 v[2:3], 2, v[2:3]
	v_add_f32_e32 v8, v8, v9
	v_mov_b32_e32 v1, s15
	v_add_co_u32_e32 v2, vcc, s14, v2
	s_waitcnt lgkmcnt(0)
	v_add_f32_e32 v7, v8, v7
	v_addc_co_u32_e32 v3, vcc, v1, v3, vcc
	global_store_dword v[2:3], v7, off
.LBB129_156:
	s_or_b64 exec, exec, s[0:1]
	v_add_u32_e32 v1, 6, v0
	v_cmp_gt_i32_e64 s[0:1], s33, v1
	v_cmp_gt_u32_e32 vcc, 7, v108
	s_and_b64 s[0:1], s[4:5], s[0:1]
	s_and_b64 s[10:11], vcc, s[0:1]
	s_and_saveexec_b64 s[0:1], s[10:11]
	s_cbranch_execz .LBB129_159
; %bb.157:
	s_ashr_i32 s7, s6, 31
	v_mov_b32_e32 v1, s7
	v_add_co_u32_e32 v2, vcc, s6, v108
	v_addc_co_u32_e32 v3, vcc, 0, v1, vcc
	v_lshlrev_b64 v[2:3], 2, v[2:3]
	v_mov_b32_e32 v1, s8
	v_add_co_u32_e32 v2, vcc, s3, v2
	v_addc_co_u32_e32 v3, vcc, v1, v3, vcc
	global_load_dword v2, v[2:3], off offset:24
	v_mov_b32_e32 v3, 0
	s_waitcnt vmcnt(0)
	v_mul_hi_u32 v1, v2, s19
	v_add_u32_e32 v1, v2, v1
	v_lshrrev_b32_e32 v1, s24, v1
	v_cmp_gt_i32_e32 vcc, s13, v1
	s_and_b64 exec, exec, vcc
	s_cbranch_execz .LBB129_159
; %bb.158:
	v_add_u32_e32 v7, v5, v6
	v_add_u32_e32 v8, 48, v7
	ds_read2st64_b32 v[8:9], v8 offset0:18 offset1:19
	v_mul_lo_u32 v10, v1, s25
	ds_read_b32 v7, v7 offset:5168
	v_sub_u32_e32 v2, v2, v10
	v_mul_lo_u32 v2, v2, s2
	v_mul_lo_u32 v1, v1, s21
	v_add3_u32 v2, v4, v1, v2
	s_waitcnt lgkmcnt(1)
	v_add_f32_e32 v8, 0, v8
	v_lshlrev_b64 v[2:3], 2, v[2:3]
	v_add_f32_e32 v8, v8, v9
	v_mov_b32_e32 v1, s15
	v_add_co_u32_e32 v2, vcc, s14, v2
	s_waitcnt lgkmcnt(0)
	v_add_f32_e32 v7, v8, v7
	v_addc_co_u32_e32 v3, vcc, v1, v3, vcc
	global_store_dword v[2:3], v7, off
.LBB129_159:
	s_or_b64 exec, exec, s[0:1]
	v_add_u32_e32 v0, 9, v0
	v_cmp_gt_i32_e64 s[0:1], s33, v0
	v_cmp_gt_u32_e32 vcc, 4, v108
	s_and_b64 s[0:1], s[4:5], s[0:1]
	s_and_b64 s[10:11], vcc, s[0:1]
	s_and_saveexec_b64 s[0:1], s[10:11]
	s_cbranch_execz .LBB129_162
; %bb.160:
	s_ashr_i32 s7, s6, 31
	v_mov_b32_e32 v1, s7
	v_add_co_u32_e32 v0, vcc, s6, v108
	v_addc_co_u32_e32 v1, vcc, 0, v1, vcc
	v_lshlrev_b64 v[0:1], 2, v[0:1]
	v_mov_b32_e32 v2, s8
	v_add_co_u32_e32 v0, vcc, s3, v0
	v_addc_co_u32_e32 v1, vcc, v2, v1, vcc
	global_load_dword v2, v[0:1], off offset:36
	v_mov_b32_e32 v1, 0
	s_waitcnt vmcnt(0)
	v_mul_hi_u32 v0, v2, s19
	v_add_u32_e32 v0, v2, v0
	v_lshrrev_b32_e32 v0, s24, v0
	v_cmp_gt_i32_e32 vcc, s13, v0
	s_and_b64 exec, exec, vcc
	s_cbranch_execz .LBB129_162
; %bb.161:
	v_add_u32_e32 v3, v5, v6
	v_add_u32_e32 v6, 0x48, v3
	ds_read2st64_b32 v[6:7], v6 offset0:27 offset1:28
	v_mul_lo_u32 v8, v0, s25
	ds_read_b32 v3, v3 offset:7496
	v_sub_u32_e32 v2, v2, v8
	v_mul_lo_u32 v2, v2, s2
	v_mul_lo_u32 v0, v0, s21
	v_add3_u32 v0, v4, v0, v2
	s_waitcnt lgkmcnt(1)
	v_add_f32_e32 v6, 0, v6
	v_lshlrev_b64 v[0:1], 2, v[0:1]
	v_add_f32_e32 v6, v6, v7
	v_mov_b32_e32 v2, s15
	v_add_co_u32_e32 v0, vcc, s14, v0
	s_waitcnt lgkmcnt(0)
	v_add_f32_e32 v3, v6, v3
	v_addc_co_u32_e32 v1, vcc, v2, v1, vcc
	global_store_dword v[0:1], v3, off
.LBB129_162:
	s_or_b64 exec, exec, s[0:1]
	v_cmp_eq_u32_e32 vcc, 0, v108
	s_and_saveexec_b64 s[0:1], vcc
	s_cbranch_execz .LBB129_166
; %bb.163:
	s_add_i32 s0, s6, 12
	s_cmp_ge_i32 s0, s33
	s_cselect_b64 s[0:1], -1, 0
	s_xor_b64 s[4:5], s[4:5], -1
	s_or_b64 s[0:1], s[4:5], s[0:1]
	s_and_b64 vcc, exec, s[0:1]
	s_cbranch_vccnz .LBB129_166
; %bb.164:
	s_ashr_i32 s7, s6, 31
	s_lshl_b64 s[0:1], s[6:7], 2
	s_add_u32 s0, s3, s0
	s_addc_u32 s1, s8, s1
	s_load_dword s1, s[0:1], 0x30
	s_waitcnt lgkmcnt(0)
	s_mul_hi_u32 s0, s1, s19
	s_add_i32 s0, s1, s0
	s_lshr_b32 s0, s0, s24
	s_cmp_ge_i32 s0, s13
	s_cbranch_scc1 .LBB129_166
; %bb.165:
	v_add_u32_e32 v0, 0x60, v5
	ds_read2st64_b32 v[0:1], v0 offset0:36 offset1:37
	ds_read_b32 v2, v5 offset:9824
	s_mul_i32 s3, s0, s25
	s_sub_i32 s1, s1, s3
	s_mul_i32 s1, s1, s2
	s_waitcnt lgkmcnt(1)
	v_add_f32_e32 v0, 0, v0
	s_mul_i32 s0, s0, s21
	v_add_f32_e32 v0, v0, v1
	s_add_i32 s1, s1, s0
	s_waitcnt lgkmcnt(0)
	v_add_f32_e32 v2, v0, v2
	v_add_u32_e32 v0, s1, v4
	v_mov_b32_e32 v1, 0
	v_lshlrev_b64 v[0:1], 2, v[0:1]
	v_mov_b32_e32 v3, s15
	v_add_co_u32_e32 v0, vcc, s14, v0
	v_addc_co_u32_e32 v1, vcc, v3, v1, vcc
	global_store_dword v[0:1], v2, off
.LBB129_166:
	s_endpgm
	.section	.rodata,"a",@progbits
	.p2align	6, 0x0
	.amdhsa_kernel _ZL13mul_mat_f_idsI15__hip_bfloat162Li64ELi13ELi3EEvPKT_PKfPKiS7_S7_Pfiiiiiiiiiiiiii15HIP_vector_typeIjLj3EESA_
		.amdhsa_group_segment_fixed_size 0
		.amdhsa_private_segment_fixed_size 0
		.amdhsa_kernarg_size 128
		.amdhsa_user_sgpr_count 6
		.amdhsa_user_sgpr_private_segment_buffer 1
		.amdhsa_user_sgpr_dispatch_ptr 0
		.amdhsa_user_sgpr_queue_ptr 0
		.amdhsa_user_sgpr_kernarg_segment_ptr 1
		.amdhsa_user_sgpr_dispatch_id 0
		.amdhsa_user_sgpr_flat_scratch_init 0
		.amdhsa_user_sgpr_kernarg_preload_length 0
		.amdhsa_user_sgpr_kernarg_preload_offset 0
		.amdhsa_user_sgpr_private_segment_size 0
		.amdhsa_uses_dynamic_stack 0
		.amdhsa_system_sgpr_private_segment_wavefront_offset 0
		.amdhsa_system_sgpr_workgroup_id_x 1
		.amdhsa_system_sgpr_workgroup_id_y 1
		.amdhsa_system_sgpr_workgroup_id_z 1
		.amdhsa_system_sgpr_workgroup_info 0
		.amdhsa_system_vgpr_workitem_id 1
		.amdhsa_next_free_vgpr 136
		.amdhsa_next_free_sgpr 96
		.amdhsa_accum_offset 120
		.amdhsa_reserve_vcc 1
		.amdhsa_reserve_flat_scratch 0
		.amdhsa_float_round_mode_32 0
		.amdhsa_float_round_mode_16_64 0
		.amdhsa_float_denorm_mode_32 3
		.amdhsa_float_denorm_mode_16_64 3
		.amdhsa_dx10_clamp 1
		.amdhsa_ieee_mode 1
		.amdhsa_fp16_overflow 0
		.amdhsa_tg_split 0
		.amdhsa_exception_fp_ieee_invalid_op 0
		.amdhsa_exception_fp_denorm_src 0
		.amdhsa_exception_fp_ieee_div_zero 0
		.amdhsa_exception_fp_ieee_overflow 0
		.amdhsa_exception_fp_ieee_underflow 0
		.amdhsa_exception_fp_ieee_inexact 0
		.amdhsa_exception_int_div_zero 0
	.end_amdhsa_kernel
	.section	.text._ZL13mul_mat_f_idsI15__hip_bfloat162Li64ELi13ELi3EEvPKT_PKfPKiS7_S7_Pfiiiiiiiiiiiiii15HIP_vector_typeIjLj3EESA_,"axG",@progbits,_ZL13mul_mat_f_idsI15__hip_bfloat162Li64ELi13ELi3EEvPKT_PKfPKiS7_S7_Pfiiiiiiiiiiiiii15HIP_vector_typeIjLj3EESA_,comdat
.Lfunc_end129:
	.size	_ZL13mul_mat_f_idsI15__hip_bfloat162Li64ELi13ELi3EEvPKT_PKfPKiS7_S7_Pfiiiiiiiiiiiiii15HIP_vector_typeIjLj3EESA_, .Lfunc_end129-_ZL13mul_mat_f_idsI15__hip_bfloat162Li64ELi13ELi3EEvPKT_PKfPKiS7_S7_Pfiiiiiiiiiiiiii15HIP_vector_typeIjLj3EESA_
                                        ; -- End function
	.section	.AMDGPU.csdata,"",@progbits
; Kernel info:
; codeLenInByte = 9920
; NumSgprs: 100
; NumVgprs: 120
; NumAgprs: 16
; TotalNumVgprs: 136
; ScratchSize: 0
; MemoryBound: 0
; FloatMode: 240
; IeeeMode: 1
; LDSByteSize: 0 bytes/workgroup (compile time only)
; SGPRBlocks: 12
; VGPRBlocks: 16
; NumSGPRsForWavesPerEU: 100
; NumVGPRsForWavesPerEU: 136
; AccumOffset: 120
; Occupancy: 3
; WaveLimiterHint : 1
; COMPUTE_PGM_RSRC2:SCRATCH_EN: 0
; COMPUTE_PGM_RSRC2:USER_SGPR: 6
; COMPUTE_PGM_RSRC2:TRAP_HANDLER: 0
; COMPUTE_PGM_RSRC2:TGID_X_EN: 1
; COMPUTE_PGM_RSRC2:TGID_Y_EN: 1
; COMPUTE_PGM_RSRC2:TGID_Z_EN: 1
; COMPUTE_PGM_RSRC2:TIDIG_COMP_CNT: 1
; COMPUTE_PGM_RSRC3_GFX90A:ACCUM_OFFSET: 29
; COMPUTE_PGM_RSRC3_GFX90A:TG_SPLIT: 0
	.section	.text._ZL9mul_mat_fI15__hip_bfloat162Li64ELi13ELi3ELb1EEvPKT_PKfPKiPfiiiiiiiiiiiiiiii,"axG",@progbits,_ZL9mul_mat_fI15__hip_bfloat162Li64ELi13ELi3ELb1EEvPKT_PKfPKiPfiiiiiiiiiiiiiiii,comdat
	.globl	_ZL9mul_mat_fI15__hip_bfloat162Li64ELi13ELi3ELb1EEvPKT_PKfPKiPfiiiiiiiiiiiiiiii ; -- Begin function _ZL9mul_mat_fI15__hip_bfloat162Li64ELi13ELi3ELb1EEvPKT_PKfPKiPfiiiiiiiiiiiiiiii
	.p2align	8
	.type	_ZL9mul_mat_fI15__hip_bfloat162Li64ELi13ELi3ELb1EEvPKT_PKfPKiPfiiiiiiiiiiiiiiii,@function
_ZL9mul_mat_fI15__hip_bfloat162Li64ELi13ELi3ELb1EEvPKT_PKfPKiPfiiiiiiiiiiiiiiii: ; @_ZL9mul_mat_fI15__hip_bfloat162Li64ELi13ELi3ELb1EEvPKT_PKfPKiPfiiiiiiiiiiiiiiii
; %bb.0:
	s_load_dwordx8 s[20:27], s[4:5], 0x20
	v_and_b32_e32 v16, 0x3ff, v0
	v_bfe_u32 v17, v0, 10, 10
	v_cmp_eq_u32_e32 vcc, 0, v16
	s_waitcnt lgkmcnt(0)
	s_add_i32 s0, s21, 12
	s_mul_hi_i32 s0, s0, 0x4ec4ec4f
	s_lshr_b32 s1, s0, 31
	s_ashr_i32 s0, s0, 2
	s_add_i32 s0, s0, s1
	v_cvt_f32_u32_e32 v1, s0
	s_load_dwordx4 s[28:31], s[4:5], 0x44
	s_load_dword s1, s[4:5], 0x64
	s_add_u32 s34, s4, 0x60
	s_addc_u32 s35, s5, 0
	v_rcp_iflag_f32_e32 v1, v1
	s_sub_i32 s2, 0, s0
	v_mul_f32_e32 v1, 0x4f7ffffe, v1
	v_cvt_u32_f32_e32 v1, v1
	v_readfirstlane_b32 s3, v1
	s_mul_i32 s2, s2, s3
	s_mul_hi_u32 s2, s3, s2
	s_add_i32 s3, s3, s2
	s_waitcnt lgkmcnt(0)
	s_mul_hi_u32 s2, s1, s3
	s_mul_i32 s3, s2, s0
	s_sub_i32 s1, s1, s3
	s_add_i32 s9, s2, 1
	s_sub_i32 s3, s1, s0
	s_cmp_ge_u32 s1, s0
	s_cselect_b32 s2, s9, s2
	s_cselect_b32 s1, s3, s1
	s_add_i32 s3, s2, 1
	s_cmp_ge_u32 s1, s0
	s_cselect_b32 s10, s3, s2
	v_cvt_f32_u32_e32 v1, s10
	s_abs_i32 s44, s31
	v_cvt_f32_u32_e32 v2, s44
	s_load_dwordx2 s[0:1], s[4:5], 0x10
	v_rcp_iflag_f32_e32 v1, v1
	s_sub_i32 s2, 0, s10
	v_rcp_iflag_f32_e32 v2, v2
	v_mul_f32_e32 v1, 0x4f7ffffe, v1
	v_cvt_u32_f32_e32 v1, v1
	v_mul_f32_e32 v2, 0x4f7ffffe, v2
	v_cvt_u32_f32_e32 v2, v2
	v_readfirstlane_b32 s3, v1
	s_mul_i32 s2, s2, s3
	s_mul_hi_u32 s2, s3, s2
	s_add_i32 s3, s3, s2
	v_readfirstlane_b32 s9, v2
	s_mul_hi_u32 s11, s7, s3
	s_and_saveexec_b64 s[2:3], vcc
	s_cbranch_execz .LBB130_2
; %bb.1:
	v_mov_b32_e32 v1, 0x100
	v_lshl_add_u32 v1, v17, 2, v1
	v_mov_b32_e32 v2, -1
	ds_write_b32 v1, v2
.LBB130_2:
	s_or_b64 exec, exec, s[2:3]
	s_mul_i32 s2, s11, s10
	s_sub_i32 s2, s7, s2
	s_add_i32 s3, s11, 1
	s_sub_i32 s12, s2, s10
	s_cmp_ge_u32 s2, s10
	s_cselect_b32 s3, s3, s11
	s_cselect_b32 s2, s12, s2
	s_add_i32 s11, s3, 1
	s_cmp_ge_u32 s2, s10
	s_cselect_b32 s2, s11, s3
	s_mul_i32 s3, s2, s10
	s_mul_i32 s56, s2, 13
	s_sub_i32 s7, s7, s3
	s_mul_hi_i32 s3, s56, s27
	s_mul_i32 s2, s56, s27
	s_lshl_b64 s[2:3], s[2:3], 2
	s_waitcnt lgkmcnt(0)
	s_add_u32 s0, s0, s2
	v_add_u32_e32 v1, s56, v17
	s_addc_u32 s1, s1, s3
	v_cmp_gt_i32_e64 s[12:13], s22, v16
	v_cmp_gt_i32_e64 s[46:47], s21, v1
	v_mov_b32_e32 v1, 0
	s_and_saveexec_b64 s[14:15], s[46:47]
	s_cbranch_execz .LBB130_10
; %bb.3:
	v_mov_b32_e32 v1, 0
	s_and_saveexec_b64 s[16:17], s[12:13]
	s_cbranch_execz .LBB130_9
; %bb.4:
	v_mul_lo_u32 v2, v17, s27
	v_ashrrev_i32_e32 v3, 31, v2
	v_lshlrev_b64 v[2:3], 2, v[2:3]
	v_mov_b32_e32 v1, s1
	v_add_co_u32_e64 v4, s[2:3], s0, v2
	v_addc_co_u32_e64 v5, s[2:3], v1, v3, s[2:3]
	v_mov_b32_e32 v1, 0x100
	v_lshl_add_u32 v6, v17, 2, v1
	v_mul_lo_u32 v2, v16, s26
	s_lshl_b32 s33, s26, 6
	s_mov_b64 s[18:19], 0
	v_mov_b32_e32 v1, 0
	v_mov_b32_e32 v7, v16
	s_branch .LBB130_6
.LBB130_5:                              ;   in Loop: Header=BB130_6 Depth=1
	s_or_b64 exec, exec, s[36:37]
	v_add_u32_e32 v7, 64, v7
	v_cmp_le_i32_e64 s[10:11], s22, v7
	s_xor_b64 s[2:3], s[2:3], -1
	s_or_b64 s[2:3], s[2:3], s[10:11]
	s_and_b64 s[2:3], exec, s[2:3]
	s_or_b64 s[18:19], s[2:3], s[18:19]
	v_add_u32_e32 v2, s33, v2
	s_andn2_b64 exec, exec, s[18:19]
	s_cbranch_execz .LBB130_8
.LBB130_6:                              ; =>This Inner Loop Header: Depth=1
	v_ashrrev_i32_e32 v3, 31, v2
	v_lshlrev_b64 v[8:9], 2, v[2:3]
	v_add_co_u32_e64 v8, s[2:3], v4, v8
	v_addc_co_u32_e64 v9, s[2:3], v5, v9, s[2:3]
	global_load_dword v3, v[8:9], off
	s_waitcnt vmcnt(0)
	v_cmp_ne_u32_e64 s[2:3], s7, v3
	v_cmp_eq_u32_e64 s[10:11], s7, v3
	s_and_saveexec_b64 s[36:37], s[10:11]
	s_cbranch_execz .LBB130_5
; %bb.7:                                ;   in Loop: Header=BB130_6 Depth=1
	v_mov_b32_e32 v1, 1
	ds_write_b32 v6, v7
	s_branch .LBB130_5
.LBB130_8:
	s_or_b64 exec, exec, s[18:19]
.LBB130_9:
	s_or_b64 exec, exec, s[16:17]
.LBB130_10:
	s_or_b64 exec, exec, s[14:15]
	s_and_saveexec_b64 s[2:3], vcc
	s_cbranch_execz .LBB130_12
; %bb.11:
	v_mov_b32_e32 v2, 0x100
	v_lshl_add_u32 v2, v17, 2, v2
	v_mov_b32_e32 v3, -1
	ds_write_b32 v2, v3 offset:12
.LBB130_12:
	s_or_b64 exec, exec, s[2:3]
	v_add_u32_e32 v86, 3, v17
	v_add_u32_e32 v2, s56, v86
	v_cmp_gt_i32_e64 s[2:3], s21, v2
	s_mov_b64 s[16:17], exec
                                        ; implicit-def: $vgpr104 : SGPR spill to VGPR lane
	v_writelane_b32 v104, s2, 0
	v_writelane_b32 v104, s3, 1
	s_and_b64 s[2:3], s[16:17], s[2:3]
	s_mov_b64 exec, s[2:3]
	s_cbranch_execz .LBB130_20
; %bb.13:
	s_and_saveexec_b64 s[18:19], s[12:13]
	s_cbranch_execz .LBB130_19
; %bb.14:
	v_mul_lo_u32 v2, v86, s27
	v_ashrrev_i32_e32 v3, 31, v2
	v_lshlrev_b64 v[2:3], 2, v[2:3]
	v_mov_b32_e32 v5, s1
	v_add_co_u32_e64 v4, s[10:11], s0, v2
	v_mov_b32_e32 v2, 0x100
	v_addc_co_u32_e64 v5, s[10:11], v5, v3, s[10:11]
	v_lshl_add_u32 v6, v17, 2, v2
	v_mul_lo_u32 v2, v16, s26
	s_lshl_b32 s2, s26, 6
	s_mov_b64 s[36:37], 0
	v_mov_b32_e32 v7, v16
	s_branch .LBB130_16
.LBB130_15:                             ;   in Loop: Header=BB130_16 Depth=1
	s_or_b64 exec, exec, s[38:39]
	v_add_u32_e32 v7, 64, v7
	v_cmp_le_i32_e64 s[14:15], s22, v7
	s_xor_b64 s[10:11], s[10:11], -1
	s_or_b64 s[10:11], s[10:11], s[14:15]
	s_and_b64 s[10:11], exec, s[10:11]
	s_or_b64 s[36:37], s[10:11], s[36:37]
	v_add_u32_e32 v2, s2, v2
	s_andn2_b64 exec, exec, s[36:37]
	s_cbranch_execz .LBB130_18
.LBB130_16:                             ; =>This Inner Loop Header: Depth=1
	v_ashrrev_i32_e32 v3, 31, v2
	v_lshlrev_b64 v[8:9], 2, v[2:3]
	v_add_co_u32_e64 v8, s[10:11], v4, v8
	v_addc_co_u32_e64 v9, s[10:11], v5, v9, s[10:11]
	global_load_dword v3, v[8:9], off
	s_waitcnt vmcnt(0)
	v_cmp_ne_u32_e64 s[10:11], s7, v3
	v_cmp_eq_u32_e64 s[14:15], s7, v3
	s_and_saveexec_b64 s[38:39], s[14:15]
	s_cbranch_execz .LBB130_15
; %bb.17:                               ;   in Loop: Header=BB130_16 Depth=1
	v_mov_b32_e32 v1, 1
	ds_write_b32 v6, v7 offset:12
	s_branch .LBB130_15
.LBB130_18:
	s_or_b64 exec, exec, s[36:37]
.LBB130_19:
	s_or_b64 exec, exec, s[18:19]
.LBB130_20:
	s_or_b64 exec, exec, s[16:17]
	s_and_saveexec_b64 s[10:11], vcc
	s_cbranch_execz .LBB130_22
; %bb.21:
	v_mov_b32_e32 v2, 0x100
	v_lshl_add_u32 v2, v17, 2, v2
	v_mov_b32_e32 v3, -1
	ds_write_b32 v2, v3 offset:24
.LBB130_22:
	s_or_b64 exec, exec, s[10:11]
	v_add_u32_e32 v87, 6, v17
	v_add_u32_e32 v2, s56, v87
	v_cmp_gt_i32_e64 s[2:3], s21, v2
	s_mov_b64 s[18:19], exec
	v_writelane_b32 v104, s2, 2
	v_writelane_b32 v104, s3, 3
	s_and_b64 s[2:3], s[18:19], s[2:3]
	s_mov_b64 exec, s[2:3]
	s_cbranch_execz .LBB130_30
; %bb.23:
	s_and_saveexec_b64 s[36:37], s[12:13]
	s_cbranch_execz .LBB130_29
; %bb.24:
	v_mul_lo_u32 v2, v87, s27
	v_ashrrev_i32_e32 v3, 31, v2
	v_lshlrev_b64 v[2:3], 2, v[2:3]
	v_mov_b32_e32 v5, s1
	v_add_co_u32_e64 v4, s[14:15], s0, v2
	v_mov_b32_e32 v2, 0x100
	v_addc_co_u32_e64 v5, s[14:15], v5, v3, s[14:15]
	v_lshl_add_u32 v6, v17, 2, v2
	v_mul_lo_u32 v2, v16, s26
	s_lshl_b32 s2, s26, 6
	s_mov_b64 s[38:39], 0
	v_mov_b32_e32 v7, v16
	s_branch .LBB130_26
.LBB130_25:                             ;   in Loop: Header=BB130_26 Depth=1
	s_or_b64 exec, exec, s[40:41]
	v_add_u32_e32 v7, 64, v7
	v_cmp_le_i32_e64 s[16:17], s22, v7
	s_xor_b64 s[10:11], s[14:15], -1
	s_or_b64 s[10:11], s[10:11], s[16:17]
	s_and_b64 s[10:11], exec, s[10:11]
	s_or_b64 s[38:39], s[10:11], s[38:39]
	v_add_u32_e32 v2, s2, v2
	s_andn2_b64 exec, exec, s[38:39]
	s_cbranch_execz .LBB130_28
.LBB130_26:                             ; =>This Inner Loop Header: Depth=1
	v_ashrrev_i32_e32 v3, 31, v2
	v_lshlrev_b64 v[8:9], 2, v[2:3]
	v_add_co_u32_e64 v8, s[14:15], v4, v8
	v_addc_co_u32_e64 v9, s[14:15], v5, v9, s[14:15]
	global_load_dword v3, v[8:9], off
	s_waitcnt vmcnt(0)
	v_cmp_ne_u32_e64 s[14:15], s7, v3
	v_cmp_eq_u32_e64 s[16:17], s7, v3
	s_and_saveexec_b64 s[40:41], s[16:17]
	s_cbranch_execz .LBB130_25
; %bb.27:                               ;   in Loop: Header=BB130_26 Depth=1
	v_mov_b32_e32 v1, 1
	ds_write_b32 v6, v7 offset:24
	s_branch .LBB130_25
.LBB130_28:
	s_or_b64 exec, exec, s[38:39]
.LBB130_29:
	s_or_b64 exec, exec, s[36:37]
.LBB130_30:
	s_or_b64 exec, exec, s[18:19]
	s_sub_i32 s2, 0, s44
	s_and_saveexec_b64 s[14:15], vcc
	s_cbranch_execz .LBB130_32
; %bb.31:
	v_mov_b32_e32 v2, 0x100
	v_lshl_add_u32 v2, v17, 2, v2
	v_mov_b32_e32 v3, -1
	ds_write_b32 v2, v3 offset:36
.LBB130_32:
	s_or_b64 exec, exec, s[14:15]
	v_add_u32_e32 v88, 9, v17
	s_mul_i32 s2, s2, s9
	v_add_u32_e32 v2, s56, v88
	v_cmp_gt_i32_e64 s[10:11], s21, v2
	s_mov_b64 s[36:37], exec
	v_writelane_b32 v104, s10, 4
	v_writelane_b32 v104, s11, 5
	s_and_b64 s[10:11], s[36:37], s[10:11]
	s_mov_b64 exec, s[10:11]
	s_cbranch_execz .LBB130_40
; %bb.33:
	s_and_saveexec_b64 s[38:39], s[12:13]
	s_cbranch_execz .LBB130_39
; %bb.34:
	v_mul_lo_u32 v2, v88, s27
	v_ashrrev_i32_e32 v3, 31, v2
	v_lshlrev_b64 v[2:3], 2, v[2:3]
	v_mov_b32_e32 v5, s1
	v_add_co_u32_e64 v4, s[14:15], s0, v2
	v_mov_b32_e32 v2, 0x100
	v_addc_co_u32_e64 v5, s[14:15], v5, v3, s[14:15]
	v_lshl_add_u32 v6, v17, 2, v2
	v_mul_lo_u32 v2, v16, s26
	s_lshl_b32 s3, s26, 6
	s_mov_b64 s[40:41], 0
	v_mov_b32_e32 v7, v16
	s_branch .LBB130_36
.LBB130_35:                             ;   in Loop: Header=BB130_36 Depth=1
	s_or_b64 exec, exec, s[42:43]
	v_add_u32_e32 v7, 64, v7
	v_cmp_le_i32_e64 s[18:19], s22, v7
	s_xor_b64 s[10:11], s[14:15], -1
	s_or_b64 s[10:11], s[10:11], s[18:19]
	s_and_b64 s[10:11], exec, s[10:11]
	s_or_b64 s[40:41], s[10:11], s[40:41]
	v_add_u32_e32 v2, s3, v2
	s_andn2_b64 exec, exec, s[40:41]
	s_cbranch_execz .LBB130_38
.LBB130_36:                             ; =>This Inner Loop Header: Depth=1
	v_ashrrev_i32_e32 v3, 31, v2
	v_lshlrev_b64 v[8:9], 2, v[2:3]
	v_add_co_u32_e64 v8, s[14:15], v4, v8
	v_addc_co_u32_e64 v9, s[14:15], v5, v9, s[14:15]
	global_load_dword v3, v[8:9], off
	s_waitcnt vmcnt(0)
	v_cmp_ne_u32_e64 s[14:15], s7, v3
	v_cmp_eq_u32_e64 s[18:19], s7, v3
	s_and_saveexec_b64 s[42:43], s[18:19]
	s_cbranch_execz .LBB130_35
; %bb.37:                               ;   in Loop: Header=BB130_36 Depth=1
	v_mov_b32_e32 v1, 1
	ds_write_b32 v6, v7 offset:36
	s_branch .LBB130_35
.LBB130_38:
	s_or_b64 exec, exec, s[40:41]
.LBB130_39:
	s_or_b64 exec, exec, s[38:39]
.LBB130_40:
	s_or_b64 exec, exec, s[36:37]
	s_mul_hi_u32 s3, s9, s2
	s_and_saveexec_b64 s[14:15], vcc
	s_cbranch_execz .LBB130_42
; %bb.41:
	v_mov_b32_e32 v2, 0x100
	v_lshl_add_u32 v2, v17, 2, v2
	v_mov_b32_e32 v3, -1
	ds_write_b32 v2, v3 offset:48
.LBB130_42:
	s_or_b64 exec, exec, s[14:15]
	s_load_dwordx4 s[36:39], s[4:5], 0x54
	v_add_u32_e32 v89, 12, v17
	s_abs_i32 s2, s8
	s_add_i32 s9, s9, s3
	v_add_u32_e32 v2, s56, v89
	v_cmp_gt_i32_e64 s[10:11], s21, v2
	s_mov_b64 s[18:19], exec
	v_writelane_b32 v104, s10, 6
	v_writelane_b32 v104, s11, 7
	s_and_b64 s[10:11], s[18:19], s[10:11]
	s_mov_b64 exec, s[10:11]
	s_cbranch_execz .LBB130_50
; %bb.43:
	s_and_saveexec_b64 s[40:41], s[12:13]
	s_cbranch_execz .LBB130_49
; %bb.44:
	v_mul_lo_u32 v2, v89, s27
	v_ashrrev_i32_e32 v3, 31, v2
	v_lshlrev_b64 v[2:3], 2, v[2:3]
	v_mov_b32_e32 v5, s1
	v_add_co_u32_e32 v4, vcc, s0, v2
	v_mov_b32_e32 v2, 0x100
	v_addc_co_u32_e32 v5, vcc, v5, v3, vcc
	v_lshl_add_u32 v6, v17, 2, v2
	v_mul_lo_u32 v2, v16, s26
	s_lshl_b32 s0, s26, 6
	s_mov_b64 s[26:27], 0
	v_mov_b32_e32 v7, v16
	s_branch .LBB130_46
.LBB130_45:                             ;   in Loop: Header=BB130_46 Depth=1
	s_or_b64 exec, exec, s[42:43]
	v_add_u32_e32 v7, 64, v7
	v_cmp_le_i32_e64 s[12:13], s22, v7
	s_xor_b64 s[10:11], vcc, -1
	s_or_b64 s[10:11], s[10:11], s[12:13]
	s_and_b64 s[10:11], exec, s[10:11]
	s_or_b64 s[26:27], s[10:11], s[26:27]
	v_add_u32_e32 v2, s0, v2
	s_andn2_b64 exec, exec, s[26:27]
	s_cbranch_execz .LBB130_48
.LBB130_46:                             ; =>This Inner Loop Header: Depth=1
	v_ashrrev_i32_e32 v3, 31, v2
	v_lshlrev_b64 v[8:9], 2, v[2:3]
	v_add_co_u32_e32 v8, vcc, v4, v8
	v_addc_co_u32_e32 v9, vcc, v5, v9, vcc
	global_load_dword v3, v[8:9], off
	s_waitcnt vmcnt(0)
	v_cmp_ne_u32_e32 vcc, s7, v3
	v_cmp_eq_u32_e64 s[12:13], s7, v3
	s_and_saveexec_b64 s[42:43], s[12:13]
	s_cbranch_execz .LBB130_45
; %bb.47:                               ;   in Loop: Header=BB130_46 Depth=1
	v_mov_b32_e32 v1, 1
	ds_write_b32 v6, v7 offset:48
	s_branch .LBB130_45
.LBB130_48:
	s_or_b64 exec, exec, s[26:27]
.LBB130_49:
	s_or_b64 exec, exec, s[40:41]
.LBB130_50:
	s_or_b64 exec, exec, s[18:19]
	s_load_dwordx2 s[10:11], s[34:35], 0xc
	s_load_dwordx4 s[40:43], s[4:5], 0x0
	s_load_dwordx2 s[0:1], s[4:5], 0x18
	v_cmp_ne_u32_e32 vcc, 0, v1
	v_cndmask_b32_e64 v1, 0, 1, vcc
                                        ; kill: killed $sgpr4 killed $sgpr5
	s_waitcnt lgkmcnt(0)
	s_lshr_b32 s4, s10, 16
	s_and_b32 s3, s10, 0xffff
	v_or_b32_dpp v1, v1, v1 row_shl:1 row_mask:0xf bank_mask:0xf bound_ctrl:1
	v_writelane_b32 v104, s0, 8
	s_mul_i32 s5, s4, s3
	v_or_b32_dpp v1, v1, v1 row_shl:2 row_mask:0xf bank_mask:0xf bound_ctrl:1
	v_writelane_b32 v104, s1, 9
	s_and_b32 s1, s11, 0xffff
	v_or_b32_dpp v1, v1, v1 row_shl:4 row_mask:0xf bank_mask:0xf bound_ctrl:1
	s_bfe_i32 s5, s5, 0x180000
	s_mul_i32 s1, s5, s1
	v_or_b32_dpp v1, v1, v1 row_shl:8 row_mask:0xf bank_mask:0xf bound_ctrl:1
	s_add_i32 s5, s1, 63
	s_bitcmp1_b32 exec_hi, 0
	v_mov_b32_dpp v2, v1 wave_shl:1 row_mask:0xf bank_mask:0xf bound_ctrl:1
	s_mul_hi_u32 s0, s2, s9
                                        ; kill: killed $sgpr34 killed $sgpr35
	s_nop 0
	v_or_b32_dpp v1, v2, v1 row_mirror row_mask:0xf bank_mask:0xf bound_ctrl:1
	v_readlane_b32 s1, v1, 32
	s_cselect_b32 s1, s1, 0
	v_readlane_b32 s9, v1, 0
	s_or_b32 s1, s1, s9
	s_andn2_b32 s5, s5, 63
	s_cmp_lg_u32 s5, 64
	v_mov_b32_e32 v1, s1
	s_cbranch_scc0 .LBB130_57
; %bb.51:
	v_bfe_u32 v0, v0, 20, 10
	v_mbcnt_lo_u32_b32 v1, -1, 0
	v_mad_u32_u24 v0, v0, s4, v17
	v_mbcnt_hi_u32_b32 v2, -1, v1
	v_mad_u64_u32 v[0:1], s[4:5], v0, s3, v[16:17]
	v_lshrrev_b32_e32 v1, 6, v0
	v_or_b32_e32 v1, v2, v1
	v_cmp_eq_u32_e32 vcc, 0, v1
	s_and_saveexec_b64 s[4:5], vcc
	s_cbranch_execz .LBB130_53
; %bb.52:
	v_mov_b32_e32 v1, 0
	v_mov_b32_e32 v3, s1
	ds_write_b32 v1, v3
.LBB130_53:
	s_or_b64 exec, exec, s[4:5]
	v_cmp_eq_u32_e32 vcc, 0, v2
	v_cmp_lt_u32_e64 s[4:5], 63, v0
	s_and_b64 s[10:11], s[4:5], vcc
	s_waitcnt lgkmcnt(0)
	s_barrier
	s_and_saveexec_b64 s[4:5], s[10:11]
	s_cbranch_execz .LBB130_56
; %bb.54:
	v_mbcnt_lo_u32_b32 v0, exec_lo, 0
	v_mbcnt_hi_u32_b32 v0, exec_hi, v0
	v_cmp_eq_u32_e32 vcc, 0, v0
	s_and_b64 exec, exec, vcc
	s_cbranch_execz .LBB130_56
; %bb.55:
	v_mov_b32_e32 v0, 0
	v_mov_b32_e32 v1, s1
	ds_or_b32 v0, v1
.LBB130_56:
	s_or_b64 exec, exec, s[4:5]
	v_mov_b32_e32 v0, 0
	s_waitcnt lgkmcnt(0)
	s_barrier
	ds_read_b32 v1, v0
	s_waitcnt lgkmcnt(0)
	s_barrier
.LBB130_57:
	v_cmp_ne_u32_e32 vcc, 0, v1
	s_ashr_i32 s1, s8, 31
	s_ashr_i32 s3, s31, 31
	s_cbranch_vccz .LBB130_226
; %bb.58:
	v_lshlrev_b32_e32 v90, 6, v17
	v_add_u32_e32 v92, v90, v16
	v_cmp_le_i32_e32 vcc, s20, v92
	v_and_b32_e32 v91, 15, v16
                                        ; implicit-def: $sgpr9
	s_and_saveexec_b64 s[4:5], vcc
	s_xor_b64 s[4:5], exec, s[4:5]
; %bb.59:
	v_and_b32_e32 v91, 15, v16
	s_mov_b32 s9, 0
                                        ; implicit-def: $vgpr92
; %bb.60:
	s_or_saveexec_b64 s[4:5], s[4:5]
	s_lshl_b32 s6, s6, 6
	v_accvgpr_write_b32 a8, s9
	v_accvgpr_write_b32 a9, s9
	;; [unrolled: 1-line block ×16, first 2 shown]
	v_writelane_b32 v104, s4, 10
	v_writelane_b32 v104, s5, 11
	s_xor_b64 exec, exec, s[4:5]
	s_cbranch_execz .LBB130_207
; %bb.61:
	s_xor_b32 s1, s1, s3
	s_mul_i32 s3, s0, s44
	s_sub_i32 s2, s2, s3
	s_add_i32 s3, s0, 1
	s_sub_i32 s4, s2, s44
	s_cmp_ge_u32 s2, s44
	s_cselect_b32 s0, s3, s0
	s_cselect_b32 s2, s4, s2
	s_add_i32 s3, s0, 1
	s_cmp_ge_u32 s2, s44
	s_cselect_b32 s0, s3, s0
	s_xor_b32 s0, s0, s1
	s_sub_i32 s0, s0, s1
	s_mul_hi_i32 s1, s0, s36
	s_mul_i32 s0, s0, s36
	s_mul_i32 s2, s7, s28
	v_writelane_b32 v104, s46, 12
	s_ashr_i32 s3, s2, 31
	s_lshl_b64 s[0:1], s[0:1], 2
	v_writelane_b32 v104, s47, 13
	s_add_u32 s5, s40, s0
	v_writelane_b32 v104, s6, 14
	s_mul_i32 s4, s6, s23
	s_addc_u32 s6, s41, s1
	s_lshl_b64 s[2:3], s[2:3], 2
	s_add_u32 s7, s5, s2
	s_addc_u32 s6, s6, s3
	s_ashr_i32 s5, s4, 31
	s_lshl_b64 s[4:5], s[4:5], 2
	s_add_u32 s28, s7, s4
	s_addc_u32 s10, s6, s5
	s_movk_i32 s6, 0x1080
	v_mov_b32_e32 v93, 0x100
	v_writelane_b32 v104, s8, 15
	v_mad_u32_u24 v0, v17, s6, v93
	s_mul_hi_i32 s7, s37, s8
	v_writelane_b32 v104, s36, 16
	s_mul_i32 s6, s37, s8
	s_mul_hi_i32 s9, s24, s56
	s_mul_i32 s8, s24, s56
	s_lshl_b64 s[8:9], s[8:9], 3
	s_lshl_b64 s[6:7], s[6:7], 2
	s_add_u32 s6, s42, s6
	v_writelane_b32 v104, s37, 17
	s_addc_u32 s7, s43, s7
	v_writelane_b32 v104, s38, 18
	s_add_u32 s33, s6, s8
	v_writelane_b32 v104, s39, 19
	s_addc_u32 s39, s7, s9
	s_cmp_lt_i32 s56, s21
	s_cselect_b64 s[6:7], -1, 0
	s_add_i32 s8, s56, 1
	s_cmp_lt_i32 s8, s21
	s_cselect_b64 s[18:19], -1, 0
	s_add_i32 s8, s56, 2
	s_cmp_lt_i32 s8, s21
	s_cselect_b64 s[26:27], -1, 0
	s_lshl_b32 s8, s24, 2
	v_writelane_b32 v104, s8, 20
	s_add_i32 s8, s56, 3
	s_cmp_lt_i32 s8, s21
	s_cselect_b64 s[34:35], -1, 0
	s_add_i32 s8, s56, 4
	s_cmp_lt_i32 s8, s21
	s_cselect_b64 s[36:37], -1, 0
	s_lshl_b32 s8, s24, 3
	v_writelane_b32 v104, s8, 21
	s_add_i32 s8, s56, 5
	s_cmp_lt_i32 s8, s21
	s_cselect_b64 s[42:43], -1, 0
	s_add_i32 s8, s56, 6
	s_cmp_lt_i32 s8, s21
	s_mul_i32 s8, s24, 6
	s_cselect_b64 s[44:45], -1, 0
	v_writelane_b32 v104, s8, 22
	s_add_i32 s8, s56, 7
	s_cmp_lt_i32 s8, s21
	s_cselect_b64 s[46:47], -1, 0
	s_add_i32 s8, s56, 8
	s_cmp_lt_i32 s8, s21
	s_cselect_b64 s[48:49], -1, 0
	s_lshl_b32 s8, s24, 4
	v_writelane_b32 v104, s8, 23
	s_add_i32 s8, s56, 9
	s_cmp_lt_i32 s8, s21
	s_cselect_b64 s[50:51], -1, 0
	s_add_i32 s8, s56, 10
	s_cmp_lt_i32 s8, s21
	s_mul_i32 s8, s24, 10
	s_cselect_b64 s[52:53], -1, 0
	v_writelane_b32 v104, s8, 24
	s_add_i32 s8, s56, 11
	s_cmp_lt_i32 s8, s21
	s_cselect_b64 s[54:55], -1, 0
	s_add_i32 s8, s56, 12
	v_writelane_b32 v104, s56, 25
	s_cmp_lt_i32 s8, s21
	s_mul_i32 s8, s24, 12
	s_cselect_b64 s[56:57], -1, 0
	v_writelane_b32 v104, s8, 26
	s_ashr_i32 s9, s23, 31
	s_mov_b32 s8, s23
	s_lshl_b64 s[58:59], s[8:9], 2
	s_add_u32 s0, s0, s4
	v_lshrrev_b32_e32 v2, 1, v16
	s_addc_u32 s1, s1, s5
	v_mul_u32_u24_e32 v1, 0x108, v91
	v_and_b32_e32 v2, 0x1f8, v2
	s_add_u32 s0, s0, s2
	v_lshl_add_u32 v94, v16, 2, v0
	v_add3_u32 v95, v0, v1, v2
	v_lshlrev_b32_e32 v0, 1, v16
	s_addc_u32 s1, s1, s3
	v_lshl_add_u32 v96, v17, 7, v0
	v_lshlrev_b32_e32 v0, 2, v92
	s_add_u32 s0, s40, s0
	v_add_co_u32_e32 v18, vcc, s0, v0
	s_mul_i32 s0, s24, 24
	v_writelane_b32 v104, s0, 27
	s_mul_i32 s0, s24, 22
	v_writelane_b32 v104, s0, 28
	;; [unrolled: 2-line block ×4, first 2 shown]
	s_mul_i32 s0, s24, 14
	s_addc_u32 s1, s41, s1
	v_writelane_b32 v104, s0, 31
	s_lshl_b32 s0, s24, 1
	v_writelane_b32 v104, s0, 32
	s_mul_i32 s0, s23, 3
	v_writelane_b32 v104, s0, 33
	s_mul_i32 s0, s23, 5
	v_writelane_b32 v104, s0, 34
	s_mul_i32 s0, s23, 6
	v_writelane_b32 v104, s0, 35
	s_mul_i32 s0, s23, 7
	v_writelane_b32 v104, s0, 36
	s_mul_i32 s0, s23, 9
	v_writelane_b32 v104, s0, 37
	s_mul_i32 s0, s23, 10
	v_writelane_b32 v104, s0, 38
	s_mul_i32 s0, s23, 11
	v_mov_b32_e32 v1, s1
	v_writelane_b32 v104, s0, 39
	s_mul_i32 s0, s23, 12
	v_addc_co_u32_e32 v19, vcc, 0, v1, vcc
	s_lshl_b32 s70, s23, 1
	s_lshl_b32 s72, s23, 2
	;; [unrolled: 1-line block ×3, first 2 shown]
	v_writelane_b32 v104, s0, 40
	s_mul_i32 s81, s23, 13
	s_mul_i32 s82, s23, 14
	;; [unrolled: 1-line block ×3, first 2 shown]
	s_lshl_b32 s84, s23, 4
	v_mov_b32_e32 v97, s10
	s_mul_i32 s85, s23, 17
	v_mov_b32_e32 v98, 0
	v_accvgpr_write_b32 a15, 0
	v_accvgpr_write_b32 a14, 0
	;; [unrolled: 1-line block ×16, first 2 shown]
	v_mov_b32_e32 v99, s59
	s_mul_i32 s59, s23, 18
	s_mul_i32 s86, s23, 19
	;; [unrolled: 1-line block ×14, first 2 shown]
	s_lshl_b32 s38, s23, 5
	s_mul_i32 s62, s23, 33
	s_mul_i32 s64, s23, 34
	;; [unrolled: 1-line block ×31, first 2 shown]
	s_mov_b32 s78, 0x7f800000
	s_movk_i32 s79, 0x7fff
	s_mov_b32 s80, 0x7060302
	s_mov_b64 s[22:23], 0
	s_branch .LBB130_63
.LBB130_62:                             ;   in Loop: Header=BB130_63 Depth=1
	s_or_b64 exec, exec, s[40:41]
	v_perm_b32 v84, v84, v100, s80
	v_add_u32_e32 v85, 0xc00, v94
	ds_write2_b32 v85, v84, v98 offset0:40 offset1:106
	ds_write2_b32 v85, v98, v98 offset0:172 offset1:238
	ds_read2_b64 v[100:103], v95 offset0:8 offset1:12
	v_accvgpr_write_b32 a0, v0
	v_accvgpr_write_b32 a4, v4
	v_accvgpr_write_b32 a8, v8
	v_accvgpr_write_b32 a12, v12
	v_accvgpr_write_b32 a1, v1
	v_accvgpr_write_b32 a2, v2
	v_accvgpr_write_b32 a3, v3
	v_accvgpr_write_b32 a5, v5
	v_accvgpr_write_b32 a6, v6
	v_accvgpr_write_b32 a7, v7
	v_accvgpr_write_b32 a9, v9
	v_accvgpr_write_b32 a10, v10
	v_accvgpr_write_b32 a11, v11
	v_accvgpr_write_b32 a13, v13
	v_accvgpr_write_b32 a14, v14
	v_accvgpr_write_b32 a15, v15
	s_waitcnt lgkmcnt(0)
	v_mfma_f32_16x16x16bf16_1k a[0:3], v[34:35], v[100:101], a[0:3]
	ds_read2_b64 v[0:3], v95 offset0:16 offset1:20
	v_add_co_u32_e32 v18, vcc, 0x300, v18
	v_add_u32_e32 v92, 0xc0, v92
	v_addc_co_u32_e32 v19, vcc, 0, v19, vcc
	v_cmp_le_i32_e32 vcc, s20, v92
	v_mfma_f32_16x16x16bf16_1k a[4:7], v[52:53], v[100:101], a[4:7]
	v_add_u32_e32 v96, 0x180, v96
	s_or_b64 s[22:23], vcc, s[22:23]
	v_mfma_f32_16x16x16bf16_1k a[8:11], v[66:67], v[100:101], a[8:11]
	v_mfma_f32_16x16x16bf16_1k a[12:15], v[82:83], v[100:101], a[12:15]
	;; [unrolled: 1-line block ×6, first 2 shown]
	s_waitcnt lgkmcnt(0)
	v_mfma_f32_16x16x16bf16_1k a[0:3], v[28:29], v[0:1], a[0:3]
	v_mfma_f32_16x16x16bf16_1k a[4:7], v[46:47], v[0:1], a[4:7]
	;; [unrolled: 1-line block ×8, first 2 shown]
	ds_read2_b64 v[0:3], v95 offset0:24 offset1:28
	s_waitcnt lgkmcnt(0)
	v_mfma_f32_16x16x16bf16_1k a[0:3], v[30:31], v[0:1], a[0:3]
	v_mfma_f32_16x16x16bf16_1k a[4:7], v[42:43], v[0:1], a[4:7]
	v_mfma_f32_16x16x16bf16_1k a[8:11], v[58:59], v[0:1], a[8:11]
	v_mfma_f32_16x16x16bf16_1k a[12:15], v[78:79], v[0:1], a[12:15]
	v_mfma_f32_16x16x16bf16_1k a[0:3], v[26:27], v[2:3], a[0:3]
	v_mfma_f32_16x16x16bf16_1k a[4:7], v[40:41], v[2:3], a[4:7]
	v_mfma_f32_16x16x16bf16_1k a[8:11], v[56:57], v[2:3], a[8:11]
	v_mfma_f32_16x16x16bf16_1k a[12:15], v[74:75], v[2:3], a[12:15]
	ds_read2_b64 v[0:3], v95 offset0:32 offset1:36
	s_waitcnt lgkmcnt(0)
	v_mfma_f32_16x16x16bf16_1k a[0:3], v[22:23], v[0:1], a[0:3]
	v_mfma_f32_16x16x16bf16_1k a[4:7], v[38:39], v[0:1], a[4:7]
	;; [unrolled: 1-line block ×8, first 2 shown]
	s_andn2_b64 exec, exec, s[22:23]
	s_cbranch_execz .LBB130_206
.LBB130_63:                             ; =>This Inner Loop Header: Depth=1
	v_add_co_u32_e32 v0, vcc, s58, v18
	v_addc_co_u32_e32 v1, vcc, v19, v99, vcc
	global_load_dword v20, v[18:19], off
	global_load_dword v21, v[0:1], off
	v_add_u32_e32 v0, s70, v92
	v_ashrrev_i32_e32 v1, 31, v0
	v_readlane_b32 s40, v104, 33
	v_lshlrev_b64 v[0:1], 2, v[0:1]
	v_add_u32_e32 v2, s40, v92
	v_add_co_u32_e32 v0, vcc, s28, v0
	v_ashrrev_i32_e32 v3, 31, v2
	v_addc_co_u32_e32 v1, vcc, v97, v1, vcc
	v_lshlrev_b64 v[2:3], 2, v[2:3]
	v_add_u32_e32 v4, s72, v92
	v_add_co_u32_e32 v2, vcc, s28, v2
	v_ashrrev_i32_e32 v5, 31, v4
	v_readlane_b32 s40, v104, 34
	v_addc_co_u32_e32 v3, vcc, v97, v3, vcc
	v_lshlrev_b64 v[4:5], 2, v[4:5]
	v_add_u32_e32 v6, s40, v92
	v_add_co_u32_e32 v4, vcc, s28, v4
	v_ashrrev_i32_e32 v7, 31, v6
	v_readlane_b32 s40, v104, 35
	;; [unrolled: 6-line block ×3, first 2 shown]
	v_addc_co_u32_e32 v7, vcc, v97, v7, vcc
	v_lshlrev_b64 v[8:9], 2, v[8:9]
	v_add_u32_e32 v10, s40, v92
	v_add_co_u32_e32 v8, vcc, s28, v8
	v_ashrrev_i32_e32 v11, 31, v10
	v_addc_co_u32_e32 v9, vcc, v97, v9, vcc
	v_lshlrev_b64 v[10:11], 2, v[10:11]
	v_add_u32_e32 v12, s76, v92
	v_add_co_u32_e32 v10, vcc, s28, v10
	v_ashrrev_i32_e32 v13, 31, v12
	v_readlane_b32 s40, v104, 37
	v_addc_co_u32_e32 v11, vcc, v97, v11, vcc
	v_lshlrev_b64 v[12:13], 2, v[12:13]
	v_add_u32_e32 v14, s40, v92
	v_add_co_u32_e32 v12, vcc, s28, v12
	v_ashrrev_i32_e32 v15, 31, v14
	v_addc_co_u32_e32 v13, vcc, v97, v13, vcc
	v_lshlrev_b64 v[14:15], 2, v[14:15]
	v_add_co_u32_e32 v14, vcc, s28, v14
	v_readlane_b32 s40, v104, 38
	v_addc_co_u32_e32 v15, vcc, v97, v15, vcc
	global_load_dword v22, v[0:1], off
	global_load_dword v23, v[2:3], off
	;; [unrolled: 1-line block ×6, first 2 shown]
	s_nop 0
	global_load_dword v12, v[12:13], off
	s_nop 0
	global_load_dword v13, v[14:15], off
	v_add_u32_e32 v0, s40, v92
	v_ashrrev_i32_e32 v1, 31, v0
	v_readlane_b32 s40, v104, 39
	v_lshlrev_b64 v[0:1], 2, v[0:1]
	v_add_u32_e32 v2, s40, v92
	v_add_co_u32_e32 v0, vcc, s28, v0
	v_ashrrev_i32_e32 v3, 31, v2
	v_readlane_b32 s40, v104, 40
	v_addc_co_u32_e32 v1, vcc, v97, v1, vcc
	v_lshlrev_b64 v[2:3], 2, v[2:3]
	v_add_u32_e32 v4, s40, v92
	v_add_co_u32_e32 v2, vcc, s28, v2
	v_ashrrev_i32_e32 v5, 31, v4
	v_addc_co_u32_e32 v3, vcc, v97, v3, vcc
	v_lshlrev_b64 v[4:5], 2, v[4:5]
	v_add_u32_e32 v6, s81, v92
	v_add_co_u32_e32 v4, vcc, s28, v4
	v_ashrrev_i32_e32 v7, 31, v6
	;; [unrolled: 5-line block ×4, first 2 shown]
	v_addc_co_u32_e32 v9, vcc, v97, v9, vcc
	v_lshlrev_b64 v[10:11], 2, v[10:11]
	v_add_co_u32_e32 v10, vcc, s28, v10
	v_addc_co_u32_e32 v11, vcc, v97, v11, vcc
	global_load_dword v14, v[0:1], off
	global_load_dword v15, v[2:3], off
	s_nop 0
	global_load_dword v4, v[4:5], off
	s_nop 0
	;; [unrolled: 2-line block ×3, first 2 shown]
	global_load_dword v6, v[8:9], off
	global_load_dword v7, v[10:11], off
	v_add_u32_e32 v0, s84, v92
	v_ashrrev_i32_e32 v1, 31, v0
	v_lshlrev_b64 v[0:1], 2, v[0:1]
	v_add_u32_e32 v2, s85, v92
	v_add_co_u32_e32 v0, vcc, s28, v0
	v_ashrrev_i32_e32 v3, 31, v2
	v_addc_co_u32_e32 v1, vcc, v97, v1, vcc
	v_lshlrev_b64 v[2:3], 2, v[2:3]
	s_waitcnt vmcnt(15)
	ds_write_b32 v94, v20 offset:64
	s_waitcnt vmcnt(14)
	ds_write_b32 v94, v21 offset:328
	;; [unrolled: 2-line block ×10, first 2 shown]
	v_add_co_u32_e32 v2, vcc, s28, v2
	v_addc_co_u32_e32 v3, vcc, v97, v3, vcc
	global_load_dword v0, v[0:1], off
	s_nop 0
	global_load_dword v1, v[2:3], off
	v_add_u32_e32 v2, s59, v92
	v_ashrrev_i32_e32 v3, 31, v2
	s_waitcnt vmcnt(7)
	ds_write_b32 v94, v14 offset:2704
	s_waitcnt vmcnt(6)
	ds_write_b32 v94, v15 offset:2968
	;; [unrolled: 2-line block ×6, first 2 shown]
	v_lshlrev_b64 v[2:3], 2, v[2:3]
	v_add_u32_e32 v4, s86, v92
	v_add_co_u32_e32 v2, vcc, s28, v2
	v_ashrrev_i32_e32 v5, 31, v4
	v_addc_co_u32_e32 v3, vcc, v97, v3, vcc
	v_lshlrev_b64 v[4:5], 2, v[4:5]
	v_add_u32_e32 v6, s87, v92
	v_add_co_u32_e32 v4, vcc, s28, v4
	v_ashrrev_i32_e32 v7, 31, v6
	v_addc_co_u32_e32 v5, vcc, v97, v5, vcc
	v_lshlrev_b64 v[6:7], 2, v[6:7]
	v_add_u32_e32 v8, s88, v92
	v_add_co_u32_e32 v6, vcc, s28, v6
	v_ashrrev_i32_e32 v9, 31, v8
	v_addc_co_u32_e32 v7, vcc, v97, v7, vcc
	v_lshlrev_b64 v[8:9], 2, v[8:9]
	v_add_u32_e32 v10, s89, v92
	v_add_co_u32_e32 v8, vcc, s28, v8
	v_ashrrev_i32_e32 v11, 31, v10
	v_addc_co_u32_e32 v9, vcc, v97, v9, vcc
	v_lshlrev_b64 v[10:11], 2, v[10:11]
	v_add_u32_e32 v12, s90, v92
	v_add_co_u32_e32 v10, vcc, s28, v10
	v_ashrrev_i32_e32 v13, 31, v12
	v_addc_co_u32_e32 v11, vcc, v97, v11, vcc
	v_lshlrev_b64 v[12:13], 2, v[12:13]
	v_add_u32_e32 v14, s91, v92
	v_add_co_u32_e32 v12, vcc, s28, v12
	v_ashrrev_i32_e32 v15, 31, v14
	v_addc_co_u32_e32 v13, vcc, v97, v13, vcc
	v_lshlrev_b64 v[14:15], 2, v[14:15]
	v_add_u32_e32 v20, s92, v92
	v_add_co_u32_e32 v14, vcc, s28, v14
	v_ashrrev_i32_e32 v21, 31, v20
	v_addc_co_u32_e32 v15, vcc, v97, v15, vcc
	v_lshlrev_b64 v[20:21], 2, v[20:21]
	v_add_co_u32_e32 v20, vcc, s28, v20
	v_addc_co_u32_e32 v21, vcc, v97, v21, vcc
	global_load_dword v36, v[2:3], off
	global_load_dword v37, v[4:5], off
	global_load_dword v38, v[6:7], off
	global_load_dword v39, v[8:9], off
	global_load_dword v40, v[10:11], off
	global_load_dword v41, v[12:13], off
	global_load_dword v42, v[14:15], off
	global_load_dword v43, v[20:21], off
	v_add_u32_e32 v2, s93, v92
	v_ashrrev_i32_e32 v3, 31, v2
	v_lshlrev_b64 v[2:3], 2, v[2:3]
	v_add_u32_e32 v4, s94, v92
	v_add_co_u32_e32 v2, vcc, s28, v2
	v_ashrrev_i32_e32 v5, 31, v4
	v_addc_co_u32_e32 v3, vcc, v97, v3, vcc
	v_lshlrev_b64 v[4:5], 2, v[4:5]
	v_add_u32_e32 v6, s95, v92
	v_add_co_u32_e32 v4, vcc, s28, v4
	v_ashrrev_i32_e32 v7, 31, v6
	v_addc_co_u32_e32 v5, vcc, v97, v5, vcc
	v_lshlrev_b64 v[6:7], 2, v[6:7]
	v_add_u32_e32 v8, s12, v92
	v_add_co_u32_e32 v6, vcc, s28, v6
	v_ashrrev_i32_e32 v9, 31, v8
	v_addc_co_u32_e32 v7, vcc, v97, v7, vcc
	v_lshlrev_b64 v[8:9], 2, v[8:9]
	v_add_u32_e32 v10, s13, v92
	v_add_co_u32_e32 v8, vcc, s28, v8
	v_ashrrev_i32_e32 v11, 31, v10
	v_addc_co_u32_e32 v9, vcc, v97, v9, vcc
	v_lshlrev_b64 v[10:11], 2, v[10:11]
	v_add_u32_e32 v12, s31, v92
	v_add_co_u32_e32 v10, vcc, s28, v10
	v_ashrrev_i32_e32 v13, 31, v12
	v_addc_co_u32_e32 v11, vcc, v97, v11, vcc
	v_lshlrev_b64 v[12:13], 2, v[12:13]
	v_add_u32_e32 v14, s38, v92
	v_add_co_u32_e32 v12, vcc, s28, v12
	v_ashrrev_i32_e32 v15, 31, v14
	v_addc_co_u32_e32 v13, vcc, v97, v13, vcc
	v_lshlrev_b64 v[14:15], 2, v[14:15]
	v_add_u32_e32 v20, s62, v92
	v_add_co_u32_e32 v14, vcc, s28, v14
	v_ashrrev_i32_e32 v21, 31, v20
	v_addc_co_u32_e32 v15, vcc, v97, v15, vcc
	v_lshlrev_b64 v[20:21], 2, v[20:21]
	v_add_co_u32_e32 v20, vcc, s28, v20
	v_addc_co_u32_e32 v21, vcc, v97, v21, vcc
	global_load_dword v44, v[2:3], off
	global_load_dword v45, v[4:5], off
	global_load_dword v46, v[6:7], off
	global_load_dword v47, v[8:9], off
	global_load_dword v48, v[10:11], off
	global_load_dword v49, v[12:13], off
	global_load_dword v54, v[14:15], off
	global_load_dword v55, v[20:21], off
	v_add_u32_e32 v2, s64, v92
	v_ashrrev_i32_e32 v3, 31, v2
	;; [unrolled: 48-line block ×5, first 2 shown]
	v_lshlrev_b64 v[2:3], 2, v[2:3]
	v_add_u32_e32 v4, s73, v92
	v_add_co_u32_e32 v2, vcc, s28, v2
	v_ashrrev_i32_e32 v5, 31, v4
	v_addc_co_u32_e32 v3, vcc, v97, v3, vcc
	v_lshlrev_b64 v[4:5], 2, v[4:5]
	v_add_u32_e32 v6, s74, v92
	v_add_co_u32_e32 v4, vcc, s28, v4
	v_ashrrev_i32_e32 v7, 31, v6
	v_addc_co_u32_e32 v5, vcc, v97, v5, vcc
	;; [unrolled: 5-line block ×5, first 2 shown]
	v_lshlrev_b64 v[12:13], 2, v[12:13]
	v_add_co_u32_e32 v12, vcc, s28, v12
	v_addc_co_u32_e32 v13, vcc, v97, v13, vcc
	ds_read_b64 v[34:35], v95 offset:64
	ds_read_b64 v[32:33], v95 offset:96
	;; [unrolled: 1-line block ×4, first 2 shown]
	global_load_dword v80, v[2:3], off
	global_load_dword v81, v[4:5], off
	;; [unrolled: 1-line block ×6, first 2 shown]
	ds_read_b64 v[30:31], v95 offset:192
	ds_read_b64 v[26:27], v95 offset:224
	ds_read_b64 v[22:23], v95 offset:256
	ds_read_b64 v[20:21], v95 offset:288
	s_waitcnt vmcnt(47)
	ds_write_b32 v94, v0 offset:64
	s_waitcnt vmcnt(46)
	ds_write_b32 v94, v1 offset:328
	s_waitcnt vmcnt(45)
	ds_write_b32 v94, v36 offset:592
	s_waitcnt vmcnt(44)
	ds_write_b32 v94, v37 offset:856
	s_waitcnt vmcnt(43)
	ds_write_b32 v94, v38 offset:1120
	s_waitcnt vmcnt(42)
	ds_write_b32 v94, v39 offset:1384
	s_waitcnt vmcnt(41)
	ds_write_b32 v94, v40 offset:1648
	s_waitcnt vmcnt(40)
	ds_write_b32 v94, v41 offset:1912
	s_waitcnt vmcnt(39)
	ds_write_b32 v94, v42 offset:2176
	s_waitcnt vmcnt(38)
	ds_write_b32 v94, v43 offset:2440
	s_waitcnt vmcnt(37)
	ds_write_b32 v94, v44 offset:2704
	s_waitcnt vmcnt(36)
	ds_write_b32 v94, v45 offset:2968
	s_waitcnt vmcnt(35)
	ds_write_b32 v94, v46 offset:3232
	s_waitcnt vmcnt(34)
	ds_write_b32 v94, v47 offset:3496
	s_waitcnt vmcnt(33)
	ds_write_b32 v94, v48 offset:3760
	s_waitcnt vmcnt(32)
	ds_write_b32 v94, v49 offset:4024
	ds_read_b64 v[52:53], v95 offset:64
	ds_read_b64 v[50:51], v95 offset:96
	ds_read_b64 v[46:47], v95 offset:128
	ds_read_b64 v[44:45], v95 offset:160
	ds_read_b64 v[42:43], v95 offset:192
	ds_read_b64 v[40:41], v95 offset:224
	ds_read_b64 v[38:39], v95 offset:256
	ds_read_b64 v[36:37], v95 offset:288
	s_waitcnt vmcnt(31)
	ds_write_b32 v94, v54 offset:64
	s_waitcnt vmcnt(30)
	ds_write_b32 v94, v55 offset:328
	s_waitcnt vmcnt(29)
	ds_write_b32 v94, v56 offset:592
	s_waitcnt vmcnt(28)
	ds_write_b32 v94, v57 offset:856
	s_waitcnt vmcnt(27)
	ds_write_b32 v94, v58 offset:1120
	s_waitcnt vmcnt(26)
	ds_write_b32 v94, v59 offset:1384
	s_waitcnt vmcnt(25)
	ds_write_b32 v94, v60 offset:1648
	s_waitcnt vmcnt(24)
	ds_write_b32 v94, v61 offset:1912
	s_waitcnt vmcnt(23)
	ds_write_b32 v94, v62 offset:2176
	s_waitcnt vmcnt(22)
	ds_write_b32 v94, v63 offset:2440
	s_waitcnt vmcnt(21)
	ds_write_b32 v94, v64 offset:2704
	s_waitcnt vmcnt(20)
	ds_write_b32 v94, v65 offset:2968
	s_waitcnt vmcnt(19)
	ds_write_b32 v94, v66 offset:3232
	s_waitcnt vmcnt(18)
	ds_write_b32 v94, v67 offset:3496
	s_waitcnt vmcnt(17)
	ds_write_b32 v94, v68 offset:3760
	s_waitcnt vmcnt(16)
	ds_write_b32 v94, v69 offset:4024
	ds_read_b64 v[66:67], v95 offset:64
	ds_read_b64 v[64:65], v95 offset:96
	ds_read_b64 v[62:63], v95 offset:128
	ds_read_b64 v[60:61], v95 offset:160
	;; [unrolled: 40-line block ×3, first 2 shown]
	ds_read_b64 v[78:79], v95 offset:192
	ds_read_b64 v[74:75], v95 offset:224
	;; [unrolled: 1-line block ×4, first 2 shown]
	v_accvgpr_read_b32 v3, a15
	v_accvgpr_read_b32 v2, a14
	;; [unrolled: 1-line block ×16, first 2 shown]
	s_andn2_b64 vcc, exec, s[6:7]
	v_mov_b32_e32 v84, 0
	v_mov_b32_e32 v85, 0
	s_cbranch_vccnz .LBB130_66
; %bb.64:                               ;   in Loop: Header=BB130_63 Depth=1
	ds_read_b32 v100, v93
	v_mov_b32_e32 v85, 0
	v_mov_b32_e32 v84, 0
	s_waitcnt lgkmcnt(0)
	v_cmp_gt_i32_e32 vcc, 0, v100
	s_cbranch_vccnz .LBB130_66
; %bb.65:                               ;   in Loop: Header=BB130_63 Depth=1
	v_mul_lo_u32 v84, v100, s29
	v_add_u32_e32 v84, v96, v84
	v_ashrrev_i32_e32 v85, 31, v84
	v_lshlrev_b64 v[84:85], 2, v[84:85]
	v_mov_b32_e32 v100, s39
	v_add_co_u32_e32 v84, vcc, s33, v84
	v_addc_co_u32_e32 v85, vcc, v100, v85, vcc
	global_load_dwordx2 v[84:85], v[84:85], off
.LBB130_66:                             ;   in Loop: Header=BB130_63 Depth=1
	s_waitcnt vmcnt(0)
	v_and_b32_e32 v100, 0x7f800000, v84
	v_cmp_ne_u32_e32 vcc, s78, v100
                                        ; implicit-def: $vgpr100
	s_and_saveexec_b64 s[40:41], vcc
	s_xor_b64 s[40:41], exec, s[40:41]
; %bb.67:                               ;   in Loop: Header=BB130_63 Depth=1
	v_bfe_u32 v100, v84, 16, 1
	v_add3_u32 v100, v84, v100, s79
; %bb.68:                               ;   in Loop: Header=BB130_63 Depth=1
	s_andn2_saveexec_b64 s[40:41], s[40:41]
; %bb.69:                               ;   in Loop: Header=BB130_63 Depth=1
	v_or_b32_e32 v100, 0x10000, v84
	v_cmp_eq_u32_sdwa vcc, v84, v98 src0_sel:WORD_0 src1_sel:DWORD
	v_cndmask_b32_e32 v100, v100, v84, vcc
; %bb.70:                               ;   in Loop: Header=BB130_63 Depth=1
	s_or_b64 exec, exec, s[40:41]
	v_and_b32_e32 v84, 0x7f800000, v85
	v_cmp_ne_u32_e32 vcc, s78, v84
                                        ; implicit-def: $vgpr84
	s_and_saveexec_b64 s[40:41], vcc
	s_xor_b64 s[40:41], exec, s[40:41]
; %bb.71:                               ;   in Loop: Header=BB130_63 Depth=1
	v_bfe_u32 v84, v85, 16, 1
	v_add3_u32 v84, v85, v84, s79
                                        ; implicit-def: $vgpr85
; %bb.72:                               ;   in Loop: Header=BB130_63 Depth=1
	s_andn2_saveexec_b64 s[40:41], s[40:41]
; %bb.73:                               ;   in Loop: Header=BB130_63 Depth=1
	v_or_b32_e32 v84, 0x10000, v85
	v_cmp_eq_u32_sdwa vcc, v85, v98 src0_sel:WORD_0 src1_sel:DWORD
	v_cndmask_b32_e32 v84, v84, v85, vcc
; %bb.74:                               ;   in Loop: Header=BB130_63 Depth=1
	s_or_b64 exec, exec, s[40:41]
	v_perm_b32 v84, v84, v100, s80
	ds_write_b32 v94, v84 offset:64
	s_andn2_b64 vcc, exec, s[18:19]
	v_mov_b32_e32 v84, 0
	v_mov_b32_e32 v85, 0
	s_cbranch_vccnz .LBB130_77
; %bb.75:                               ;   in Loop: Header=BB130_63 Depth=1
	ds_read_b32 v100, v93 offset:4
	v_mov_b32_e32 v85, 0
	v_mov_b32_e32 v84, 0
	s_waitcnt lgkmcnt(0)
	v_cmp_gt_i32_e32 vcc, 0, v100
	s_cbranch_vccnz .LBB130_77
; %bb.76:                               ;   in Loop: Header=BB130_63 Depth=1
	v_mul_lo_u32 v84, v100, s29
	v_readlane_b32 s40, v104, 32
	v_add_u32_e32 v84, s40, v84
	v_add_u32_e32 v84, v84, v96
	v_ashrrev_i32_e32 v85, 31, v84
	v_lshlrev_b64 v[84:85], 2, v[84:85]
	v_mov_b32_e32 v100, s39
	v_add_co_u32_e32 v84, vcc, s33, v84
	v_addc_co_u32_e32 v85, vcc, v100, v85, vcc
	global_load_dwordx2 v[84:85], v[84:85], off
.LBB130_77:                             ;   in Loop: Header=BB130_63 Depth=1
	s_waitcnt vmcnt(0)
	v_and_b32_e32 v100, 0x7f800000, v84
	v_cmp_ne_u32_e32 vcc, s78, v100
                                        ; implicit-def: $vgpr100
	s_and_saveexec_b64 s[40:41], vcc
	s_xor_b64 s[40:41], exec, s[40:41]
; %bb.78:                               ;   in Loop: Header=BB130_63 Depth=1
	v_bfe_u32 v100, v84, 16, 1
	v_add3_u32 v100, v84, v100, s79
; %bb.79:                               ;   in Loop: Header=BB130_63 Depth=1
	s_andn2_saveexec_b64 s[40:41], s[40:41]
; %bb.80:                               ;   in Loop: Header=BB130_63 Depth=1
	v_or_b32_e32 v100, 0x10000, v84
	v_cmp_eq_u32_sdwa vcc, v84, v98 src0_sel:WORD_0 src1_sel:DWORD
	v_cndmask_b32_e32 v100, v100, v84, vcc
; %bb.81:                               ;   in Loop: Header=BB130_63 Depth=1
	s_or_b64 exec, exec, s[40:41]
	v_and_b32_e32 v84, 0x7f800000, v85
	v_cmp_ne_u32_e32 vcc, s78, v84
                                        ; implicit-def: $vgpr84
	s_and_saveexec_b64 s[40:41], vcc
	s_xor_b64 s[40:41], exec, s[40:41]
; %bb.82:                               ;   in Loop: Header=BB130_63 Depth=1
	v_bfe_u32 v84, v85, 16, 1
	v_add3_u32 v84, v85, v84, s79
                                        ; implicit-def: $vgpr85
; %bb.83:                               ;   in Loop: Header=BB130_63 Depth=1
	s_andn2_saveexec_b64 s[40:41], s[40:41]
; %bb.84:                               ;   in Loop: Header=BB130_63 Depth=1
	v_or_b32_e32 v84, 0x10000, v85
	v_cmp_eq_u32_sdwa vcc, v85, v98 src0_sel:WORD_0 src1_sel:DWORD
	v_cndmask_b32_e32 v84, v84, v85, vcc
; %bb.85:                               ;   in Loop: Header=BB130_63 Depth=1
	s_or_b64 exec, exec, s[40:41]
	v_perm_b32 v84, v84, v100, s80
	ds_write_b32 v94, v84 offset:328
	s_andn2_b64 vcc, exec, s[26:27]
	v_mov_b32_e32 v84, 0
	v_mov_b32_e32 v85, 0
	s_cbranch_vccnz .LBB130_88
; %bb.86:                               ;   in Loop: Header=BB130_63 Depth=1
	ds_read_b32 v100, v93 offset:8
	v_mov_b32_e32 v85, 0
	v_mov_b32_e32 v84, 0
	s_waitcnt lgkmcnt(0)
	v_cmp_gt_i32_e32 vcc, 0, v100
	s_cbranch_vccnz .LBB130_88
; %bb.87:                               ;   in Loop: Header=BB130_63 Depth=1
	v_mul_lo_u32 v84, v100, s29
	v_readlane_b32 s40, v104, 20
	v_add_u32_e32 v84, s40, v84
	v_add_u32_e32 v84, v84, v96
	v_ashrrev_i32_e32 v85, 31, v84
	v_lshlrev_b64 v[84:85], 2, v[84:85]
	v_mov_b32_e32 v100, s39
	v_add_co_u32_e32 v84, vcc, s33, v84
	v_addc_co_u32_e32 v85, vcc, v100, v85, vcc
	global_load_dwordx2 v[84:85], v[84:85], off
.LBB130_88:                             ;   in Loop: Header=BB130_63 Depth=1
	;; [unrolled: 59-line block ×3, first 2 shown]
	s_waitcnt vmcnt(0)
	v_and_b32_e32 v100, 0x7f800000, v84
	v_cmp_ne_u32_e32 vcc, s78, v100
                                        ; implicit-def: $vgpr100
	s_and_saveexec_b64 s[40:41], vcc
	s_xor_b64 s[40:41], exec, s[40:41]
; %bb.100:                              ;   in Loop: Header=BB130_63 Depth=1
	v_bfe_u32 v100, v84, 16, 1
	v_add3_u32 v100, v84, v100, s79
; %bb.101:                              ;   in Loop: Header=BB130_63 Depth=1
	s_andn2_saveexec_b64 s[40:41], s[40:41]
; %bb.102:                              ;   in Loop: Header=BB130_63 Depth=1
	v_or_b32_e32 v100, 0x10000, v84
	v_cmp_eq_u32_sdwa vcc, v84, v98 src0_sel:WORD_0 src1_sel:DWORD
	v_cndmask_b32_e32 v100, v100, v84, vcc
; %bb.103:                              ;   in Loop: Header=BB130_63 Depth=1
	s_or_b64 exec, exec, s[40:41]
	v_and_b32_e32 v84, 0x7f800000, v85
	v_cmp_ne_u32_e32 vcc, s78, v84
                                        ; implicit-def: $vgpr84
	s_and_saveexec_b64 s[40:41], vcc
	s_xor_b64 s[40:41], exec, s[40:41]
; %bb.104:                              ;   in Loop: Header=BB130_63 Depth=1
	v_bfe_u32 v84, v85, 16, 1
	v_add3_u32 v84, v85, v84, s79
                                        ; implicit-def: $vgpr85
; %bb.105:                              ;   in Loop: Header=BB130_63 Depth=1
	s_andn2_saveexec_b64 s[40:41], s[40:41]
; %bb.106:                              ;   in Loop: Header=BB130_63 Depth=1
	v_or_b32_e32 v84, 0x10000, v85
	v_cmp_eq_u32_sdwa vcc, v85, v98 src0_sel:WORD_0 src1_sel:DWORD
	v_cndmask_b32_e32 v84, v84, v85, vcc
; %bb.107:                              ;   in Loop: Header=BB130_63 Depth=1
	s_or_b64 exec, exec, s[40:41]
	v_perm_b32 v84, v84, v100, s80
	ds_write_b32 v94, v84 offset:856
	s_andn2_b64 vcc, exec, s[36:37]
	v_mov_b32_e32 v84, 0
	v_mov_b32_e32 v85, 0
	s_cbranch_vccnz .LBB130_110
; %bb.108:                              ;   in Loop: Header=BB130_63 Depth=1
	ds_read_b32 v100, v93 offset:16
	v_mov_b32_e32 v85, 0
	v_mov_b32_e32 v84, 0
	s_waitcnt lgkmcnt(0)
	v_cmp_gt_i32_e32 vcc, 0, v100
	s_cbranch_vccnz .LBB130_110
; %bb.109:                              ;   in Loop: Header=BB130_63 Depth=1
	v_mul_lo_u32 v84, v100, s29
	v_readlane_b32 s40, v104, 21
	v_add_u32_e32 v84, s40, v84
	v_add_u32_e32 v84, v84, v96
	v_ashrrev_i32_e32 v85, 31, v84
	v_lshlrev_b64 v[84:85], 2, v[84:85]
	v_mov_b32_e32 v100, s39
	v_add_co_u32_e32 v84, vcc, s33, v84
	v_addc_co_u32_e32 v85, vcc, v100, v85, vcc
	global_load_dwordx2 v[84:85], v[84:85], off
.LBB130_110:                            ;   in Loop: Header=BB130_63 Depth=1
	s_waitcnt vmcnt(0)
	v_and_b32_e32 v100, 0x7f800000, v84
	v_cmp_ne_u32_e32 vcc, s78, v100
                                        ; implicit-def: $vgpr100
	s_and_saveexec_b64 s[40:41], vcc
	s_xor_b64 s[40:41], exec, s[40:41]
; %bb.111:                              ;   in Loop: Header=BB130_63 Depth=1
	v_bfe_u32 v100, v84, 16, 1
	v_add3_u32 v100, v84, v100, s79
; %bb.112:                              ;   in Loop: Header=BB130_63 Depth=1
	s_andn2_saveexec_b64 s[40:41], s[40:41]
; %bb.113:                              ;   in Loop: Header=BB130_63 Depth=1
	v_or_b32_e32 v100, 0x10000, v84
	v_cmp_eq_u32_sdwa vcc, v84, v98 src0_sel:WORD_0 src1_sel:DWORD
	v_cndmask_b32_e32 v100, v100, v84, vcc
; %bb.114:                              ;   in Loop: Header=BB130_63 Depth=1
	s_or_b64 exec, exec, s[40:41]
	v_and_b32_e32 v84, 0x7f800000, v85
	v_cmp_ne_u32_e32 vcc, s78, v84
                                        ; implicit-def: $vgpr84
	s_and_saveexec_b64 s[40:41], vcc
	s_xor_b64 s[40:41], exec, s[40:41]
; %bb.115:                              ;   in Loop: Header=BB130_63 Depth=1
	v_bfe_u32 v84, v85, 16, 1
	v_add3_u32 v84, v85, v84, s79
                                        ; implicit-def: $vgpr85
; %bb.116:                              ;   in Loop: Header=BB130_63 Depth=1
	s_andn2_saveexec_b64 s[40:41], s[40:41]
; %bb.117:                              ;   in Loop: Header=BB130_63 Depth=1
	v_or_b32_e32 v84, 0x10000, v85
	v_cmp_eq_u32_sdwa vcc, v85, v98 src0_sel:WORD_0 src1_sel:DWORD
	v_cndmask_b32_e32 v84, v84, v85, vcc
; %bb.118:                              ;   in Loop: Header=BB130_63 Depth=1
	s_or_b64 exec, exec, s[40:41]
	v_perm_b32 v84, v84, v100, s80
	ds_write_b32 v94, v84 offset:1120
	s_andn2_b64 vcc, exec, s[42:43]
	v_mov_b32_e32 v84, 0
	v_mov_b32_e32 v85, 0
	s_cbranch_vccnz .LBB130_121
; %bb.119:                              ;   in Loop: Header=BB130_63 Depth=1
	ds_read_b32 v100, v93 offset:20
	v_mov_b32_e32 v85, 0
	v_mov_b32_e32 v84, 0
	s_waitcnt lgkmcnt(0)
	v_cmp_gt_i32_e32 vcc, 0, v100
	s_cbranch_vccnz .LBB130_121
; %bb.120:                              ;   in Loop: Header=BB130_63 Depth=1
	v_mul_lo_u32 v84, v100, s29
	v_readlane_b32 s40, v104, 24
	v_add_u32_e32 v84, s40, v84
	v_add_u32_e32 v84, v84, v96
	v_ashrrev_i32_e32 v85, 31, v84
	v_lshlrev_b64 v[84:85], 2, v[84:85]
	v_mov_b32_e32 v100, s39
	v_add_co_u32_e32 v84, vcc, s33, v84
	v_addc_co_u32_e32 v85, vcc, v100, v85, vcc
	global_load_dwordx2 v[84:85], v[84:85], off
.LBB130_121:                            ;   in Loop: Header=BB130_63 Depth=1
	;; [unrolled: 59-line block ×9, first 2 shown]
	s_waitcnt vmcnt(0)
	v_and_b32_e32 v100, 0x7f800000, v84
	v_cmp_ne_u32_e32 vcc, s78, v100
                                        ; implicit-def: $vgpr100
	s_and_saveexec_b64 s[40:41], vcc
	s_xor_b64 s[40:41], exec, s[40:41]
; %bb.199:                              ;   in Loop: Header=BB130_63 Depth=1
	v_bfe_u32 v100, v84, 16, 1
	v_add3_u32 v100, v84, v100, s79
; %bb.200:                              ;   in Loop: Header=BB130_63 Depth=1
	s_andn2_saveexec_b64 s[40:41], s[40:41]
; %bb.201:                              ;   in Loop: Header=BB130_63 Depth=1
	v_or_b32_e32 v100, 0x10000, v84
	v_cmp_eq_u32_sdwa vcc, v84, v98 src0_sel:WORD_0 src1_sel:DWORD
	v_cndmask_b32_e32 v100, v100, v84, vcc
; %bb.202:                              ;   in Loop: Header=BB130_63 Depth=1
	s_or_b64 exec, exec, s[40:41]
	v_and_b32_e32 v84, 0x7f800000, v85
	v_cmp_ne_u32_e32 vcc, s78, v84
                                        ; implicit-def: $vgpr84
	s_and_saveexec_b64 s[40:41], vcc
	s_xor_b64 s[40:41], exec, s[40:41]
; %bb.203:                              ;   in Loop: Header=BB130_63 Depth=1
	v_bfe_u32 v84, v85, 16, 1
	v_add3_u32 v84, v85, v84, s79
                                        ; implicit-def: $vgpr85
; %bb.204:                              ;   in Loop: Header=BB130_63 Depth=1
	s_andn2_saveexec_b64 s[40:41], s[40:41]
	s_cbranch_execz .LBB130_62
; %bb.205:                              ;   in Loop: Header=BB130_63 Depth=1
	v_or_b32_e32 v84, 0x10000, v85
	v_cmp_eq_u32_sdwa vcc, v85, v98 src0_sel:WORD_0 src1_sel:DWORD
	v_cndmask_b32_e32 v84, v84, v85, vcc
	s_branch .LBB130_62
.LBB130_206:
	s_or_b64 exec, exec, s[22:23]
	v_readlane_b32 s46, v104, 12
	v_readlane_b32 s36, v104, 16
	;; [unrolled: 1-line block ×9, first 2 shown]
.LBB130_207:
	v_readlane_b32 s0, v104, 10
	v_readlane_b32 s1, v104, 11
	s_or_b64 exec, exec, s[0:1]
	v_mul_u32_u24_e32 v0, 0x308, v91
	s_movk_i32 s1, 0x100
	v_lshlrev_b32_e32 v1, 2, v90
	v_add3_u32 v0, s1, v0, v1
	v_and_b32_e32 v2, 0x3f0, v16
	v_add_u32_e32 v3, v0, v2
	s_barrier
	ds_write2_b32 v3, a12, a13 offset0:16 offset1:17
	v_or_b32_e32 v3, 12, v16
	v_add_u32_e32 v1, 64, v0
	v_and_b32_e32 v3, 0x3fc, v3
	v_add_u32_e32 v2, v1, v2
	v_add_u32_e32 v0, v0, v3
	ds_write_b32 v2, a14 offset:8
	ds_write_b32 v0, a15 offset:64
	ds_write2_b32 v2, a4, a5 offset0:16 offset1:17
	ds_write_b32 v2, a6 offset:72
	v_add_u32_e32 v0, v1, v3
	ds_write_b32 v0, a7 offset:64
	ds_write2_b32 v2, a0, a1 offset0:32 offset1:33
	ds_write_b32 v2, a2 offset:136
	ds_write_b32 v0, a3 offset:128
	ds_write2_b32 v2, a8, a9 offset0:48 offset1:49
	ds_write_b32 v2, a10 offset:200
	ds_write_b32 v0, a11 offset:192
	v_mov_b32_e32 v2, 0x100
	s_movk_i32 s0, 0x308
	v_lshl_add_u32 v3, v16, 2, v2
	v_mad_u32_u24 v4, v17, s0, v3
	s_waitcnt lgkmcnt(0)
	s_barrier
	ds_read2_b32 v[0:1], v4 offset0:16 offset1:80
	ds_read_b32 v5, v4 offset:576
	v_cmp_gt_u32_e32 vcc, 13, v17
	v_mov_b32_e32 v6, -1
	s_and_saveexec_b64 s[4:5], vcc
	s_cbranch_execz .LBB130_209
; %bb.208:
	v_lshl_add_u32 v2, v17, 2, v2
	ds_read_b32 v6, v2
.LBB130_209:
	s_or_b64 exec, exec, s[4:5]
	s_mul_hi_i32 s1, s38, s8
	s_mul_i32 s0, s38, s8
	s_lshl_b64 s[0:1], s[0:1], 2
	v_readlane_b32 s4, v104, 8
	s_mul_hi_i32 s3, s56, s25
	s_mul_i32 s2, s56, s25
	v_readlane_b32 s5, v104, 9
	s_add_u32 s4, s4, s0
	s_addc_u32 s5, s5, s1
	s_lshl_b64 s[0:1], s[2:3], 2
	s_add_u32 s2, s4, s0
	s_waitcnt lgkmcnt(0)
	v_cmp_lt_i32_e32 vcc, -1, v6
	v_mul_u32_u24_e32 v4, 0x308, v17
	v_add_u32_e32 v2, s6, v16
	s_addc_u32 s3, s5, s1
	s_and_b64 s[4:5], vcc, s[46:47]
	s_and_saveexec_b64 s[0:1], s[4:5]
	s_cbranch_execz .LBB130_211
; %bb.210:
	v_add_f32_e32 v0, 0, v0
	v_add_f32_e32 v0, v0, v1
	;; [unrolled: 1-line block ×3, first 2 shown]
	v_mul_lo_u32 v0, v6, s30
	v_mul_lo_u32 v1, v17, s25
	v_add3_u32 v0, v2, v1, v0
	v_mov_b32_e32 v1, 0
	v_lshlrev_b64 v[0:1], 2, v[0:1]
	v_mov_b32_e32 v6, s3
	v_add_co_u32_e32 v0, vcc, s2, v0
	v_addc_co_u32_e32 v1, vcc, v6, v1, vcc
	global_store_dword v[0:1], v5, off
.LBB130_211:
	s_or_b64 exec, exec, s[0:1]
	v_add_u32_e32 v3, v4, v3
	v_add_u32_e32 v0, 0x58, v3
	ds_read2st64_b32 v[0:1], v0 offset0:9 offset1:10
	ds_read_b32 v4, v3 offset:2904
	v_cmp_gt_u32_e32 vcc, 10, v17
	v_mov_b32_e32 v5, -1
	s_and_saveexec_b64 s[0:1], vcc
	s_cbranch_execz .LBB130_213
; %bb.212:
	v_mov_b32_e32 v5, 0x100
	v_lshl_add_u32 v5, v17, 2, v5
	ds_read_b32 v5, v5 offset:12
.LBB130_213:
	s_or_b64 exec, exec, s[0:1]
	v_readlane_b32 s0, v104, 0
	s_waitcnt lgkmcnt(0)
	v_cmp_lt_i32_e32 vcc, -1, v5
	v_readlane_b32 s1, v104, 1
	s_and_b64 s[4:5], vcc, s[0:1]
	s_and_saveexec_b64 s[0:1], s[4:5]
	s_cbranch_execz .LBB130_215
; %bb.214:
	v_add_f32_e32 v0, 0, v0
	v_add_f32_e32 v0, v0, v1
	v_add_f32_e32 v4, v0, v4
	v_mul_lo_u32 v0, v5, s30
	v_mul_lo_u32 v1, v86, s25
	v_add3_u32 v0, v2, v1, v0
	v_mov_b32_e32 v1, 0
	v_lshlrev_b64 v[0:1], 2, v[0:1]
	v_mov_b32_e32 v5, s3
	v_add_co_u32_e32 v0, vcc, s2, v0
	v_addc_co_u32_e32 v1, vcc, v5, v1, vcc
	global_store_dword v[0:1], v4, off
.LBB130_215:
	s_or_b64 exec, exec, s[0:1]
	v_add_u32_e32 v0, 0x70, v3
	ds_read2st64_b32 v[0:1], v0 offset0:18 offset1:19
	ds_read_b32 v4, v3 offset:5232
	v_cmp_gt_u32_e32 vcc, 7, v17
	v_mov_b32_e32 v5, -1
	s_and_saveexec_b64 s[0:1], vcc
	s_cbranch_execz .LBB130_217
; %bb.216:
	v_mov_b32_e32 v5, 0x100
	v_lshl_add_u32 v5, v17, 2, v5
	ds_read_b32 v5, v5 offset:24
.LBB130_217:
	s_or_b64 exec, exec, s[0:1]
	v_readlane_b32 s0, v104, 2
	s_waitcnt lgkmcnt(0)
	v_cmp_lt_i32_e32 vcc, -1, v5
	v_readlane_b32 s1, v104, 3
	s_and_b64 s[4:5], vcc, s[0:1]
	s_and_saveexec_b64 s[0:1], s[4:5]
	s_cbranch_execz .LBB130_219
; %bb.218:
	v_add_f32_e32 v0, 0, v0
	v_add_f32_e32 v0, v0, v1
	v_add_f32_e32 v4, v0, v4
	v_mul_lo_u32 v0, v5, s30
	v_mul_lo_u32 v1, v87, s25
	v_add3_u32 v0, v2, v1, v0
	v_mov_b32_e32 v1, 0
	v_lshlrev_b64 v[0:1], 2, v[0:1]
	v_mov_b32_e32 v5, s3
	v_add_co_u32_e32 v0, vcc, s2, v0
	v_addc_co_u32_e32 v1, vcc, v5, v1, vcc
	global_store_dword v[0:1], v4, off
.LBB130_219:
	s_or_b64 exec, exec, s[0:1]
	;; [unrolled: 35-line block ×3, first 2 shown]
	v_cmp_eq_u32_e32 vcc, 0, v17
	s_and_saveexec_b64 s[0:1], vcc
	s_cbranch_execz .LBB130_226
; %bb.224:
	v_mov_b32_e32 v0, 0x100
	ds_read_b32 v0, v0 offset:48
	v_readlane_b32 s4, v104, 6
	v_readlane_b32 s5, v104, 7
	s_waitcnt lgkmcnt(0)
	v_readfirstlane_b32 s0, v0
	s_cmp_gt_i32 s0, -1
	s_cselect_b64 s[0:1], -1, 0
	s_and_b64 s[0:1], s[0:1], s[4:5]
	s_and_b64 exec, exec, s[0:1]
	s_cbranch_execz .LBB130_226
; %bb.225:
	v_add_u32_e32 v1, 0xa0, v3
	ds_read2st64_b32 v[4:5], v1 offset0:36 offset1:37
	ds_read_b32 v1, v3 offset:9888
	v_mul_lo_u32 v0, v0, s30
	v_mul_lo_u32 v3, v89, s25
	v_add3_u32 v0, v2, v3, v0
	s_waitcnt lgkmcnt(1)
	v_add_f32_e32 v2, 0, v4
	v_add_f32_e32 v2, v2, v5
	s_waitcnt lgkmcnt(0)
	v_add_f32_e32 v2, v2, v1
	v_mov_b32_e32 v1, 0
	v_lshlrev_b64 v[0:1], 2, v[0:1]
	v_mov_b32_e32 v3, s3
	v_add_co_u32_e32 v0, vcc, s2, v0
	v_addc_co_u32_e32 v1, vcc, v3, v1, vcc
	global_store_dword v[0:1], v2, off
.LBB130_226:
	s_endpgm
	.section	.rodata,"a",@progbits
	.p2align	6, 0x0
	.amdhsa_kernel _ZL9mul_mat_fI15__hip_bfloat162Li64ELi13ELi3ELb1EEvPKT_PKfPKiPfiiiiiiiiiiiiiiii
		.amdhsa_group_segment_fixed_size 256
		.amdhsa_private_segment_fixed_size 0
		.amdhsa_kernarg_size 352
		.amdhsa_user_sgpr_count 6
		.amdhsa_user_sgpr_private_segment_buffer 1
		.amdhsa_user_sgpr_dispatch_ptr 0
		.amdhsa_user_sgpr_queue_ptr 0
		.amdhsa_user_sgpr_kernarg_segment_ptr 1
		.amdhsa_user_sgpr_dispatch_id 0
		.amdhsa_user_sgpr_flat_scratch_init 0
		.amdhsa_user_sgpr_kernarg_preload_length 0
		.amdhsa_user_sgpr_kernarg_preload_offset 0
		.amdhsa_user_sgpr_private_segment_size 0
		.amdhsa_uses_dynamic_stack 0
		.amdhsa_system_sgpr_private_segment_wavefront_offset 0
		.amdhsa_system_sgpr_workgroup_id_x 1
		.amdhsa_system_sgpr_workgroup_id_y 1
		.amdhsa_system_sgpr_workgroup_id_z 1
		.amdhsa_system_sgpr_workgroup_info 0
		.amdhsa_system_vgpr_workitem_id 2
		.amdhsa_next_free_vgpr 128
		.amdhsa_next_free_sgpr 96
		.amdhsa_accum_offset 108
		.amdhsa_reserve_vcc 1
		.amdhsa_reserve_flat_scratch 0
		.amdhsa_float_round_mode_32 0
		.amdhsa_float_round_mode_16_64 0
		.amdhsa_float_denorm_mode_32 3
		.amdhsa_float_denorm_mode_16_64 3
		.amdhsa_dx10_clamp 1
		.amdhsa_ieee_mode 1
		.amdhsa_fp16_overflow 0
		.amdhsa_tg_split 0
		.amdhsa_exception_fp_ieee_invalid_op 0
		.amdhsa_exception_fp_denorm_src 0
		.amdhsa_exception_fp_ieee_div_zero 0
		.amdhsa_exception_fp_ieee_overflow 0
		.amdhsa_exception_fp_ieee_underflow 0
		.amdhsa_exception_fp_ieee_inexact 0
		.amdhsa_exception_int_div_zero 0
	.end_amdhsa_kernel
	.section	.text._ZL9mul_mat_fI15__hip_bfloat162Li64ELi13ELi3ELb1EEvPKT_PKfPKiPfiiiiiiiiiiiiiiii,"axG",@progbits,_ZL9mul_mat_fI15__hip_bfloat162Li64ELi13ELi3ELb1EEvPKT_PKfPKiPfiiiiiiiiiiiiiiii,comdat
.Lfunc_end130:
	.size	_ZL9mul_mat_fI15__hip_bfloat162Li64ELi13ELi3ELb1EEvPKT_PKfPKiPfiiiiiiiiiiiiiiii, .Lfunc_end130-_ZL9mul_mat_fI15__hip_bfloat162Li64ELi13ELi3ELb1EEvPKT_PKfPKiPfiiiiiiiiiiiiiiii
                                        ; -- End function
	.section	.AMDGPU.csdata,"",@progbits
; Kernel info:
; codeLenInByte = 11776
; NumSgprs: 100
; NumVgprs: 105
; NumAgprs: 20
; TotalNumVgprs: 128
; ScratchSize: 0
; MemoryBound: 0
; FloatMode: 240
; IeeeMode: 1
; LDSByteSize: 256 bytes/workgroup (compile time only)
; SGPRBlocks: 12
; VGPRBlocks: 15
; NumSGPRsForWavesPerEU: 100
; NumVGPRsForWavesPerEU: 128
; AccumOffset: 108
; Occupancy: 4
; WaveLimiterHint : 0
; COMPUTE_PGM_RSRC2:SCRATCH_EN: 0
; COMPUTE_PGM_RSRC2:USER_SGPR: 6
; COMPUTE_PGM_RSRC2:TRAP_HANDLER: 0
; COMPUTE_PGM_RSRC2:TGID_X_EN: 1
; COMPUTE_PGM_RSRC2:TGID_Y_EN: 1
; COMPUTE_PGM_RSRC2:TGID_Z_EN: 1
; COMPUTE_PGM_RSRC2:TIDIG_COMP_CNT: 2
; COMPUTE_PGM_RSRC3_GFX90A:ACCUM_OFFSET: 26
; COMPUTE_PGM_RSRC3_GFX90A:TG_SPLIT: 0
	.section	.text._ZL9mul_mat_fI15__hip_bfloat162Li64ELi13ELi3ELb0EEvPKT_PKfPKiPfiiiiiiiiiiiiiiii,"axG",@progbits,_ZL9mul_mat_fI15__hip_bfloat162Li64ELi13ELi3ELb0EEvPKT_PKfPKiPfiiiiiiiiiiiiiiii,comdat
	.globl	_ZL9mul_mat_fI15__hip_bfloat162Li64ELi13ELi3ELb0EEvPKT_PKfPKiPfiiiiiiiiiiiiiiii ; -- Begin function _ZL9mul_mat_fI15__hip_bfloat162Li64ELi13ELi3ELb0EEvPKT_PKfPKiPfiiiiiiiiiiiiiiii
	.p2align	8
	.type	_ZL9mul_mat_fI15__hip_bfloat162Li64ELi13ELi3ELb0EEvPKT_PKfPKiPfiiiiiiiiiiiiiiii,@function
_ZL9mul_mat_fI15__hip_bfloat162Li64ELi13ELi3ELb0EEvPKT_PKfPKiPfiiiiiiiiiiiiiiii: ; @_ZL9mul_mat_fI15__hip_bfloat162Li64ELi13ELi3ELb0EEvPKT_PKfPKiPfiiiiiiiiiiiiiiii
; %bb.0:
	s_load_dwordx8 s[12:19], s[4:5], 0x40
	s_load_dword s9, s[4:5], 0x20
	s_load_dwordx4 s[0:3], s[4:5], 0x2c
	v_bfe_u32 v86, v0, 10, 10
	v_lshlrev_b32_e32 v88, 6, v86
	v_and_b32_e32 v87, 0x3ff, v0
	s_waitcnt lgkmcnt(0)
	s_abs_i32 s27, s12
	s_abs_i32 s26, s16
	v_cvt_f32_u32_e32 v1, s27
	v_cvt_f32_u32_e32 v2, s26
	v_add_u32_e32 v90, v88, v87
	s_mov_b32 s22, 0
	v_rcp_iflag_f32_e32 v1, v1
	v_rcp_iflag_f32_e32 v2, v2
	s_ashr_i32 s28, s8, 31
	v_cmp_le_i32_e32 vcc, s9, v90
	v_mul_f32_e32 v1, 0x4f7ffffe, v1
	v_mul_f32_e32 v2, 0x4f7ffffe, v2
	v_cvt_u32_f32_e32 v1, v1
	v_cvt_u32_f32_e32 v2, v2
	v_and_b32_e32 v89, 15, v87
	v_readfirstlane_b32 s21, v1
	v_readfirstlane_b32 s20, v2
	s_and_saveexec_b64 s[10:11], vcc
	s_xor_b64 s[10:11], exec, s[10:11]
; %bb.1:
	v_and_b32_e32 v89, 15, v87
                                        ; implicit-def: $vgpr90
; %bb.2:
	s_or_saveexec_b64 s[24:25], s[10:11]
	s_load_dwordx2 s[10:11], s[4:5], 0x18
	s_lshl_b32 s3, s6, 6
	v_accvgpr_write_b32 a0, s22
	v_accvgpr_write_b32 a1, s22
	;; [unrolled: 1-line block ×16, first 2 shown]
	s_xor_b64 exec, exec, s[24:25]
	s_cbranch_execz .LBB131_110
; %bb.3:
                                        ; implicit-def: $vgpr101 : SGPR spill to VGPR lane
	s_sub_i32 s6, 0, s27
	s_waitcnt lgkmcnt(0)
	v_writelane_b32 v101, s10, 0
	v_writelane_b32 v101, s11, 1
	s_sub_i32 s10, 0, s26
	s_mul_i32 s6, s6, s21
	s_mul_i32 s10, s10, s20
	s_mul_hi_u32 s6, s21, s6
	s_mul_hi_u32 s10, s20, s10
	s_abs_i32 s11, s7
	s_add_i32 s6, s21, s6
	s_abs_i32 s29, s8
	s_add_i32 s10, s20, s10
	s_load_dwordx4 s[20:23], s[4:5], 0x0
	s_mul_hi_u32 s4, s11, s6
	s_mul_hi_u32 s5, s29, s10
	s_ashr_i32 s6, s7, 31
	s_ashr_i32 s10, s12, 31
	s_xor_b32 s6, s6, s10
	s_mul_i32 s10, s4, s27
	s_sub_i32 s10, s11, s10
	s_ashr_i32 s12, s16, 31
	s_add_i32 s11, s4, 1
	s_sub_i32 s16, s10, s27
	s_cmp_ge_u32 s10, s27
	s_cselect_b32 s4, s11, s4
	s_cselect_b32 s10, s16, s10
	s_add_i32 s11, s4, 1
	s_cmp_ge_u32 s10, s27
	s_cselect_b32 s4, s11, s4
	s_mul_i32 s10, s5, s26
	s_xor_b32 s4, s4, s6
	s_sub_i32 s10, s29, s10
	s_sub_i32 s6, s4, s6
	s_xor_b32 s4, s28, s12
	s_add_i32 s11, s5, 1
	s_sub_i32 s12, s10, s26
	s_cmp_ge_u32 s10, s26
	s_cselect_b32 s5, s11, s5
	s_cselect_b32 s10, s12, s10
	s_add_i32 s11, s5, 1
	s_cmp_ge_u32 s10, s26
	s_cselect_b32 s5, s11, s5
	s_xor_b32 s5, s5, s4
	s_sub_i32 s4, s5, s4
	s_mul_hi_i32 s5, s4, s17
	s_mul_i32 s4, s4, s17
	s_mul_i32 s10, s6, s13
	s_ashr_i32 s11, s10, 31
	s_lshl_b64 s[16:17], s[4:5], 2
	s_mul_i32 s12, s3, s0
	s_waitcnt lgkmcnt(0)
	s_add_u32 s6, s20, s16
	s_addc_u32 s27, s21, s17
	s_ashr_i32 s13, s12, 31
	s_lshl_b64 s[12:13], s[12:13], 2
	s_lshl_b64 s[10:11], s[10:11], 2
	s_add_u32 s28, s10, s12
	s_addc_u32 s29, s11, s13
	s_mul_i32 s26, s7, s14
	s_add_u32 s6, s28, s6
	s_mul_hi_i32 s5, s18, s8
	s_mul_i32 s4, s18, s8
	s_addc_u32 s76, s29, s27
	s_ashr_i32 s27, s26, 31
	s_lshl_b64 s[10:11], s[4:5], 2
	s_lshl_b64 s[4:5], s[26:27], 2
	s_add_u32 s22, s22, s4
	s_addc_u32 s23, s23, s5
	s_add_u32 s14, s22, s10
	s_movk_i32 s4, 0x1080
	s_addc_u32 s18, s23, s11
	v_mad_u32_u24 v0, v86, s4, 0
	s_ashr_i32 s5, s0, 31
	s_mov_b32 s4, s0
	v_lshrrev_b32_e32 v3, 1, v87
	s_ashr_i32 s13, s1, 31
	s_lshl_b64 s[4:5], s[4:5], 2
	v_lshlrev_b32_e32 v1, 2, v87
	v_mul_u32_u24_e32 v2, 0x108, v89
	v_and_b32_e32 v3, 0x1f8, v3
	s_add_u32 s16, s28, s16
	v_add_u32_e32 v91, v0, v1
	v_add3_u32 v92, v0, v2, v3
	v_lshlrev_b32_e32 v0, 8, v86
	s_addc_u32 s17, s29, s17
	v_mov_b32_e32 v2, s17
	v_add_co_u32_e32 v0, vcc, s16, v0
	v_addc_co_u32_e32 v2, vcc, 0, v2, vcc
	v_add_co_u32_e32 v0, vcc, v0, v1
	v_addc_co_u32_e32 v1, vcc, 0, v2, vcc
	v_mov_b32_e32 v2, s21
	v_add_co_u32_e32 v16, vcc, s20, v0
	v_addc_co_u32_e32 v17, vcc, v2, v1, vcc
	v_lshlrev_b32_e32 v0, 9, v86
	v_mov_b32_e32 v1, s11
	v_add_co_u32_e32 v0, vcc, s10, v0
	v_addc_co_u32_e32 v1, vcc, 0, v1, vcc
	v_lshlrev_b32_e32 v2, 3, v87
	v_add_co_u32_e32 v0, vcc, v0, v2
	v_addc_co_u32_e32 v1, vcc, 0, v1, vcc
	s_mov_b32 s12, s1
	v_mov_b32_e32 v2, s23
	v_add_co_u32_e32 v18, vcc, s22, v0
	s_lshl_b64 s[12:13], s[12:13], 3
	v_addc_co_u32_e32 v19, vcc, v2, v1, vcc
	s_mul_i32 s20, s0, 63
	s_lshl_b32 s21, s1, 1
	s_mul_i32 s22, s1, 3
	s_lshl_b32 s23, s1, 2
	s_mul_i32 s26, s1, 5
	s_mul_i32 s27, s1, 6
	;; [unrolled: 1-line block ×3, first 2 shown]
	s_lshl_b32 s29, s1, 3
	s_mul_i32 s30, s1, 9
	s_mul_i32 s31, s1, 10
	;; [unrolled: 1-line block ×4, first 2 shown]
	s_lshl_b32 s35, s0, 1
	s_mul_i32 s36, s0, 3
	s_lshl_b32 s37, s0, 2
	s_mul_i32 s38, s0, 5
	s_mul_i32 s39, s0, 6
	;; [unrolled: 1-line block ×3, first 2 shown]
	s_lshl_b32 s41, s0, 3
	s_mul_i32 s42, s0, 9
	s_mul_i32 s43, s0, 10
	;; [unrolled: 1-line block ×7, first 2 shown]
	s_lshl_b32 s49, s0, 4
	s_mul_i32 s50, s0, 17
	s_mul_i32 s51, s0, 18
	;; [unrolled: 1-line block ×15, first 2 shown]
	s_lshl_b32 s65, s0, 5
	s_mul_i32 s66, s0, 33
	s_mul_i32 s67, s0, 34
	;; [unrolled: 1-line block ×10, first 2 shown]
	v_mov_b32_e32 v93, s76
	s_mul_i32 s76, s0, 43
	v_mov_b32_e32 v94, 0
	v_accvgpr_write_b32 a15, 0
	v_accvgpr_write_b32 a14, 0
	;; [unrolled: 1-line block ×16, first 2 shown]
	v_mov_b32_e32 v95, s5
	s_mul_i32 s5, s0, 44
	s_mul_i32 s77, s0, 45
	;; [unrolled: 1-line block ×19, first 2 shown]
	s_mov_b32 s95, 0x7f800000
	s_movk_i32 s10, 0x7fff
	s_mov_b32 s11, 0x7060302
	s_mov_b64 s[0:1], 0
	s_branch .LBB131_5
.LBB131_4:                              ;   in Loop: Header=BB131_5 Depth=1
	s_or_b64 exec, exec, s[16:17]
	v_perm_b32 v84, v97, v96, s11
	v_add_u32_e32 v85, 0xc00, v91
	ds_write2_b32 v85, v84, v94 offset0:24 offset1:90
	ds_write2_b32 v85, v94, v94 offset0:156 offset1:222
	ds_read2_b64 v[96:99], v92 offset1:4
	v_accvgpr_write_b32 a0, v0
	v_accvgpr_write_b32 a4, v4
	v_accvgpr_write_b32 a8, v8
	v_accvgpr_write_b32 a12, v12
	v_accvgpr_write_b32 a1, v1
	v_accvgpr_write_b32 a2, v2
	v_accvgpr_write_b32 a3, v3
	v_accvgpr_write_b32 a5, v5
	v_accvgpr_write_b32 a6, v6
	v_accvgpr_write_b32 a7, v7
	v_accvgpr_write_b32 a9, v9
	v_accvgpr_write_b32 a10, v10
	v_accvgpr_write_b32 a11, v11
	v_accvgpr_write_b32 a13, v13
	v_accvgpr_write_b32 a14, v14
	v_accvgpr_write_b32 a15, v15
	s_waitcnt lgkmcnt(0)
	v_mfma_f32_16x16x16bf16_1k a[0:3], v[38:39], v[96:97], a[0:3]
	ds_read2_b64 v[0:3], v92 offset0:8 offset1:12
	v_add_co_u32_e32 v16, vcc, 0x300, v16
	v_addc_co_u32_e32 v17, vcc, 0, v17, vcc
	v_add_co_u32_e32 v18, vcc, 0x600, v18
	v_mfma_f32_16x16x16bf16_1k a[4:7], v[52:53], v[96:97], a[4:7]
	v_add_u32_e32 v90, 0xc0, v90
	v_addc_co_u32_e32 v19, vcc, 0, v19, vcc
	v_cmp_le_i32_e32 vcc, s9, v90
	s_or_b64 s[0:1], vcc, s[0:1]
	v_mfma_f32_16x16x16bf16_1k a[8:11], v[68:69], v[96:97], a[8:11]
	v_mfma_f32_16x16x16bf16_1k a[12:15], v[82:83], v[96:97], a[12:15]
	;; [unrolled: 1-line block ×6, first 2 shown]
	s_waitcnt lgkmcnt(0)
	v_mfma_f32_16x16x16bf16_1k a[0:3], v[30:31], v[0:1], a[0:3]
	v_mfma_f32_16x16x16bf16_1k a[4:7], v[46:47], v[0:1], a[4:7]
	;; [unrolled: 1-line block ×8, first 2 shown]
	ds_read2_b64 v[0:3], v92 offset0:16 offset1:20
	s_waitcnt lgkmcnt(0)
	v_mfma_f32_16x16x16bf16_1k a[0:3], v[26:27], v[0:1], a[0:3]
	v_mfma_f32_16x16x16bf16_1k a[4:7], v[42:43], v[0:1], a[4:7]
	;; [unrolled: 1-line block ×8, first 2 shown]
	ds_read2_b64 v[0:3], v92 offset0:24 offset1:28
	s_waitcnt lgkmcnt(0)
	v_mfma_f32_16x16x16bf16_1k a[0:3], v[22:23], v[0:1], a[0:3]
	v_mfma_f32_16x16x16bf16_1k a[4:7], v[36:37], v[0:1], a[4:7]
	;; [unrolled: 1-line block ×8, first 2 shown]
	s_andn2_b64 exec, exec, s[0:1]
	s_cbranch_execz .LBB131_109
.LBB131_5:                              ; =>This Inner Loop Header: Depth=1
	v_add_co_u32_e32 v0, vcc, s4, v16
	v_addc_co_u32_e32 v1, vcc, v17, v95, vcc
	global_load_dword v20, v[16:17], off
	global_load_dword v21, v[0:1], off
	v_add_u32_e32 v0, s35, v90
	v_ashrrev_i32_e32 v1, 31, v0
	v_lshlrev_b64 v[0:1], 2, v[0:1]
	v_add_u32_e32 v2, s36, v90
	v_add_co_u32_e32 v0, vcc, s6, v0
	v_ashrrev_i32_e32 v3, 31, v2
	v_addc_co_u32_e32 v1, vcc, v93, v1, vcc
	v_lshlrev_b64 v[2:3], 2, v[2:3]
	v_add_u32_e32 v4, s37, v90
	v_add_co_u32_e32 v2, vcc, s6, v2
	v_ashrrev_i32_e32 v5, 31, v4
	v_addc_co_u32_e32 v3, vcc, v93, v3, vcc
	;; [unrolled: 5-line block ×6, first 2 shown]
	v_lshlrev_b64 v[12:13], 2, v[12:13]
	v_add_co_u32_e32 v12, vcc, s6, v12
	v_addc_co_u32_e32 v13, vcc, v93, v13, vcc
	global_load_dword v22, v[0:1], off
	global_load_dword v23, v[2:3], off
	;; [unrolled: 1-line block ×7, first 2 shown]
	v_add_u32_e32 v12, s42, v90
	v_ashrrev_i32_e32 v13, 31, v12
	v_lshlrev_b64 v[12:13], 2, v[12:13]
	v_add_co_u32_e32 v12, vcc, s6, v12
	v_addc_co_u32_e32 v13, vcc, v93, v13, vcc
	v_add_u32_e32 v30, s48, v90
	v_ashrrev_i32_e32 v31, 31, v30
	v_lshlrev_b64 v[30:31], 2, v[30:31]
	v_add_u32_e32 v32, s49, v90
	v_ashrrev_i32_e32 v33, 31, v32
	v_lshlrev_b64 v[32:33], 2, v[32:33]
	;; [unrolled: 3-line block ×6, first 2 shown]
	s_waitcnt vmcnt(8)
	ds_write_b32 v91, v20
	s_waitcnt vmcnt(7)
	ds_write_b32 v91, v21 offset:264
	v_add_u32_e32 v20, s43, v90
	v_ashrrev_i32_e32 v21, 31, v20
	global_load_dword v12, v[12:13], off
	v_lshlrev_b64 v[20:21], 2, v[20:21]
	v_add_co_u32_e32 v20, vcc, s6, v20
	v_addc_co_u32_e32 v21, vcc, v93, v21, vcc
	v_add_u32_e32 v42, s58, v90
	v_ashrrev_i32_e32 v43, 31, v42
	v_lshlrev_b64 v[42:43], 2, v[42:43]
	v_accvgpr_read_b32 v3, a15
	v_accvgpr_read_b32 v2, a14
	s_waitcnt vmcnt(7)
	ds_write_b32 v91, v22 offset:528
	s_waitcnt vmcnt(6)
	ds_write_b32 v91, v23 offset:792
	;; [unrolled: 2-line block ×7, first 2 shown]
	v_add_u32_e32 v22, s44, v90
	v_ashrrev_i32_e32 v23, 31, v22
	v_lshlrev_b64 v[22:23], 2, v[22:23]
	v_add_u32_e32 v24, s45, v90
	v_add_co_u32_e32 v22, vcc, s6, v22
	v_ashrrev_i32_e32 v25, 31, v24
	v_addc_co_u32_e32 v23, vcc, v93, v23, vcc
	v_lshlrev_b64 v[24:25], 2, v[24:25]
	v_add_u32_e32 v26, s46, v90
	v_add_co_u32_e32 v24, vcc, s6, v24
	v_ashrrev_i32_e32 v27, 31, v26
	v_addc_co_u32_e32 v25, vcc, v93, v25, vcc
	;; [unrolled: 5-line block ×3, first 2 shown]
	v_lshlrev_b64 v[28:29], 2, v[28:29]
	v_add_co_u32_e32 v28, vcc, s6, v28
	v_addc_co_u32_e32 v29, vcc, v93, v29, vcc
	v_add_co_u32_e32 v30, vcc, s6, v30
	v_addc_co_u32_e32 v31, vcc, v93, v31, vcc
	;; [unrolled: 2-line block ×4, first 2 shown]
	global_load_dword v20, v[20:21], off
	s_nop 0
	global_load_dword v21, v[22:23], off
	s_nop 0
	global_load_dword v22, v[24:25], off
	global_load_dword v23, v[26:27], off
	s_nop 0
	global_load_dword v24, v[28:29], off
	global_load_dword v25, v[30:31], off
	global_load_dword v13, v[32:33], off
	s_nop 0
	global_load_dword v34, v[34:35], off
	v_add_u32_e32 v26, s51, v90
	v_ashrrev_i32_e32 v27, 31, v26
	v_lshlrev_b64 v[26:27], 2, v[26:27]
	v_add_u32_e32 v28, s52, v90
	v_add_co_u32_e32 v26, vcc, s6, v26
	v_ashrrev_i32_e32 v29, 31, v28
	v_addc_co_u32_e32 v27, vcc, v93, v27, vcc
	v_lshlrev_b64 v[28:29], 2, v[28:29]
	v_add_u32_e32 v30, s53, v90
	v_add_co_u32_e32 v28, vcc, s6, v28
	v_ashrrev_i32_e32 v31, 31, v30
	v_addc_co_u32_e32 v29, vcc, v93, v29, vcc
	;; [unrolled: 5-line block ×3, first 2 shown]
	v_lshlrev_b64 v[32:33], 2, v[32:33]
	v_add_co_u32_e32 v32, vcc, s6, v32
	v_addc_co_u32_e32 v33, vcc, v93, v33, vcc
	v_add_co_u32_e32 v36, vcc, s6, v36
	v_addc_co_u32_e32 v37, vcc, v93, v37, vcc
	;; [unrolled: 2-line block ×5, first 2 shown]
	global_load_dword v35, v[26:27], off
	global_load_dword v44, v[28:29], off
	global_load_dword v45, v[30:31], off
	global_load_dword v46, v[32:33], off
	global_load_dword v47, v[36:37], off
	global_load_dword v48, v[38:39], off
	global_load_dword v49, v[40:41], off
	global_load_dword v50, v[42:43], off
	v_add_u32_e32 v26, s59, v90
	v_ashrrev_i32_e32 v27, 31, v26
	v_lshlrev_b64 v[26:27], 2, v[26:27]
	v_add_u32_e32 v28, s60, v90
	v_add_co_u32_e32 v26, vcc, s6, v26
	v_ashrrev_i32_e32 v29, 31, v28
	v_addc_co_u32_e32 v27, vcc, v93, v27, vcc
	v_lshlrev_b64 v[28:29], 2, v[28:29]
	v_add_u32_e32 v30, s61, v90
	v_add_co_u32_e32 v28, vcc, s6, v28
	v_ashrrev_i32_e32 v31, 31, v30
	v_addc_co_u32_e32 v29, vcc, v93, v29, vcc
	v_lshlrev_b64 v[30:31], 2, v[30:31]
	v_add_u32_e32 v32, s62, v90
	v_add_co_u32_e32 v30, vcc, s6, v30
	v_ashrrev_i32_e32 v33, 31, v32
	v_addc_co_u32_e32 v31, vcc, v93, v31, vcc
	v_lshlrev_b64 v[32:33], 2, v[32:33]
	v_add_u32_e32 v36, s63, v90
	v_add_co_u32_e32 v32, vcc, s6, v32
	v_ashrrev_i32_e32 v37, 31, v36
	v_addc_co_u32_e32 v33, vcc, v93, v33, vcc
	v_lshlrev_b64 v[36:37], 2, v[36:37]
	v_add_u32_e32 v38, s64, v90
	v_add_co_u32_e32 v36, vcc, s6, v36
	v_ashrrev_i32_e32 v39, 31, v38
	v_addc_co_u32_e32 v37, vcc, v93, v37, vcc
	v_lshlrev_b64 v[38:39], 2, v[38:39]
	v_add_u32_e32 v40, s65, v90
	v_add_co_u32_e32 v38, vcc, s6, v38
	v_ashrrev_i32_e32 v41, 31, v40
	v_addc_co_u32_e32 v39, vcc, v93, v39, vcc
	v_lshlrev_b64 v[40:41], 2, v[40:41]
	v_add_u32_e32 v42, s66, v90
	v_add_co_u32_e32 v40, vcc, s6, v40
	v_ashrrev_i32_e32 v43, 31, v42
	v_addc_co_u32_e32 v41, vcc, v93, v41, vcc
	v_lshlrev_b64 v[42:43], 2, v[42:43]
	v_add_co_u32_e32 v42, vcc, s6, v42
	v_addc_co_u32_e32 v43, vcc, v93, v43, vcc
	global_load_dword v51, v[26:27], off
	global_load_dword v52, v[28:29], off
	global_load_dword v53, v[30:31], off
	global_load_dword v54, v[32:33], off
	global_load_dword v55, v[36:37], off
	global_load_dword v56, v[38:39], off
	global_load_dword v57, v[40:41], off
	global_load_dword v58, v[42:43], off
	v_add_u32_e32 v26, s67, v90
	v_ashrrev_i32_e32 v27, 31, v26
	v_lshlrev_b64 v[26:27], 2, v[26:27]
	v_add_u32_e32 v28, s68, v90
	v_add_co_u32_e32 v26, vcc, s6, v26
	v_ashrrev_i32_e32 v29, 31, v28
	v_addc_co_u32_e32 v27, vcc, v93, v27, vcc
	v_lshlrev_b64 v[28:29], 2, v[28:29]
	v_add_u32_e32 v30, s69, v90
	v_add_co_u32_e32 v28, vcc, s6, v28
	v_ashrrev_i32_e32 v31, 31, v30
	v_addc_co_u32_e32 v29, vcc, v93, v29, vcc
	v_lshlrev_b64 v[30:31], 2, v[30:31]
	v_add_u32_e32 v32, s70, v90
	v_add_co_u32_e32 v30, vcc, s6, v30
	v_ashrrev_i32_e32 v33, 31, v32
	v_addc_co_u32_e32 v31, vcc, v93, v31, vcc
	v_lshlrev_b64 v[32:33], 2, v[32:33]
	v_add_u32_e32 v36, s71, v90
	v_add_co_u32_e32 v32, vcc, s6, v32
	v_ashrrev_i32_e32 v37, 31, v36
	v_addc_co_u32_e32 v33, vcc, v93, v33, vcc
	v_lshlrev_b64 v[36:37], 2, v[36:37]
	v_add_u32_e32 v38, s72, v90
	v_add_co_u32_e32 v36, vcc, s6, v36
	v_ashrrev_i32_e32 v39, 31, v38
	v_addc_co_u32_e32 v37, vcc, v93, v37, vcc
	v_lshlrev_b64 v[38:39], 2, v[38:39]
	v_add_u32_e32 v40, s73, v90
	v_add_co_u32_e32 v38, vcc, s6, v38
	v_ashrrev_i32_e32 v41, 31, v40
	v_addc_co_u32_e32 v39, vcc, v93, v39, vcc
	v_lshlrev_b64 v[40:41], 2, v[40:41]
	v_add_u32_e32 v42, s74, v90
	v_add_co_u32_e32 v40, vcc, s6, v40
	v_ashrrev_i32_e32 v43, 31, v42
	v_addc_co_u32_e32 v41, vcc, v93, v41, vcc
	v_lshlrev_b64 v[42:43], 2, v[42:43]
	v_add_co_u32_e32 v42, vcc, s6, v42
	v_addc_co_u32_e32 v43, vcc, v93, v43, vcc
	;; [unrolled: 48-line block ×4, first 2 shown]
	global_load_dword v75, v[26:27], off
	global_load_dword v76, v[28:29], off
	global_load_dword v77, v[30:31], off
	global_load_dword v78, v[32:33], off
	global_load_dword v79, v[36:37], off
	global_load_dword v80, v[38:39], off
	global_load_dword v81, v[40:41], off
	global_load_dword v82, v[42:43], off
	v_add_u32_e32 v26, s90, v90
	v_ashrrev_i32_e32 v27, 31, v26
	v_lshlrev_b64 v[26:27], 2, v[26:27]
	v_add_u32_e32 v28, s91, v90
	v_add_co_u32_e32 v26, vcc, s6, v26
	v_ashrrev_i32_e32 v29, 31, v28
	v_addc_co_u32_e32 v27, vcc, v93, v27, vcc
	v_lshlrev_b64 v[28:29], 2, v[28:29]
	v_add_u32_e32 v30, s92, v90
	v_add_co_u32_e32 v28, vcc, s6, v28
	v_ashrrev_i32_e32 v31, 31, v30
	v_addc_co_u32_e32 v29, vcc, v93, v29, vcc
	;; [unrolled: 5-line block ×5, first 2 shown]
	v_lshlrev_b64 v[38:39], 2, v[38:39]
	v_add_co_u32_e32 v38, vcc, s6, v38
	v_addc_co_u32_e32 v39, vcc, v93, v39, vcc
	global_load_dword v83, v[26:27], off
	global_load_dword v96, v[28:29], off
	;; [unrolled: 1-line block ×6, first 2 shown]
	s_waitcnt vmcnt(54)
	ds_write_b32 v91, v12 offset:2376
	s_waitcnt vmcnt(53)
	ds_write_b32 v91, v20 offset:2640
	;; [unrolled: 2-line block ×7, first 2 shown]
	global_load_dwordx2 v[84:85], v[18:19], off
	ds_read_b64 v[38:39], v92
	ds_read_b64 v[32:33], v92 offset:32
	ds_read_b64 v[30:31], v92 offset:64
	ds_read_b64 v[28:29], v92 offset:96
	ds_read_b64 v[26:27], v92 offset:128
	ds_read_b64 v[24:25], v92 offset:160
	ds_read_b64 v[22:23], v92 offset:192
	ds_read_b64 v[20:21], v92 offset:224
	s_waitcnt vmcnt(48)
	ds_write_b32 v91, v13
	s_waitcnt vmcnt(47)
	ds_write_b32 v91, v34 offset:264
	s_waitcnt vmcnt(46)
	ds_write_b32 v91, v35 offset:528
	s_waitcnt vmcnt(45)
	ds_write_b32 v91, v44 offset:792
	s_waitcnt vmcnt(44)
	ds_write_b32 v91, v45 offset:1056
	s_waitcnt vmcnt(43)
	ds_write_b32 v91, v46 offset:1320
	s_waitcnt vmcnt(42)
	ds_write_b32 v91, v47 offset:1584
	s_waitcnt vmcnt(41)
	ds_write_b32 v91, v48 offset:1848
	s_waitcnt vmcnt(40)
	ds_write_b32 v91, v49 offset:2112
	s_waitcnt vmcnt(39)
	ds_write_b32 v91, v50 offset:2376
	s_waitcnt vmcnt(38)
	ds_write_b32 v91, v51 offset:2640
	s_waitcnt vmcnt(37)
	ds_write_b32 v91, v52 offset:2904
	s_waitcnt vmcnt(36)
	ds_write_b32 v91, v53 offset:3168
	s_waitcnt vmcnt(35)
	ds_write_b32 v91, v54 offset:3432
	s_waitcnt vmcnt(34)
	ds_write_b32 v91, v55 offset:3696
	s_waitcnt vmcnt(33)
	ds_write_b32 v91, v56 offset:3960
	ds_read_b64 v[52:53], v92
	ds_read_b64 v[50:51], v92 offset:32
	ds_read_b64 v[46:47], v92 offset:64
	ds_read_b64 v[44:45], v92 offset:96
	ds_read_b64 v[42:43], v92 offset:128
	ds_read_b64 v[40:41], v92 offset:160
	ds_read_b64 v[36:37], v92 offset:192
	ds_read_b64 v[34:35], v92 offset:224
	s_waitcnt vmcnt(32)
	ds_write_b32 v91, v57
	s_waitcnt vmcnt(31)
	ds_write_b32 v91, v58 offset:264
	s_waitcnt vmcnt(30)
	ds_write_b32 v91, v59 offset:528
	s_waitcnt vmcnt(29)
	ds_write_b32 v91, v60 offset:792
	s_waitcnt vmcnt(28)
	ds_write_b32 v91, v61 offset:1056
	s_waitcnt vmcnt(27)
	ds_write_b32 v91, v62 offset:1320
	s_waitcnt vmcnt(26)
	ds_write_b32 v91, v63 offset:1584
	s_waitcnt vmcnt(25)
	ds_write_b32 v91, v64 offset:1848
	s_waitcnt vmcnt(24)
	ds_write_b32 v91, v65 offset:2112
	s_waitcnt vmcnt(23)
	ds_write_b32 v91, v66 offset:2376
	s_waitcnt vmcnt(22)
	ds_write_b32 v91, v67 offset:2640
	s_waitcnt vmcnt(21)
	ds_write_b32 v91, v68 offset:2904
	s_waitcnt vmcnt(20)
	ds_write_b32 v91, v69 offset:3168
	s_waitcnt vmcnt(19)
	ds_write_b32 v91, v70 offset:3432
	s_waitcnt vmcnt(18)
	ds_write_b32 v91, v71 offset:3696
	s_waitcnt vmcnt(17)
	ds_write_b32 v91, v72 offset:3960
	;; [unrolled: 40-line block ×3, first 2 shown]
	ds_read_b64 v[82:83], v92
	ds_read_b64 v[80:81], v92 offset:32
	ds_read_b64 v[78:79], v92 offset:64
	;; [unrolled: 1-line block ×7, first 2 shown]
	s_waitcnt vmcnt(0)
	v_and_b32_e32 v96, 0x7f800000, v84
	v_accvgpr_read_b32 v1, a13
	v_accvgpr_read_b32 v0, a12
	;; [unrolled: 1-line block ×14, first 2 shown]
	v_cmp_ne_u32_e32 vcc, s95, v96
                                        ; implicit-def: $vgpr96
	s_and_saveexec_b64 s[16:17], vcc
	s_xor_b64 s[16:17], exec, s[16:17]
; %bb.6:                                ;   in Loop: Header=BB131_5 Depth=1
	v_bfe_u32 v96, v84, 16, 1
	v_add3_u32 v96, v84, v96, s10
; %bb.7:                                ;   in Loop: Header=BB131_5 Depth=1
	s_andn2_saveexec_b64 s[16:17], s[16:17]
; %bb.8:                                ;   in Loop: Header=BB131_5 Depth=1
	v_or_b32_e32 v96, 0x10000, v84
	v_cmp_eq_u32_sdwa vcc, v84, v94 src0_sel:WORD_0 src1_sel:DWORD
	v_cndmask_b32_e32 v96, v96, v84, vcc
; %bb.9:                                ;   in Loop: Header=BB131_5 Depth=1
	s_or_b64 exec, exec, s[16:17]
	v_and_b32_e32 v84, 0x7f800000, v85
	v_cmp_ne_u32_e32 vcc, s95, v84
                                        ; implicit-def: $vgpr97
	s_and_saveexec_b64 s[16:17], vcc
	s_xor_b64 s[16:17], exec, s[16:17]
; %bb.10:                               ;   in Loop: Header=BB131_5 Depth=1
	v_bfe_u32 v84, v85, 16, 1
	v_add3_u32 v97, v85, v84, s10
                                        ; implicit-def: $vgpr84_vgpr85
; %bb.11:                               ;   in Loop: Header=BB131_5 Depth=1
	s_andn2_saveexec_b64 s[16:17], s[16:17]
; %bb.12:                               ;   in Loop: Header=BB131_5 Depth=1
	v_or_b32_e32 v84, 0x10000, v85
	v_cmp_eq_u32_sdwa vcc, v85, v94 src0_sel:WORD_0 src1_sel:DWORD
	v_cndmask_b32_e32 v97, v84, v85, vcc
; %bb.13:                               ;   in Loop: Header=BB131_5 Depth=1
	s_or_b64 exec, exec, s[16:17]
	v_mov_b32_e32 v85, s13
	v_add_co_u32_e32 v84, vcc, s12, v18
	v_addc_co_u32_e32 v85, vcc, v19, v85, vcc
	global_load_dwordx2 v[84:85], v[84:85], off
	v_perm_b32 v96, v97, v96, s11
	ds_write_b32 v91, v96
	s_waitcnt vmcnt(0)
	v_and_b32_e32 v96, 0x7f800000, v84
	v_cmp_ne_u32_e32 vcc, s95, v96
                                        ; implicit-def: $vgpr96
	s_and_saveexec_b64 s[16:17], vcc
	s_xor_b64 s[16:17], exec, s[16:17]
; %bb.14:                               ;   in Loop: Header=BB131_5 Depth=1
	v_bfe_u32 v96, v84, 16, 1
	v_add3_u32 v96, v84, v96, s10
; %bb.15:                               ;   in Loop: Header=BB131_5 Depth=1
	s_andn2_saveexec_b64 s[16:17], s[16:17]
; %bb.16:                               ;   in Loop: Header=BB131_5 Depth=1
	v_or_b32_e32 v96, 0x10000, v84
	v_cmp_eq_u32_sdwa vcc, v84, v94 src0_sel:WORD_0 src1_sel:DWORD
	v_cndmask_b32_e32 v96, v96, v84, vcc
; %bb.17:                               ;   in Loop: Header=BB131_5 Depth=1
	s_or_b64 exec, exec, s[16:17]
	v_and_b32_e32 v84, 0x7f800000, v85
	v_cmp_ne_u32_e32 vcc, s95, v84
                                        ; implicit-def: $vgpr97
	s_and_saveexec_b64 s[16:17], vcc
	s_xor_b64 s[16:17], exec, s[16:17]
; %bb.18:                               ;   in Loop: Header=BB131_5 Depth=1
	v_bfe_u32 v84, v85, 16, 1
	v_add3_u32 v97, v85, v84, s10
                                        ; implicit-def: $vgpr84_vgpr85
; %bb.19:                               ;   in Loop: Header=BB131_5 Depth=1
	s_andn2_saveexec_b64 s[16:17], s[16:17]
; %bb.20:                               ;   in Loop: Header=BB131_5 Depth=1
	v_or_b32_e32 v84, 0x10000, v85
	v_cmp_eq_u32_sdwa vcc, v85, v94 src0_sel:WORD_0 src1_sel:DWORD
	v_cndmask_b32_e32 v97, v84, v85, vcc
; %bb.21:                               ;   in Loop: Header=BB131_5 Depth=1
	s_or_b64 exec, exec, s[16:17]
	v_add_u32_e32 v84, s21, v90
	v_ashrrev_i32_e32 v85, 31, v84
	v_lshlrev_b64 v[84:85], 3, v[84:85]
	v_mov_b32_e32 v98, s18
	v_add_co_u32_e32 v84, vcc, s14, v84
	v_addc_co_u32_e32 v85, vcc, v98, v85, vcc
	global_load_dwordx2 v[84:85], v[84:85], off
	v_perm_b32 v96, v97, v96, s11
	ds_write_b32 v91, v96 offset:264
	s_waitcnt vmcnt(0)
	v_and_b32_e32 v96, 0x7f800000, v84
	v_cmp_ne_u32_e32 vcc, s95, v96
                                        ; implicit-def: $vgpr96
	s_and_saveexec_b64 s[16:17], vcc
	s_xor_b64 s[16:17], exec, s[16:17]
; %bb.22:                               ;   in Loop: Header=BB131_5 Depth=1
	v_bfe_u32 v96, v84, 16, 1
	v_add3_u32 v96, v84, v96, s10
; %bb.23:                               ;   in Loop: Header=BB131_5 Depth=1
	s_andn2_saveexec_b64 s[16:17], s[16:17]
; %bb.24:                               ;   in Loop: Header=BB131_5 Depth=1
	v_or_b32_e32 v96, 0x10000, v84
	v_cmp_eq_u32_sdwa vcc, v84, v94 src0_sel:WORD_0 src1_sel:DWORD
	v_cndmask_b32_e32 v96, v96, v84, vcc
; %bb.25:                               ;   in Loop: Header=BB131_5 Depth=1
	s_or_b64 exec, exec, s[16:17]
	v_and_b32_e32 v84, 0x7f800000, v85
	v_cmp_ne_u32_e32 vcc, s95, v84
                                        ; implicit-def: $vgpr97
	s_and_saveexec_b64 s[16:17], vcc
	s_xor_b64 s[16:17], exec, s[16:17]
; %bb.26:                               ;   in Loop: Header=BB131_5 Depth=1
	v_bfe_u32 v84, v85, 16, 1
	v_add3_u32 v97, v85, v84, s10
                                        ; implicit-def: $vgpr84_vgpr85
; %bb.27:                               ;   in Loop: Header=BB131_5 Depth=1
	s_andn2_saveexec_b64 s[16:17], s[16:17]
; %bb.28:                               ;   in Loop: Header=BB131_5 Depth=1
	v_or_b32_e32 v84, 0x10000, v85
	v_cmp_eq_u32_sdwa vcc, v85, v94 src0_sel:WORD_0 src1_sel:DWORD
	v_cndmask_b32_e32 v97, v84, v85, vcc
; %bb.29:                               ;   in Loop: Header=BB131_5 Depth=1
	s_or_b64 exec, exec, s[16:17]
	v_add_u32_e32 v84, s22, v90
	v_ashrrev_i32_e32 v85, 31, v84
	v_lshlrev_b64 v[84:85], 3, v[84:85]
	v_mov_b32_e32 v98, s18
	v_add_co_u32_e32 v84, vcc, s14, v84
	v_addc_co_u32_e32 v85, vcc, v98, v85, vcc
	global_load_dwordx2 v[84:85], v[84:85], off
	v_perm_b32 v96, v97, v96, s11
	ds_write_b32 v91, v96 offset:528
	;; [unrolled: 43-line block ×10, first 2 shown]
	s_waitcnt vmcnt(0)
	v_and_b32_e32 v96, 0x7f800000, v84
	v_cmp_ne_u32_e32 vcc, s95, v96
                                        ; implicit-def: $vgpr96
	s_and_saveexec_b64 s[16:17], vcc
	s_xor_b64 s[16:17], exec, s[16:17]
; %bb.94:                               ;   in Loop: Header=BB131_5 Depth=1
	v_bfe_u32 v96, v84, 16, 1
	v_add3_u32 v96, v84, v96, s10
; %bb.95:                               ;   in Loop: Header=BB131_5 Depth=1
	s_andn2_saveexec_b64 s[16:17], s[16:17]
; %bb.96:                               ;   in Loop: Header=BB131_5 Depth=1
	v_or_b32_e32 v96, 0x10000, v84
	v_cmp_eq_u32_sdwa vcc, v84, v94 src0_sel:WORD_0 src1_sel:DWORD
	v_cndmask_b32_e32 v96, v96, v84, vcc
; %bb.97:                               ;   in Loop: Header=BB131_5 Depth=1
	s_or_b64 exec, exec, s[16:17]
	v_and_b32_e32 v84, 0x7f800000, v85
	v_cmp_ne_u32_e32 vcc, s95, v84
                                        ; implicit-def: $vgpr97
	s_and_saveexec_b64 s[16:17], vcc
	s_xor_b64 s[16:17], exec, s[16:17]
; %bb.98:                               ;   in Loop: Header=BB131_5 Depth=1
	v_bfe_u32 v84, v85, 16, 1
	v_add3_u32 v97, v85, v84, s10
                                        ; implicit-def: $vgpr84_vgpr85
; %bb.99:                               ;   in Loop: Header=BB131_5 Depth=1
	s_andn2_saveexec_b64 s[16:17], s[16:17]
; %bb.100:                              ;   in Loop: Header=BB131_5 Depth=1
	v_or_b32_e32 v84, 0x10000, v85
	v_cmp_eq_u32_sdwa vcc, v85, v94 src0_sel:WORD_0 src1_sel:DWORD
	v_cndmask_b32_e32 v97, v84, v85, vcc
; %bb.101:                              ;   in Loop: Header=BB131_5 Depth=1
	s_or_b64 exec, exec, s[16:17]
	v_add_u32_e32 v84, s34, v90
	v_ashrrev_i32_e32 v85, 31, v84
	v_lshlrev_b64 v[84:85], 3, v[84:85]
	v_mov_b32_e32 v98, s18
	v_add_co_u32_e32 v84, vcc, s14, v84
	v_addc_co_u32_e32 v85, vcc, v98, v85, vcc
	global_load_dwordx2 v[84:85], v[84:85], off
	v_perm_b32 v96, v97, v96, s11
	ds_write_b32 v91, v96 offset:2904
	s_waitcnt vmcnt(0)
	v_and_b32_e32 v96, 0x7f800000, v84
	v_cmp_ne_u32_e32 vcc, s95, v96
                                        ; implicit-def: $vgpr96
	s_and_saveexec_b64 s[16:17], vcc
	s_xor_b64 s[16:17], exec, s[16:17]
; %bb.102:                              ;   in Loop: Header=BB131_5 Depth=1
	v_bfe_u32 v96, v84, 16, 1
	v_add3_u32 v96, v84, v96, s10
; %bb.103:                              ;   in Loop: Header=BB131_5 Depth=1
	s_andn2_saveexec_b64 s[16:17], s[16:17]
; %bb.104:                              ;   in Loop: Header=BB131_5 Depth=1
	v_or_b32_e32 v96, 0x10000, v84
	v_cmp_eq_u32_sdwa vcc, v84, v94 src0_sel:WORD_0 src1_sel:DWORD
	v_cndmask_b32_e32 v96, v96, v84, vcc
; %bb.105:                              ;   in Loop: Header=BB131_5 Depth=1
	s_or_b64 exec, exec, s[16:17]
	v_and_b32_e32 v84, 0x7f800000, v85
	v_cmp_ne_u32_e32 vcc, s95, v84
                                        ; implicit-def: $vgpr97
	s_and_saveexec_b64 s[16:17], vcc
	s_xor_b64 s[16:17], exec, s[16:17]
; %bb.106:                              ;   in Loop: Header=BB131_5 Depth=1
	v_bfe_u32 v84, v85, 16, 1
	v_add3_u32 v97, v85, v84, s10
                                        ; implicit-def: $vgpr84_vgpr85
; %bb.107:                              ;   in Loop: Header=BB131_5 Depth=1
	s_andn2_saveexec_b64 s[16:17], s[16:17]
	s_cbranch_execz .LBB131_4
; %bb.108:                              ;   in Loop: Header=BB131_5 Depth=1
	v_or_b32_e32 v84, 0x10000, v85
	v_cmp_eq_u32_sdwa vcc, v85, v94 src0_sel:WORD_0 src1_sel:DWORD
	v_cndmask_b32_e32 v97, v84, v85, vcc
	s_branch .LBB131_4
.LBB131_109:
	s_or_b64 exec, exec, s[0:1]
	v_readlane_b32 s10, v101, 0
	v_readlane_b32 s11, v101, 1
.LBB131_110:
	s_or_b64 exec, exec, s[24:25]
	s_mul_hi_i32 s1, s19, s8
	s_mul_i32 s0, s19, s8
	s_lshl_b64 s[0:1], s[0:1], 2
	v_mul_u32_u24_e32 v0, 0x308, v89
	v_lshlrev_b32_e32 v1, 2, v88
	v_or_b32_e32 v2, 12, v87
	s_mul_i32 s4, s7, s15
	s_waitcnt lgkmcnt(0)
	s_add_u32 s6, s10, s0
	v_add3_u32 v0, 0, v0, v1
	v_and_b32_e32 v1, 0x3f0, v87
	v_and_b32_e32 v2, 0x3fc, v2
	s_addc_u32 s7, s11, s1
	s_ashr_i32 s5, s4, 31
	v_add_u32_e32 v1, v0, v1
	v_add_u32_e32 v0, v0, v2
	s_lshl_b64 s[0:1], s[4:5], 2
	s_barrier
	s_movk_i32 s4, 0x308
	ds_write2_b32 v1, a12, a13 offset1:1
	ds_write_b32 v1, a14 offset:8
	ds_write_b32 v0, a15
	ds_write2_b32 v1, a8, a9 offset0:16 offset1:17
	ds_write_b32 v1, a10 offset:72
	ds_write_b32 v0, a11 offset:64
	ds_write2_b32 v1, a4, a5 offset0:32 offset1:33
	ds_write_b32 v1, a6 offset:136
	ds_write_b32 v0, a7 offset:128
	;; [unrolled: 3-line block ×3, first 2 shown]
	v_lshl_add_u32 v1, v87, 2, 0
	v_mad_u32_u24 v8, v86, s4, v1
	s_waitcnt lgkmcnt(0)
	s_barrier
	ds_read2st64_b32 v[2:3], v8 offset1:1
	ds_read_b32 v4, v8 offset:512
	ds_read_b32 v9, v8 offset:2840
	;; [unrolled: 1-line block ×4, first 2 shown]
	s_waitcnt lgkmcnt(4)
	v_add_f32_e32 v2, 0, v2
	v_add_u32_e32 v0, s3, v87
	v_add_f32_e32 v2, v2, v3
	v_add_u32_e32 v6, 24, v8
	s_waitcnt lgkmcnt(3)
	v_add_f32_e32 v12, v2, v4
	v_mad_u64_u32 v[2:3], s[4:5], v86, s2, v[0:1]
	ds_read2st64_b32 v[6:7], v6 offset0:9 offset1:10
	s_add_u32 s0, s6, s0
	v_mov_b32_e32 v3, 0
	s_addc_u32 s1, s7, s1
	v_lshlrev_b64 v[4:5], 2, v[2:3]
	v_mov_b32_e32 v13, s1
	v_add_co_u32_e32 v4, vcc, s0, v4
	v_addc_co_u32_e32 v5, vcc, v13, v5, vcc
	global_store_dword v[4:5], v12, off
	s_waitcnt lgkmcnt(0)
	v_add_f32_e32 v4, 0, v6
	v_add_u32_e32 v6, 48, v8
	v_add_f32_e32 v4, v4, v7
	s_mul_i32 s3, s2, 3
	ds_read2st64_b32 v[6:7], v6 offset0:18 offset1:19
	v_add_u32_e32 v2, s3, v2
	v_add_f32_e32 v9, v4, v9
	v_lshlrev_b64 v[4:5], 2, v[2:3]
	v_mov_b32_e32 v12, s1
	v_add_co_u32_e32 v4, vcc, s0, v4
	v_addc_co_u32_e32 v5, vcc, v12, v5, vcc
	global_store_dword v[4:5], v9, off
	s_waitcnt lgkmcnt(0)
	v_add_f32_e32 v4, 0, v6
	v_add_u32_e32 v6, 0x48, v8
	v_add_f32_e32 v4, v4, v7
	ds_read2st64_b32 v[6:7], v6 offset0:27 offset1:28
	v_add_u32_e32 v2, s3, v2
	v_add_f32_e32 v9, v4, v10
	v_lshlrev_b64 v[4:5], 2, v[2:3]
	v_mov_b32_e32 v10, s1
	v_add_co_u32_e32 v4, vcc, s0, v4
	v_addc_co_u32_e32 v5, vcc, v10, v5, vcc
	global_store_dword v[4:5], v9, off
	s_waitcnt lgkmcnt(0)
	v_add_f32_e32 v4, 0, v6
	v_add_f32_e32 v4, v4, v7
	v_add_u32_e32 v2, s3, v2
	v_add_f32_e32 v6, v4, v11
	v_lshlrev_b64 v[4:5], 2, v[2:3]
	v_mov_b32_e32 v2, s1
	v_add_co_u32_e32 v4, vcc, s0, v4
	v_addc_co_u32_e32 v5, vcc, v2, v5, vcc
	v_cmp_eq_u32_e32 vcc, 0, v86
	global_store_dword v[4:5], v6, off
	s_and_saveexec_b64 s[4:5], vcc
	s_cbranch_execz .LBB131_112
; %bb.111:
	v_add_u32_e32 v2, 0x60, v1
	ds_read2st64_b32 v[4:5], v2 offset0:36 offset1:37
	ds_read_b32 v2, v1 offset:9824
	v_mad_u64_u32 v[0:1], s[2:3], s2, 12, v[0:1]
	v_mov_b32_e32 v1, v3
	s_waitcnt lgkmcnt(1)
	v_add_f32_e32 v3, 0, v4
	v_add_f32_e32 v3, v3, v5
	v_lshlrev_b64 v[0:1], 2, v[0:1]
	s_waitcnt lgkmcnt(0)
	v_add_f32_e32 v2, v3, v2
	v_mov_b32_e32 v3, s1
	v_add_co_u32_e32 v0, vcc, s0, v0
	v_addc_co_u32_e32 v1, vcc, v3, v1, vcc
	global_store_dword v[0:1], v2, off
.LBB131_112:
	s_endpgm
	.section	.rodata,"a",@progbits
	.p2align	6, 0x0
	.amdhsa_kernel _ZL9mul_mat_fI15__hip_bfloat162Li64ELi13ELi3ELb0EEvPKT_PKfPKiPfiiiiiiiiiiiiiiii
		.amdhsa_group_segment_fixed_size 0
		.amdhsa_private_segment_fixed_size 0
		.amdhsa_kernarg_size 96
		.amdhsa_user_sgpr_count 6
		.amdhsa_user_sgpr_private_segment_buffer 1
		.amdhsa_user_sgpr_dispatch_ptr 0
		.amdhsa_user_sgpr_queue_ptr 0
		.amdhsa_user_sgpr_kernarg_segment_ptr 1
		.amdhsa_user_sgpr_dispatch_id 0
		.amdhsa_user_sgpr_flat_scratch_init 0
		.amdhsa_user_sgpr_kernarg_preload_length 0
		.amdhsa_user_sgpr_kernarg_preload_offset 0
		.amdhsa_user_sgpr_private_segment_size 0
		.amdhsa_uses_dynamic_stack 0
		.amdhsa_system_sgpr_private_segment_wavefront_offset 0
		.amdhsa_system_sgpr_workgroup_id_x 1
		.amdhsa_system_sgpr_workgroup_id_y 1
		.amdhsa_system_sgpr_workgroup_id_z 1
		.amdhsa_system_sgpr_workgroup_info 0
		.amdhsa_system_vgpr_workitem_id 1
		.amdhsa_next_free_vgpr 128
		.amdhsa_next_free_sgpr 96
		.amdhsa_accum_offset 104
		.amdhsa_reserve_vcc 1
		.amdhsa_reserve_flat_scratch 0
		.amdhsa_float_round_mode_32 0
		.amdhsa_float_round_mode_16_64 0
		.amdhsa_float_denorm_mode_32 3
		.amdhsa_float_denorm_mode_16_64 3
		.amdhsa_dx10_clamp 1
		.amdhsa_ieee_mode 1
		.amdhsa_fp16_overflow 0
		.amdhsa_tg_split 0
		.amdhsa_exception_fp_ieee_invalid_op 0
		.amdhsa_exception_fp_denorm_src 0
		.amdhsa_exception_fp_ieee_div_zero 0
		.amdhsa_exception_fp_ieee_overflow 0
		.amdhsa_exception_fp_ieee_underflow 0
		.amdhsa_exception_fp_ieee_inexact 0
		.amdhsa_exception_int_div_zero 0
	.end_amdhsa_kernel
	.section	.text._ZL9mul_mat_fI15__hip_bfloat162Li64ELi13ELi3ELb0EEvPKT_PKfPKiPfiiiiiiiiiiiiiiii,"axG",@progbits,_ZL9mul_mat_fI15__hip_bfloat162Li64ELi13ELi3ELb0EEvPKT_PKfPKiPfiiiiiiiiiiiiiiii,comdat
.Lfunc_end131:
	.size	_ZL9mul_mat_fI15__hip_bfloat162Li64ELi13ELi3ELb0EEvPKT_PKfPKiPfiiiiiiiiiiiiiiii, .Lfunc_end131-_ZL9mul_mat_fI15__hip_bfloat162Li64ELi13ELi3ELb0EEvPKT_PKfPKiPfiiiiiiiiiiiiiiii
                                        ; -- End function
	.section	.AMDGPU.csdata,"",@progbits
; Kernel info:
; codeLenInByte = 7864
; NumSgprs: 100
; NumVgprs: 102
; NumAgprs: 24
; TotalNumVgprs: 128
; ScratchSize: 0
; MemoryBound: 0
; FloatMode: 240
; IeeeMode: 1
; LDSByteSize: 0 bytes/workgroup (compile time only)
; SGPRBlocks: 12
; VGPRBlocks: 15
; NumSGPRsForWavesPerEU: 100
; NumVGPRsForWavesPerEU: 128
; AccumOffset: 104
; Occupancy: 4
; WaveLimiterHint : 0
; COMPUTE_PGM_RSRC2:SCRATCH_EN: 0
; COMPUTE_PGM_RSRC2:USER_SGPR: 6
; COMPUTE_PGM_RSRC2:TRAP_HANDLER: 0
; COMPUTE_PGM_RSRC2:TGID_X_EN: 1
; COMPUTE_PGM_RSRC2:TGID_Y_EN: 1
; COMPUTE_PGM_RSRC2:TGID_Z_EN: 1
; COMPUTE_PGM_RSRC2:TIDIG_COMP_CNT: 1
; COMPUTE_PGM_RSRC3_GFX90A:ACCUM_OFFSET: 25
; COMPUTE_PGM_RSRC3_GFX90A:TG_SPLIT: 0
	.section	.text._ZL13mul_mat_f_idsI15__hip_bfloat162Li64ELi13ELi4EEvPKT_PKfPKiS7_S7_Pfiiiiiiiiiiiiii15HIP_vector_typeIjLj3EESA_,"axG",@progbits,_ZL13mul_mat_f_idsI15__hip_bfloat162Li64ELi13ELi4EEvPKT_PKfPKiS7_S7_Pfiiiiiiiiiiiiii15HIP_vector_typeIjLj3EESA_,comdat
	.globl	_ZL13mul_mat_f_idsI15__hip_bfloat162Li64ELi13ELi4EEvPKT_PKfPKiS7_S7_Pfiiiiiiiiiiiiii15HIP_vector_typeIjLj3EESA_ ; -- Begin function _ZL13mul_mat_f_idsI15__hip_bfloat162Li64ELi13ELi4EEvPKT_PKfPKiS7_S7_Pfiiiiiiiiiiiiii15HIP_vector_typeIjLj3EESA_
	.p2align	8
	.type	_ZL13mul_mat_f_idsI15__hip_bfloat162Li64ELi13ELi4EEvPKT_PKfPKiS7_S7_Pfiiiiiiiiiiiiii15HIP_vector_typeIjLj3EESA_,@function
_ZL13mul_mat_f_idsI15__hip_bfloat162Li64ELi13ELi4EEvPKT_PKfPKiS7_S7_Pfiiiiiiiiiiiiii15HIP_vector_typeIjLj3EESA_: ; @_ZL13mul_mat_f_idsI15__hip_bfloat162Li64ELi13ELi4EEvPKT_PKfPKiS7_S7_Pfiiiiiiiiiiiiii15HIP_vector_typeIjLj3EESA_
; %bb.0:
	s_load_dwordx2 s[0:1], s[4:5], 0x20
	s_mov_b32 s34, s7
	s_ashr_i32 s35, s7, 31
	s_lshl_b64 s[2:3], s[34:35], 2
	s_waitcnt lgkmcnt(0)
	s_add_u32 s0, s0, s2
	s_addc_u32 s1, s1, s3
	s_load_dwordx2 s[26:27], s[0:1], 0x0
	s_waitcnt lgkmcnt(0)
	s_sub_i32 s33, s27, s26
	s_add_i32 s0, s33, 12
	s_mul_hi_i32 s0, s0, 0x4ec4ec4f
	s_lshr_b32 s1, s0, 31
	s_ashr_i32 s0, s0, 2
	s_add_i32 s0, s0, s1
	s_cmp_ge_i32 s8, s0
	s_cbranch_scc1 .LBB132_163
; %bb.1:
	v_bfe_u32 v108, v0, 10, 10
	v_lshlrev_b32_e32 v110, 6, v108
	v_and_b32_e32 v109, 0x3ff, v0
	s_load_dwordx4 s[12:15], s[4:5], 0x30
	s_load_dwordx2 s[20:21], s[4:5], 0x40
	s_load_dwordx4 s[0:3], s[4:5], 0x4c
	s_load_dwordx4 s[16:19], s[4:5], 0x68
	s_load_dwordx2 s[24:25], s[4:5], 0x78
	v_add_u32_e32 v112, v110, v109
	s_ashr_i32 s27, s26, 31
	s_waitcnt lgkmcnt(0)
	v_cmp_le_i32_e32 vcc, s12, v112
	v_and_b32_e32 v111, 15, v109
                                        ; implicit-def: $sgpr3
	s_and_saveexec_b64 s[10:11], vcc
	s_xor_b64 s[10:11], exec, s[10:11]
; %bb.2:
	v_and_b32_e32 v111, 15, v109
	s_mov_b32 s3, 0
                                        ; implicit-def: $vgpr112
; %bb.3:
	s_or_saveexec_b64 s[22:23], s[10:11]
	s_load_dwordx2 s[10:11], s[4:5], 0x18
                                        ; implicit-def: $vgpr119 : SGPR spill to VGPR lane
	s_lshl_b32 s7, s6, 6
	s_mul_i32 s6, s8, 13
	v_accvgpr_write_b32 a0, s3
	v_accvgpr_write_b32 a1, s3
	s_waitcnt lgkmcnt(0)
	v_writelane_b32 v119, s10, 0
	v_writelane_b32 v119, s11, 1
	s_load_dwordx2 s[10:11], s[4:5], 0x28
	v_accvgpr_write_b32 a2, s3
	v_accvgpr_write_b32 a3, s3
	;; [unrolled: 1-line block ×4, first 2 shown]
	s_waitcnt lgkmcnt(0)
	v_writelane_b32 v119, s10, 2
	v_writelane_b32 v119, s11, 3
	v_accvgpr_write_b32 a6, s3
	v_accvgpr_write_b32 a7, s3
	;; [unrolled: 1-line block ×10, first 2 shown]
	v_writelane_b32 v119, s22, 4
	v_writelane_b32 v119, s23, 5
	s_xor_b64 exec, exec, s[22:23]
	s_cbranch_execz .LBB132_150
; %bb.4:
	v_writelane_b32 v119, s24, 6
	v_writelane_b32 v119, s25, 7
	s_load_dwordx4 s[8:11], s[4:5], 0x0
	s_load_dwordx2 s[22:23], s[4:5], 0x10
	s_mul_i32 s4, s34, s0
	s_mul_i32 s24, s7, s15
	s_ashr_i32 s5, s4, 31
	s_ashr_i32 s25, s24, 31
	s_lshl_b64 s[24:25], s[24:25], 2
	s_lshl_b64 s[4:5], s[4:5], 2
	s_add_u32 s3, s4, s24
	s_addc_u32 s24, s5, s25
	v_writelane_b32 v119, s7, 8
	s_waitcnt lgkmcnt(0)
	s_add_u32 s0, s3, s8
	s_addc_u32 s25, s24, s9
	v_writelane_b32 v119, s26, 9
	s_lshl_b64 s[4:5], s[26:27], 2
	v_writelane_b32 v119, s27, 10
	s_add_u32 s26, s22, s4
	s_addc_u32 s27, s23, s5
	s_movk_i32 s4, 0x1080
	s_cmp_lt_i32 s6, s33
	v_mad_u32_u24 v0, v108, s4, 0
	s_cselect_b64 s[4:5], -1, 0
	s_ashr_i32 s7, s6, 31
	s_lshl_b64 s[22:23], s[6:7], 2
	s_add_u32 s34, s26, s22
	s_addc_u32 s35, s27, s23
	s_add_i32 s7, s6, 1
	s_cmp_lt_i32 s7, s33
	s_cselect_b64 s[36:37], -1, 0
	s_add_i32 s7, s6, 2
	s_cmp_lt_i32 s7, s33
	v_lshrrev_b32_e32 v3, 1, v109
	s_cselect_b64 s[38:39], -1, 0
	s_add_i32 s7, s6, 3
	v_lshlrev_b32_e32 v1, 2, v109
	v_mul_u32_u24_e32 v2, 0x108, v111
	v_and_b32_e32 v3, 0x1f8, v3
	s_cmp_lt_i32 s7, s33
	v_add_u32_e32 v113, v0, v1
	v_add3_u32 v114, v0, v2, v3
	s_cselect_b64 s[40:41], -1, 0
	s_add_i32 s7, s6, 4
	v_lshlrev_b32_e32 v0, 8, v108
	s_cmp_lt_i32 s7, s33
	v_add_co_u32_e32 v0, vcc, s3, v0
	s_mul_i32 s3, s15, 3
	s_cselect_b64 s[42:43], -1, 0
	s_add_i32 s7, s6, 5
	v_writelane_b32 v119, s3, 11
	s_mul_i32 s3, s15, 5
	s_cmp_lt_i32 s7, s33
	v_writelane_b32 v119, s3, 12
	s_mul_i32 s3, s15, 6
	s_cselect_b64 s[44:45], -1, 0
	s_add_i32 s7, s6, 6
	v_writelane_b32 v119, s3, 13
	s_mul_i32 s3, s15, 7
	s_cmp_lt_i32 s7, s33
	v_writelane_b32 v119, s3, 14
	;; [unrolled: 7-line block ×6, first 2 shown]
	s_mul_i32 s3, s15, 18
	s_cselect_b64 s[54:55], -1, 0
	s_add_i32 s7, s6, 11
	v_writelane_b32 v119, s3, 23
	s_mul_i32 s3, s15, 19
	s_cmp_lt_i32 s7, s33
	v_mov_b32_e32 v2, s24
	v_writelane_b32 v119, s3, 24
	s_mul_i32 s3, s15, 20
	s_cselect_b64 s[56:57], -1, 0
	s_add_i32 s7, s6, 12
	v_addc_co_u32_e32 v2, vcc, 0, v2, vcc
	v_writelane_b32 v119, s3, 25
	s_mul_i32 s3, s15, 21
	s_cmp_lt_i32 s7, s33
	v_add_co_u32_e32 v0, vcc, v0, v1
	v_writelane_b32 v119, s3, 26
	s_mul_i32 s3, s15, 22
	s_cselect_b64 s[58:59], -1, 0
	s_ashr_i32 s23, s15, 31
	s_mov_b32 s22, s15
	v_addc_co_u32_e32 v1, vcc, 0, v2, vcc
	v_writelane_b32 v119, s3, 27
	s_mul_i32 s3, s15, 23
	s_lshl_b64 s[60:61], s[22:23], 2
	v_mov_b32_e32 v2, s9
	v_add_co_u32_e32 v16, vcc, s8, v0
	v_writelane_b32 v119, s3, 28
	s_mul_i32 s3, s15, 24
	v_addc_co_u32_e32 v17, vcc, v2, v1, vcc
	s_lshl_b32 s7, s15, 1
	s_lshl_b32 s65, s15, 2
	s_lshl_b32 s69, s15, 3
	s_lshl_b32 s77, s15, 4
	v_writelane_b32 v119, s3, 29
	s_mul_i32 s86, s15, 25
	s_mul_i32 s87, s15, 26
	;; [unrolled: 1-line block ×5, first 2 shown]
	v_mov_b32_e32 v115, s25
	s_mul_i32 s91, s15, 30
	v_mov_b32_e32 v116, 0
	v_accvgpr_write_b32 a15, 0
	v_accvgpr_write_b32 a14, 0
	;; [unrolled: 1-line block ×16, first 2 shown]
	v_mov_b32_e32 v117, s61
	s_mul_i32 s61, s15, 31
	s_lshl_b32 s92, s15, 5
	s_mul_i32 s93, s15, 33
	s_mul_i32 s94, s15, 34
	;; [unrolled: 1-line block ×31, first 2 shown]
	s_mov_b32 s83, 0x7f800000
	s_movk_i32 s84, 0x7fff
	s_mov_b32 s85, 0x7060302
	s_mov_b64 s[8:9], 0
	s_branch .LBB132_6
.LBB132_5:                              ;   in Loop: Header=BB132_6 Depth=1
	s_or_b64 exec, exec, s[62:63]
	v_perm_b32 v82, v82, v84, s85
	v_add_u32_e32 v83, 0xc00, v113
	ds_write2_b32 v83, v82, v116 offset0:24 offset1:90
	ds_write2_b32 v83, v116, v116 offset0:156 offset1:222
	ds_read2_b64 v[82:85], v114 offset1:4
	v_accvgpr_write_b32 a0, v12
	v_accvgpr_write_b32 a4, v8
	;; [unrolled: 1-line block ×16, first 2 shown]
	s_waitcnt lgkmcnt(0)
	v_mfma_f32_16x16x16bf16_1k a[0:3], v[32:33], v[82:83], a[0:3]
	ds_read2_b64 v[0:3], v114 offset0:8 offset1:12
	v_add_co_u32_e32 v16, vcc, 0x400, v16
	v_add_u32_e32 v112, 0x100, v112
	v_addc_co_u32_e32 v17, vcc, 0, v17, vcc
	v_cmp_le_i32_e32 vcc, s12, v112
	v_mfma_f32_16x16x16bf16_1k a[4:7], v[50:51], v[82:83], a[4:7]
	s_or_b64 s[8:9], vcc, s[8:9]
	v_mfma_f32_16x16x16bf16_1k a[8:11], v[64:65], v[82:83], a[8:11]
	v_mfma_f32_16x16x16bf16_1k a[12:15], v[80:81], v[82:83], a[12:15]
	;; [unrolled: 1-line block ×6, first 2 shown]
	s_waitcnt lgkmcnt(0)
	v_mfma_f32_16x16x16bf16_1k a[0:3], v[26:27], v[0:1], a[0:3]
	v_mfma_f32_16x16x16bf16_1k a[4:7], v[44:45], v[0:1], a[4:7]
	;; [unrolled: 1-line block ×8, first 2 shown]
	ds_read2_b64 v[0:3], v114 offset0:16 offset1:20
	s_waitcnt lgkmcnt(0)
	v_mfma_f32_16x16x16bf16_1k a[0:3], v[28:29], v[0:1], a[0:3]
	v_mfma_f32_16x16x16bf16_1k a[4:7], v[40:41], v[0:1], a[4:7]
	;; [unrolled: 1-line block ×8, first 2 shown]
	ds_read2_b64 v[0:3], v114 offset0:24 offset1:28
	s_waitcnt lgkmcnt(0)
	v_mfma_f32_16x16x16bf16_1k a[0:3], v[20:21], v[0:1], a[0:3]
	v_mfma_f32_16x16x16bf16_1k a[4:7], v[36:37], v[0:1], a[4:7]
	;; [unrolled: 1-line block ×8, first 2 shown]
	s_andn2_b64 exec, exec, s[8:9]
	s_cbranch_execz .LBB132_149
.LBB132_6:                              ; =>This Inner Loop Header: Depth=1
	v_add_co_u32_e32 v0, vcc, s60, v16
	v_addc_co_u32_e32 v1, vcc, v17, v117, vcc
	global_load_dword v18, v[16:17], off
	global_load_dword v19, v[0:1], off
	v_add_u32_e32 v0, s7, v112
	v_ashrrev_i32_e32 v1, 31, v0
	v_readlane_b32 s62, v119, 11
	v_lshlrev_b64 v[0:1], 2, v[0:1]
	v_add_u32_e32 v2, s62, v112
	v_add_co_u32_e32 v0, vcc, s0, v0
	v_ashrrev_i32_e32 v3, 31, v2
	v_addc_co_u32_e32 v1, vcc, v115, v1, vcc
	v_lshlrev_b64 v[2:3], 2, v[2:3]
	v_add_u32_e32 v4, s65, v112
	v_add_co_u32_e32 v2, vcc, s0, v2
	v_ashrrev_i32_e32 v5, 31, v4
	v_readlane_b32 s62, v119, 12
	v_addc_co_u32_e32 v3, vcc, v115, v3, vcc
	v_lshlrev_b64 v[4:5], 2, v[4:5]
	v_add_u32_e32 v6, s62, v112
	v_add_co_u32_e32 v4, vcc, s0, v4
	v_ashrrev_i32_e32 v7, 31, v6
	v_readlane_b32 s62, v119, 13
	;; [unrolled: 6-line block ×3, first 2 shown]
	v_addc_co_u32_e32 v7, vcc, v115, v7, vcc
	v_lshlrev_b64 v[8:9], 2, v[8:9]
	v_add_u32_e32 v10, s62, v112
	v_add_co_u32_e32 v8, vcc, s0, v8
	v_ashrrev_i32_e32 v11, 31, v10
	v_addc_co_u32_e32 v9, vcc, v115, v9, vcc
	v_lshlrev_b64 v[10:11], 2, v[10:11]
	v_add_u32_e32 v12, s69, v112
	v_add_co_u32_e32 v10, vcc, s0, v10
	v_ashrrev_i32_e32 v13, 31, v12
	v_readlane_b32 s62, v119, 15
	v_addc_co_u32_e32 v11, vcc, v115, v11, vcc
	v_lshlrev_b64 v[12:13], 2, v[12:13]
	v_add_u32_e32 v14, s62, v112
	v_add_co_u32_e32 v12, vcc, s0, v12
	v_ashrrev_i32_e32 v15, 31, v14
	v_addc_co_u32_e32 v13, vcc, v115, v13, vcc
	v_lshlrev_b64 v[14:15], 2, v[14:15]
	v_add_co_u32_e32 v14, vcc, s0, v14
	v_readlane_b32 s62, v119, 16
	v_addc_co_u32_e32 v15, vcc, v115, v15, vcc
	global_load_dword v20, v[0:1], off
	global_load_dword v21, v[2:3], off
	;; [unrolled: 1-line block ×6, first 2 shown]
	s_nop 0
	global_load_dword v12, v[12:13], off
	s_nop 0
	global_load_dword v13, v[14:15], off
	v_add_u32_e32 v0, s62, v112
	v_ashrrev_i32_e32 v1, 31, v0
	v_readlane_b32 s62, v119, 17
	v_lshlrev_b64 v[0:1], 2, v[0:1]
	v_add_u32_e32 v2, s62, v112
	v_add_co_u32_e32 v0, vcc, s0, v0
	v_ashrrev_i32_e32 v3, 31, v2
	v_readlane_b32 s62, v119, 18
	v_addc_co_u32_e32 v1, vcc, v115, v1, vcc
	v_lshlrev_b64 v[2:3], 2, v[2:3]
	v_add_u32_e32 v4, s62, v112
	v_add_co_u32_e32 v2, vcc, s0, v2
	v_ashrrev_i32_e32 v5, 31, v4
	v_readlane_b32 s62, v119, 19
	v_addc_co_u32_e32 v3, vcc, v115, v3, vcc
	;; [unrolled: 6-line block ×4, first 2 shown]
	v_lshlrev_b64 v[8:9], 2, v[8:9]
	v_add_u32_e32 v10, s62, v112
	v_add_co_u32_e32 v8, vcc, s0, v8
	v_ashrrev_i32_e32 v11, 31, v10
	v_addc_co_u32_e32 v9, vcc, v115, v9, vcc
	v_lshlrev_b64 v[10:11], 2, v[10:11]
	v_add_co_u32_e32 v10, vcc, s0, v10
	v_addc_co_u32_e32 v11, vcc, v115, v11, vcc
	global_load_dword v14, v[0:1], off
	global_load_dword v15, v[2:3], off
	s_nop 0
	global_load_dword v4, v[4:5], off
	s_nop 0
	;; [unrolled: 2-line block ×3, first 2 shown]
	global_load_dword v6, v[8:9], off
	global_load_dword v7, v[10:11], off
	v_add_u32_e32 v0, s77, v112
	v_ashrrev_i32_e32 v1, 31, v0
	v_readlane_b32 s62, v119, 22
	v_lshlrev_b64 v[0:1], 2, v[0:1]
	v_add_u32_e32 v2, s62, v112
	v_add_co_u32_e32 v0, vcc, s0, v0
	v_ashrrev_i32_e32 v3, 31, v2
	v_addc_co_u32_e32 v1, vcc, v115, v1, vcc
	v_lshlrev_b64 v[2:3], 2, v[2:3]
	s_waitcnt vmcnt(15)
	ds_write_b32 v113, v18
	s_waitcnt vmcnt(14)
	ds_write_b32 v113, v19 offset:264
	s_waitcnt vmcnt(13)
	ds_write_b32 v113, v20 offset:528
	;; [unrolled: 2-line block ×9, first 2 shown]
	v_add_co_u32_e32 v2, vcc, s0, v2
	v_readlane_b32 s62, v119, 23
	v_addc_co_u32_e32 v3, vcc, v115, v3, vcc
	global_load_dword v0, v[0:1], off
	s_nop 0
	global_load_dword v1, v[2:3], off
	v_add_u32_e32 v2, s62, v112
	v_ashrrev_i32_e32 v3, 31, v2
	v_readlane_b32 s62, v119, 24
	s_waitcnt vmcnt(7)
	ds_write_b32 v113, v14 offset:2640
	s_waitcnt vmcnt(6)
	ds_write_b32 v113, v15 offset:2904
	;; [unrolled: 2-line block ×6, first 2 shown]
	v_lshlrev_b64 v[2:3], 2, v[2:3]
	v_add_u32_e32 v4, s62, v112
	v_add_co_u32_e32 v2, vcc, s0, v2
	v_ashrrev_i32_e32 v5, 31, v4
	v_readlane_b32 s62, v119, 25
	v_addc_co_u32_e32 v3, vcc, v115, v3, vcc
	v_lshlrev_b64 v[4:5], 2, v[4:5]
	v_add_u32_e32 v6, s62, v112
	v_add_co_u32_e32 v4, vcc, s0, v4
	v_ashrrev_i32_e32 v7, 31, v6
	v_readlane_b32 s62, v119, 26
	v_addc_co_u32_e32 v5, vcc, v115, v5, vcc
	;; [unrolled: 6-line block ×5, first 2 shown]
	v_lshlrev_b64 v[12:13], 2, v[12:13]
	v_add_u32_e32 v14, s62, v112
	v_add_co_u32_e32 v12, vcc, s0, v12
	v_ashrrev_i32_e32 v15, 31, v14
	v_addc_co_u32_e32 v13, vcc, v115, v13, vcc
	v_lshlrev_b64 v[14:15], 2, v[14:15]
	v_add_u32_e32 v18, s86, v112
	v_add_co_u32_e32 v14, vcc, s0, v14
	v_ashrrev_i32_e32 v19, 31, v18
	v_addc_co_u32_e32 v15, vcc, v115, v15, vcc
	v_lshlrev_b64 v[18:19], 2, v[18:19]
	v_add_co_u32_e32 v18, vcc, s0, v18
	v_addc_co_u32_e32 v19, vcc, v115, v19, vcc
	global_load_dword v34, v[2:3], off
	global_load_dword v35, v[4:5], off
	global_load_dword v36, v[6:7], off
	global_load_dword v37, v[8:9], off
	global_load_dword v38, v[10:11], off
	global_load_dword v39, v[12:13], off
	global_load_dword v40, v[14:15], off
	global_load_dword v41, v[18:19], off
	v_add_u32_e32 v2, s87, v112
	v_ashrrev_i32_e32 v3, 31, v2
	v_lshlrev_b64 v[2:3], 2, v[2:3]
	v_add_u32_e32 v4, s88, v112
	v_add_co_u32_e32 v2, vcc, s0, v2
	v_ashrrev_i32_e32 v5, 31, v4
	v_addc_co_u32_e32 v3, vcc, v115, v3, vcc
	v_lshlrev_b64 v[4:5], 2, v[4:5]
	v_add_u32_e32 v6, s89, v112
	v_add_co_u32_e32 v4, vcc, s0, v4
	v_ashrrev_i32_e32 v7, 31, v6
	v_addc_co_u32_e32 v5, vcc, v115, v5, vcc
	v_lshlrev_b64 v[6:7], 2, v[6:7]
	v_add_u32_e32 v8, s90, v112
	v_add_co_u32_e32 v6, vcc, s0, v6
	v_ashrrev_i32_e32 v9, 31, v8
	v_addc_co_u32_e32 v7, vcc, v115, v7, vcc
	v_lshlrev_b64 v[8:9], 2, v[8:9]
	v_add_u32_e32 v10, s91, v112
	v_add_co_u32_e32 v8, vcc, s0, v8
	v_ashrrev_i32_e32 v11, 31, v10
	v_addc_co_u32_e32 v9, vcc, v115, v9, vcc
	v_lshlrev_b64 v[10:11], 2, v[10:11]
	v_add_u32_e32 v12, s61, v112
	v_add_co_u32_e32 v10, vcc, s0, v10
	v_ashrrev_i32_e32 v13, 31, v12
	v_addc_co_u32_e32 v11, vcc, v115, v11, vcc
	v_lshlrev_b64 v[12:13], 2, v[12:13]
	v_add_u32_e32 v14, s92, v112
	v_add_co_u32_e32 v12, vcc, s0, v12
	v_ashrrev_i32_e32 v15, 31, v14
	v_addc_co_u32_e32 v13, vcc, v115, v13, vcc
	v_lshlrev_b64 v[14:15], 2, v[14:15]
	v_add_u32_e32 v18, s93, v112
	v_add_co_u32_e32 v14, vcc, s0, v14
	v_ashrrev_i32_e32 v19, 31, v18
	v_addc_co_u32_e32 v15, vcc, v115, v15, vcc
	v_lshlrev_b64 v[18:19], 2, v[18:19]
	v_add_co_u32_e32 v18, vcc, s0, v18
	v_addc_co_u32_e32 v19, vcc, v115, v19, vcc
	global_load_dword v42, v[2:3], off
	global_load_dword v43, v[4:5], off
	global_load_dword v44, v[6:7], off
	global_load_dword v45, v[8:9], off
	global_load_dword v46, v[10:11], off
	global_load_dword v47, v[12:13], off
	global_load_dword v48, v[14:15], off
	global_load_dword v49, v[18:19], off
	v_add_u32_e32 v2, s94, v112
	v_ashrrev_i32_e32 v3, 31, v2
	v_lshlrev_b64 v[2:3], 2, v[2:3]
	v_add_u32_e32 v4, s95, v112
	v_add_co_u32_e32 v2, vcc, s0, v2
	v_ashrrev_i32_e32 v5, 31, v4
	v_addc_co_u32_e32 v3, vcc, v115, v3, vcc
	v_lshlrev_b64 v[4:5], 2, v[4:5]
	v_add_u32_e32 v6, s24, v112
	v_add_co_u32_e32 v4, vcc, s0, v4
	v_ashrrev_i32_e32 v7, 31, v6
	v_addc_co_u32_e32 v5, vcc, v115, v5, vcc
	v_lshlrev_b64 v[6:7], 2, v[6:7]
	v_add_u32_e32 v8, s25, v112
	v_add_co_u32_e32 v6, vcc, s0, v6
	v_ashrrev_i32_e32 v9, 31, v8
	v_addc_co_u32_e32 v7, vcc, v115, v7, vcc
	v_lshlrev_b64 v[8:9], 2, v[8:9]
	v_add_u32_e32 v10, s28, v112
	v_add_co_u32_e32 v8, vcc, s0, v8
	v_ashrrev_i32_e32 v11, 31, v10
	v_addc_co_u32_e32 v9, vcc, v115, v9, vcc
	v_lshlrev_b64 v[10:11], 2, v[10:11]
	v_add_u32_e32 v12, s29, v112
	v_add_co_u32_e32 v10, vcc, s0, v10
	v_ashrrev_i32_e32 v13, 31, v12
	v_addc_co_u32_e32 v11, vcc, v115, v11, vcc
	;; [unrolled: 48-line block ×5, first 2 shown]
	v_lshlrev_b64 v[12:13], 2, v[12:13]
	v_add_co_u32_e32 v12, vcc, s0, v12
	v_addc_co_u32_e32 v13, vcc, v115, v13, vcc
	ds_read_b64 v[32:33], v114
	ds_read_b64 v[30:31], v114 offset:32
	ds_read_b64 v[26:27], v114 offset:64
	ds_read_b64 v[22:23], v114 offset:96
	global_load_dword v76, v[2:3], off
	global_load_dword v77, v[4:5], off
	;; [unrolled: 1-line block ×6, first 2 shown]
	ds_read_b64 v[28:29], v114 offset:128
	ds_read_b64 v[24:25], v114 offset:160
	ds_read_b64 v[20:21], v114 offset:192
	ds_read_b64 v[18:19], v114 offset:224
	s_waitcnt vmcnt(47)
	ds_write_b32 v113, v0
	s_waitcnt vmcnt(46)
	ds_write_b32 v113, v1 offset:264
	s_waitcnt vmcnt(45)
	ds_write_b32 v113, v34 offset:528
	s_waitcnt vmcnt(44)
	ds_write_b32 v113, v35 offset:792
	s_waitcnt vmcnt(43)
	ds_write_b32 v113, v36 offset:1056
	s_waitcnt vmcnt(42)
	ds_write_b32 v113, v37 offset:1320
	s_waitcnt vmcnt(41)
	ds_write_b32 v113, v38 offset:1584
	s_waitcnt vmcnt(40)
	ds_write_b32 v113, v39 offset:1848
	s_waitcnt vmcnt(39)
	ds_write_b32 v113, v40 offset:2112
	s_waitcnt vmcnt(38)
	ds_write_b32 v113, v41 offset:2376
	s_waitcnt vmcnt(37)
	ds_write_b32 v113, v42 offset:2640
	s_waitcnt vmcnt(36)
	ds_write_b32 v113, v43 offset:2904
	s_waitcnt vmcnt(35)
	ds_write_b32 v113, v44 offset:3168
	s_waitcnt vmcnt(34)
	ds_write_b32 v113, v45 offset:3432
	s_waitcnt vmcnt(33)
	ds_write_b32 v113, v46 offset:3696
	s_waitcnt vmcnt(32)
	ds_write_b32 v113, v47 offset:3960
	ds_read_b64 v[50:51], v114
	ds_read_b64 v[46:47], v114 offset:32
	ds_read_b64 v[44:45], v114 offset:64
	ds_read_b64 v[42:43], v114 offset:96
	ds_read_b64 v[40:41], v114 offset:128
	ds_read_b64 v[38:39], v114 offset:160
	ds_read_b64 v[36:37], v114 offset:192
	ds_read_b64 v[34:35], v114 offset:224
	s_waitcnt vmcnt(31)
	ds_write_b32 v113, v48
	s_waitcnt vmcnt(30)
	ds_write_b32 v113, v49 offset:264
	s_waitcnt vmcnt(29)
	ds_write_b32 v113, v52 offset:528
	s_waitcnt vmcnt(28)
	ds_write_b32 v113, v53 offset:792
	s_waitcnt vmcnt(27)
	ds_write_b32 v113, v54 offset:1056
	s_waitcnt vmcnt(26)
	ds_write_b32 v113, v55 offset:1320
	s_waitcnt vmcnt(25)
	ds_write_b32 v113, v56 offset:1584
	s_waitcnt vmcnt(24)
	ds_write_b32 v113, v57 offset:1848
	s_waitcnt vmcnt(23)
	ds_write_b32 v113, v58 offset:2112
	s_waitcnt vmcnt(22)
	ds_write_b32 v113, v59 offset:2376
	s_waitcnt vmcnt(21)
	ds_write_b32 v113, v60 offset:2640
	s_waitcnt vmcnt(20)
	ds_write_b32 v113, v61 offset:2904
	s_waitcnt vmcnt(19)
	ds_write_b32 v113, v62 offset:3168
	s_waitcnt vmcnt(18)
	ds_write_b32 v113, v63 offset:3432
	s_waitcnt vmcnt(17)
	ds_write_b32 v113, v64 offset:3696
	s_waitcnt vmcnt(16)
	ds_write_b32 v113, v65 offset:3960
	ds_read_b64 v[64:65], v114
	ds_read_b64 v[62:63], v114 offset:32
	ds_read_b64 v[60:61], v114 offset:64
	ds_read_b64 v[58:59], v114 offset:96
	;; [unrolled: 40-line block ×3, first 2 shown]
	ds_read_b64 v[76:77], v114 offset:128
	ds_read_b64 v[72:73], v114 offset:160
	;; [unrolled: 1-line block ×4, first 2 shown]
	v_accvgpr_read_b32 v3, a15
	v_accvgpr_read_b32 v2, a14
	v_accvgpr_read_b32 v1, a13
	v_accvgpr_read_b32 v0, a12
	v_accvgpr_read_b32 v7, a11
	v_accvgpr_read_b32 v6, a10
	v_accvgpr_read_b32 v5, a9
	v_accvgpr_read_b32 v4, a8
	v_accvgpr_read_b32 v11, a7
	v_accvgpr_read_b32 v10, a6
	v_accvgpr_read_b32 v9, a5
	v_accvgpr_read_b32 v8, a4
	v_accvgpr_read_b32 v15, a3
	v_accvgpr_read_b32 v14, a2
	v_accvgpr_read_b32 v13, a1
	v_accvgpr_read_b32 v12, a0
	s_andn2_b64 vcc, exec, s[4:5]
	v_mov_b32_e32 v106, 0
	v_mov_b32_e32 v107, 0
	s_cbranch_vccnz .LBB132_9
; %bb.7:                                ;   in Loop: Header=BB132_6 Depth=1
	s_load_dword s62, s[34:35], 0x0
	v_mov_b32_e32 v107, 0
	v_mov_b32_e32 v106, 0
	s_waitcnt lgkmcnt(0)
	s_mul_hi_u32 s63, s62, s16
	s_add_i32 s63, s62, s63
	s_lshr_b32 s63, s63, s17
	s_cmp_ge_i32 s63, s13
	s_cbranch_scc1 .LBB132_9
; %bb.8:                                ;   in Loop: Header=BB132_6 Depth=1
	s_mul_i32 vcc_lo, s63, s18
	s_sub_i32 s62, s62, vcc_lo
	s_mul_i32 s63, s63, s20
	s_mul_i32 s62, s62, s1
	v_add_u32_e32 v82, s63, v112
	v_lshl_add_u32 v82, v82, 1, s62
	v_ashrrev_i32_e32 v83, 31, v82
	v_lshlrev_b64 v[82:83], 2, v[82:83]
	v_mov_b32_e32 v84, s11
	v_add_co_u32_e32 v82, vcc, s10, v82
	v_addc_co_u32_e32 v83, vcc, v84, v83, vcc
	global_load_dwordx2 v[106:107], v[82:83], off
.LBB132_9:                              ;   in Loop: Header=BB132_6 Depth=1
	s_andn2_b64 vcc, exec, s[36:37]
	v_mov_b32_e32 v100, 0
	v_mov_b32_e32 v104, 0
	v_mov_b32_e32 v105, 0
	s_cbranch_vccnz .LBB132_12
; %bb.10:                               ;   in Loop: Header=BB132_6 Depth=1
	s_load_dword s62, s[34:35], 0x4
	v_mov_b32_e32 v105, 0
	v_mov_b32_e32 v104, 0
	s_waitcnt lgkmcnt(0)
	s_mul_hi_u32 s63, s62, s16
	s_add_i32 s63, s62, s63
	s_lshr_b32 s63, s63, s17
	s_cmp_ge_i32 s63, s13
	s_cbranch_scc1 .LBB132_12
; %bb.11:                               ;   in Loop: Header=BB132_6 Depth=1
	s_mul_i32 vcc_lo, s63, s18
	s_sub_i32 s62, s62, vcc_lo
	s_mul_i32 s63, s63, s20
	s_mul_i32 s62, s62, s1
	v_add_u32_e32 v82, s63, v112
	v_lshl_add_u32 v82, v82, 1, s62
	v_ashrrev_i32_e32 v83, 31, v82
	v_lshlrev_b64 v[82:83], 2, v[82:83]
	v_mov_b32_e32 v84, s11
	v_add_co_u32_e32 v82, vcc, s10, v82
	v_addc_co_u32_e32 v83, vcc, v84, v83, vcc
	global_load_dwordx2 v[104:105], v[82:83], off
.LBB132_12:                             ;   in Loop: Header=BB132_6 Depth=1
	s_andn2_b64 vcc, exec, s[38:39]
	v_mov_b32_e32 v101, 0
	s_cbranch_vccnz .LBB132_15
; %bb.13:                               ;   in Loop: Header=BB132_6 Depth=1
	s_load_dword s62, s[34:35], 0x8
	v_mov_b32_e32 v101, 0
	v_mov_b32_e32 v100, 0
	s_waitcnt lgkmcnt(0)
	s_mul_hi_u32 s63, s62, s16
	s_add_i32 s63, s62, s63
	s_lshr_b32 s63, s63, s17
	s_cmp_ge_i32 s63, s13
	s_cbranch_scc1 .LBB132_15
; %bb.14:                               ;   in Loop: Header=BB132_6 Depth=1
	s_mul_i32 vcc_lo, s63, s18
	s_sub_i32 s62, s62, vcc_lo
	s_mul_i32 s63, s63, s20
	s_mul_i32 s62, s62, s1
	v_add_u32_e32 v82, s63, v112
	v_lshl_add_u32 v82, v82, 1, s62
	v_ashrrev_i32_e32 v83, 31, v82
	v_lshlrev_b64 v[82:83], 2, v[82:83]
	v_mov_b32_e32 v84, s11
	v_add_co_u32_e32 v82, vcc, s10, v82
	v_addc_co_u32_e32 v83, vcc, v84, v83, vcc
	global_load_dwordx2 v[100:101], v[82:83], off
.LBB132_15:                             ;   in Loop: Header=BB132_6 Depth=1
	s_andn2_b64 vcc, exec, s[40:41]
	v_mov_b32_e32 v96, 0
	v_mov_b32_e32 v102, 0
	v_mov_b32_e32 v103, 0
	s_cbranch_vccnz .LBB132_18
; %bb.16:                               ;   in Loop: Header=BB132_6 Depth=1
	s_load_dword s62, s[34:35], 0xc
	v_mov_b32_e32 v103, 0
	v_mov_b32_e32 v102, 0
	s_waitcnt lgkmcnt(0)
	s_mul_hi_u32 s63, s62, s16
	s_add_i32 s63, s62, s63
	s_lshr_b32 s63, s63, s17
	s_cmp_ge_i32 s63, s13
	s_cbranch_scc1 .LBB132_18
; %bb.17:                               ;   in Loop: Header=BB132_6 Depth=1
	s_mul_i32 vcc_lo, s63, s18
	s_sub_i32 s62, s62, vcc_lo
	s_mul_i32 s63, s63, s20
	s_mul_i32 s62, s62, s1
	v_add_u32_e32 v82, s63, v112
	v_lshl_add_u32 v82, v82, 1, s62
	v_ashrrev_i32_e32 v83, 31, v82
	v_lshlrev_b64 v[82:83], 2, v[82:83]
	v_mov_b32_e32 v84, s11
	v_add_co_u32_e32 v82, vcc, s10, v82
	v_addc_co_u32_e32 v83, vcc, v84, v83, vcc
	global_load_dwordx2 v[102:103], v[82:83], off
.LBB132_18:                             ;   in Loop: Header=BB132_6 Depth=1
	s_andn2_b64 vcc, exec, s[42:43]
	v_mov_b32_e32 v97, 0
	s_cbranch_vccnz .LBB132_21
; %bb.19:                               ;   in Loop: Header=BB132_6 Depth=1
	s_load_dword s62, s[34:35], 0x10
	v_mov_b32_e32 v97, 0
	v_mov_b32_e32 v96, 0
	s_waitcnt lgkmcnt(0)
	s_mul_hi_u32 s63, s62, s16
	s_add_i32 s63, s62, s63
	s_lshr_b32 s63, s63, s17
	s_cmp_ge_i32 s63, s13
	s_cbranch_scc1 .LBB132_21
; %bb.20:                               ;   in Loop: Header=BB132_6 Depth=1
	s_mul_i32 vcc_lo, s63, s18
	s_sub_i32 s62, s62, vcc_lo
	s_mul_i32 s63, s63, s20
	s_mul_i32 s62, s62, s1
	v_add_u32_e32 v82, s63, v112
	v_lshl_add_u32 v82, v82, 1, s62
	v_ashrrev_i32_e32 v83, 31, v82
	v_lshlrev_b64 v[82:83], 2, v[82:83]
	v_mov_b32_e32 v84, s11
	v_add_co_u32_e32 v82, vcc, s10, v82
	v_addc_co_u32_e32 v83, vcc, v84, v83, vcc
	global_load_dwordx2 v[96:97], v[82:83], off
.LBB132_21:                             ;   in Loop: Header=BB132_6 Depth=1
	;; [unrolled: 56-line block ×6, first 2 shown]
	s_waitcnt vmcnt(0)
	v_and_b32_e32 v118, 0x7f800000, v106
	v_cmp_ne_u32_e32 vcc, s83, v118
                                        ; implicit-def: $vgpr118
	s_and_saveexec_b64 s[62:63], vcc
	s_xor_b64 s[62:63], exec, s[62:63]
; %bb.46:                               ;   in Loop: Header=BB132_6 Depth=1
	v_bfe_u32 v118, v106, 16, 1
	v_add3_u32 v118, v106, v118, s84
; %bb.47:                               ;   in Loop: Header=BB132_6 Depth=1
	s_andn2_saveexec_b64 s[62:63], s[62:63]
; %bb.48:                               ;   in Loop: Header=BB132_6 Depth=1
	v_or_b32_e32 v118, 0x10000, v106
	v_cmp_eq_u32_sdwa vcc, v106, v116 src0_sel:WORD_0 src1_sel:DWORD
	v_cndmask_b32_e32 v118, v118, v106, vcc
; %bb.49:                               ;   in Loop: Header=BB132_6 Depth=1
	s_or_b64 exec, exec, s[62:63]
	v_and_b32_e32 v106, 0x7f800000, v107
	v_cmp_ne_u32_e32 vcc, s83, v106
                                        ; implicit-def: $vgpr106
	s_and_saveexec_b64 s[62:63], vcc
	s_xor_b64 s[62:63], exec, s[62:63]
; %bb.50:                               ;   in Loop: Header=BB132_6 Depth=1
	v_bfe_u32 v106, v107, 16, 1
	v_add3_u32 v106, v107, v106, s84
                                        ; implicit-def: $vgpr107
; %bb.51:                               ;   in Loop: Header=BB132_6 Depth=1
	s_andn2_saveexec_b64 s[62:63], s[62:63]
; %bb.52:                               ;   in Loop: Header=BB132_6 Depth=1
	v_or_b32_e32 v106, 0x10000, v107
	v_cmp_eq_u32_sdwa vcc, v107, v116 src0_sel:WORD_0 src1_sel:DWORD
	v_cndmask_b32_e32 v106, v106, v107, vcc
; %bb.53:                               ;   in Loop: Header=BB132_6 Depth=1
	s_or_b64 exec, exec, s[62:63]
	v_perm_b32 v106, v106, v118, s85
	ds_write_b32 v113, v106
	v_and_b32_e32 v106, 0x7f800000, v104
	v_cmp_ne_u32_e32 vcc, s83, v106
                                        ; implicit-def: $vgpr106
	s_and_saveexec_b64 s[62:63], vcc
	s_xor_b64 s[62:63], exec, s[62:63]
; %bb.54:                               ;   in Loop: Header=BB132_6 Depth=1
	v_bfe_u32 v106, v104, 16, 1
	v_add3_u32 v106, v104, v106, s84
; %bb.55:                               ;   in Loop: Header=BB132_6 Depth=1
	s_andn2_saveexec_b64 s[62:63], s[62:63]
; %bb.56:                               ;   in Loop: Header=BB132_6 Depth=1
	v_or_b32_e32 v106, 0x10000, v104
	v_cmp_eq_u32_sdwa vcc, v104, v116 src0_sel:WORD_0 src1_sel:DWORD
	v_cndmask_b32_e32 v106, v106, v104, vcc
; %bb.57:                               ;   in Loop: Header=BB132_6 Depth=1
	s_or_b64 exec, exec, s[62:63]
	v_and_b32_e32 v104, 0x7f800000, v105
	v_cmp_ne_u32_e32 vcc, s83, v104
                                        ; implicit-def: $vgpr104
	s_and_saveexec_b64 s[62:63], vcc
	s_xor_b64 s[62:63], exec, s[62:63]
; %bb.58:                               ;   in Loop: Header=BB132_6 Depth=1
	v_bfe_u32 v104, v105, 16, 1
	v_add3_u32 v104, v105, v104, s84
                                        ; implicit-def: $vgpr105
; %bb.59:                               ;   in Loop: Header=BB132_6 Depth=1
	s_andn2_saveexec_b64 s[62:63], s[62:63]
; %bb.60:                               ;   in Loop: Header=BB132_6 Depth=1
	v_or_b32_e32 v104, 0x10000, v105
	v_cmp_eq_u32_sdwa vcc, v105, v116 src0_sel:WORD_0 src1_sel:DWORD
	v_cndmask_b32_e32 v104, v104, v105, vcc
; %bb.61:                               ;   in Loop: Header=BB132_6 Depth=1
	s_or_b64 exec, exec, s[62:63]
	v_perm_b32 v104, v104, v106, s85
	ds_write_b32 v113, v104 offset:264
	v_and_b32_e32 v104, 0x7f800000, v100
	v_cmp_ne_u32_e32 vcc, s83, v104
                                        ; implicit-def: $vgpr104
	s_and_saveexec_b64 s[62:63], vcc
	s_xor_b64 s[62:63], exec, s[62:63]
; %bb.62:                               ;   in Loop: Header=BB132_6 Depth=1
	v_bfe_u32 v104, v100, 16, 1
	v_add3_u32 v104, v100, v104, s84
; %bb.63:                               ;   in Loop: Header=BB132_6 Depth=1
	s_andn2_saveexec_b64 s[62:63], s[62:63]
; %bb.64:                               ;   in Loop: Header=BB132_6 Depth=1
	v_or_b32_e32 v104, 0x10000, v100
	v_cmp_eq_u32_sdwa vcc, v100, v116 src0_sel:WORD_0 src1_sel:DWORD
	v_cndmask_b32_e32 v104, v104, v100, vcc
; %bb.65:                               ;   in Loop: Header=BB132_6 Depth=1
	s_or_b64 exec, exec, s[62:63]
	v_and_b32_e32 v100, 0x7f800000, v101
	v_cmp_ne_u32_e32 vcc, s83, v100
                                        ; implicit-def: $vgpr100
	s_and_saveexec_b64 s[62:63], vcc
	s_xor_b64 s[62:63], exec, s[62:63]
; %bb.66:                               ;   in Loop: Header=BB132_6 Depth=1
	v_bfe_u32 v100, v101, 16, 1
	v_add3_u32 v100, v101, v100, s84
                                        ; implicit-def: $vgpr101
; %bb.67:                               ;   in Loop: Header=BB132_6 Depth=1
	s_andn2_saveexec_b64 s[62:63], s[62:63]
; %bb.68:                               ;   in Loop: Header=BB132_6 Depth=1
	v_or_b32_e32 v100, 0x10000, v101
	v_cmp_eq_u32_sdwa vcc, v101, v116 src0_sel:WORD_0 src1_sel:DWORD
	v_cndmask_b32_e32 v100, v100, v101, vcc
; %bb.69:                               ;   in Loop: Header=BB132_6 Depth=1
	s_or_b64 exec, exec, s[62:63]
	v_perm_b32 v100, v100, v104, s85
	ds_write_b32 v113, v100 offset:528
	v_and_b32_e32 v100, 0x7f800000, v102
	v_cmp_ne_u32_e32 vcc, s83, v100
                                        ; implicit-def: $vgpr100
	s_and_saveexec_b64 s[62:63], vcc
	s_xor_b64 s[62:63], exec, s[62:63]
; %bb.70:                               ;   in Loop: Header=BB132_6 Depth=1
	v_bfe_u32 v100, v102, 16, 1
	v_add3_u32 v100, v102, v100, s84
; %bb.71:                               ;   in Loop: Header=BB132_6 Depth=1
	s_andn2_saveexec_b64 s[62:63], s[62:63]
; %bb.72:                               ;   in Loop: Header=BB132_6 Depth=1
	v_or_b32_e32 v100, 0x10000, v102
	v_cmp_eq_u32_sdwa vcc, v102, v116 src0_sel:WORD_0 src1_sel:DWORD
	v_cndmask_b32_e32 v100, v100, v102, vcc
; %bb.73:                               ;   in Loop: Header=BB132_6 Depth=1
	s_or_b64 exec, exec, s[62:63]
	v_and_b32_e32 v101, 0x7f800000, v103
	v_cmp_ne_u32_e32 vcc, s83, v101
                                        ; implicit-def: $vgpr101
	s_and_saveexec_b64 s[62:63], vcc
	s_xor_b64 s[62:63], exec, s[62:63]
; %bb.74:                               ;   in Loop: Header=BB132_6 Depth=1
	v_bfe_u32 v101, v103, 16, 1
	v_add3_u32 v101, v103, v101, s84
                                        ; implicit-def: $vgpr103
; %bb.75:                               ;   in Loop: Header=BB132_6 Depth=1
	s_andn2_saveexec_b64 s[62:63], s[62:63]
; %bb.76:                               ;   in Loop: Header=BB132_6 Depth=1
	v_or_b32_e32 v101, 0x10000, v103
	v_cmp_eq_u32_sdwa vcc, v103, v116 src0_sel:WORD_0 src1_sel:DWORD
	v_cndmask_b32_e32 v101, v101, v103, vcc
; %bb.77:                               ;   in Loop: Header=BB132_6 Depth=1
	s_or_b64 exec, exec, s[62:63]
	v_perm_b32 v100, v101, v100, s85
	ds_write_b32 v113, v100 offset:792
	v_and_b32_e32 v100, 0x7f800000, v96
	v_cmp_ne_u32_e32 vcc, s83, v100
                                        ; implicit-def: $vgpr100
	s_and_saveexec_b64 s[62:63], vcc
	s_xor_b64 s[62:63], exec, s[62:63]
; %bb.78:                               ;   in Loop: Header=BB132_6 Depth=1
	v_bfe_u32 v100, v96, 16, 1
	v_add3_u32 v100, v96, v100, s84
; %bb.79:                               ;   in Loop: Header=BB132_6 Depth=1
	s_andn2_saveexec_b64 s[62:63], s[62:63]
; %bb.80:                               ;   in Loop: Header=BB132_6 Depth=1
	v_or_b32_e32 v100, 0x10000, v96
	v_cmp_eq_u32_sdwa vcc, v96, v116 src0_sel:WORD_0 src1_sel:DWORD
	v_cndmask_b32_e32 v100, v100, v96, vcc
; %bb.81:                               ;   in Loop: Header=BB132_6 Depth=1
	s_or_b64 exec, exec, s[62:63]
	v_and_b32_e32 v96, 0x7f800000, v97
	v_cmp_ne_u32_e32 vcc, s83, v96
                                        ; implicit-def: $vgpr96
	s_and_saveexec_b64 s[62:63], vcc
	s_xor_b64 s[62:63], exec, s[62:63]
; %bb.82:                               ;   in Loop: Header=BB132_6 Depth=1
	v_bfe_u32 v96, v97, 16, 1
	v_add3_u32 v96, v97, v96, s84
                                        ; implicit-def: $vgpr97
; %bb.83:                               ;   in Loop: Header=BB132_6 Depth=1
	s_andn2_saveexec_b64 s[62:63], s[62:63]
; %bb.84:                               ;   in Loop: Header=BB132_6 Depth=1
	v_or_b32_e32 v96, 0x10000, v97
	v_cmp_eq_u32_sdwa vcc, v97, v116 src0_sel:WORD_0 src1_sel:DWORD
	v_cndmask_b32_e32 v96, v96, v97, vcc
; %bb.85:                               ;   in Loop: Header=BB132_6 Depth=1
	s_or_b64 exec, exec, s[62:63]
	v_perm_b32 v96, v96, v100, s85
	ds_write_b32 v113, v96 offset:1056
	v_and_b32_e32 v96, 0x7f800000, v98
	v_cmp_ne_u32_e32 vcc, s83, v96
                                        ; implicit-def: $vgpr96
	s_and_saveexec_b64 s[62:63], vcc
	s_xor_b64 s[62:63], exec, s[62:63]
; %bb.86:                               ;   in Loop: Header=BB132_6 Depth=1
	v_bfe_u32 v96, v98, 16, 1
	v_add3_u32 v96, v98, v96, s84
; %bb.87:                               ;   in Loop: Header=BB132_6 Depth=1
	s_andn2_saveexec_b64 s[62:63], s[62:63]
; %bb.88:                               ;   in Loop: Header=BB132_6 Depth=1
	v_or_b32_e32 v96, 0x10000, v98
	v_cmp_eq_u32_sdwa vcc, v98, v116 src0_sel:WORD_0 src1_sel:DWORD
	v_cndmask_b32_e32 v96, v96, v98, vcc
; %bb.89:                               ;   in Loop: Header=BB132_6 Depth=1
	s_or_b64 exec, exec, s[62:63]
	v_and_b32_e32 v97, 0x7f800000, v99
	v_cmp_ne_u32_e32 vcc, s83, v97
                                        ; implicit-def: $vgpr97
	s_and_saveexec_b64 s[62:63], vcc
	s_xor_b64 s[62:63], exec, s[62:63]
; %bb.90:                               ;   in Loop: Header=BB132_6 Depth=1
	v_bfe_u32 v97, v99, 16, 1
	v_add3_u32 v97, v99, v97, s84
                                        ; implicit-def: $vgpr99
; %bb.91:                               ;   in Loop: Header=BB132_6 Depth=1
	s_andn2_saveexec_b64 s[62:63], s[62:63]
; %bb.92:                               ;   in Loop: Header=BB132_6 Depth=1
	v_or_b32_e32 v97, 0x10000, v99
	v_cmp_eq_u32_sdwa vcc, v99, v116 src0_sel:WORD_0 src1_sel:DWORD
	v_cndmask_b32_e32 v97, v97, v99, vcc
; %bb.93:                               ;   in Loop: Header=BB132_6 Depth=1
	s_or_b64 exec, exec, s[62:63]
	v_perm_b32 v96, v97, v96, s85
	ds_write_b32 v113, v96 offset:1320
	v_and_b32_e32 v96, 0x7f800000, v92
	v_cmp_ne_u32_e32 vcc, s83, v96
                                        ; implicit-def: $vgpr96
	s_and_saveexec_b64 s[62:63], vcc
	s_xor_b64 s[62:63], exec, s[62:63]
; %bb.94:                               ;   in Loop: Header=BB132_6 Depth=1
	v_bfe_u32 v96, v92, 16, 1
	v_add3_u32 v96, v92, v96, s84
; %bb.95:                               ;   in Loop: Header=BB132_6 Depth=1
	s_andn2_saveexec_b64 s[62:63], s[62:63]
; %bb.96:                               ;   in Loop: Header=BB132_6 Depth=1
	v_or_b32_e32 v96, 0x10000, v92
	v_cmp_eq_u32_sdwa vcc, v92, v116 src0_sel:WORD_0 src1_sel:DWORD
	v_cndmask_b32_e32 v96, v96, v92, vcc
; %bb.97:                               ;   in Loop: Header=BB132_6 Depth=1
	s_or_b64 exec, exec, s[62:63]
	v_and_b32_e32 v92, 0x7f800000, v93
	v_cmp_ne_u32_e32 vcc, s83, v92
                                        ; implicit-def: $vgpr92
	s_and_saveexec_b64 s[62:63], vcc
	s_xor_b64 s[62:63], exec, s[62:63]
; %bb.98:                               ;   in Loop: Header=BB132_6 Depth=1
	v_bfe_u32 v92, v93, 16, 1
	v_add3_u32 v92, v93, v92, s84
                                        ; implicit-def: $vgpr93
; %bb.99:                               ;   in Loop: Header=BB132_6 Depth=1
	s_andn2_saveexec_b64 s[62:63], s[62:63]
; %bb.100:                              ;   in Loop: Header=BB132_6 Depth=1
	v_or_b32_e32 v92, 0x10000, v93
	v_cmp_eq_u32_sdwa vcc, v93, v116 src0_sel:WORD_0 src1_sel:DWORD
	v_cndmask_b32_e32 v92, v92, v93, vcc
; %bb.101:                              ;   in Loop: Header=BB132_6 Depth=1
	s_or_b64 exec, exec, s[62:63]
	v_perm_b32 v92, v92, v96, s85
	ds_write_b32 v113, v92 offset:1584
	v_and_b32_e32 v92, 0x7f800000, v94
	v_cmp_ne_u32_e32 vcc, s83, v92
                                        ; implicit-def: $vgpr92
	s_and_saveexec_b64 s[62:63], vcc
	s_xor_b64 s[62:63], exec, s[62:63]
; %bb.102:                              ;   in Loop: Header=BB132_6 Depth=1
	v_bfe_u32 v92, v94, 16, 1
	v_add3_u32 v92, v94, v92, s84
; %bb.103:                              ;   in Loop: Header=BB132_6 Depth=1
	s_andn2_saveexec_b64 s[62:63], s[62:63]
; %bb.104:                              ;   in Loop: Header=BB132_6 Depth=1
	v_or_b32_e32 v92, 0x10000, v94
	v_cmp_eq_u32_sdwa vcc, v94, v116 src0_sel:WORD_0 src1_sel:DWORD
	v_cndmask_b32_e32 v92, v92, v94, vcc
; %bb.105:                              ;   in Loop: Header=BB132_6 Depth=1
	s_or_b64 exec, exec, s[62:63]
	v_and_b32_e32 v93, 0x7f800000, v95
	v_cmp_ne_u32_e32 vcc, s83, v93
                                        ; implicit-def: $vgpr93
	s_and_saveexec_b64 s[62:63], vcc
	s_xor_b64 s[62:63], exec, s[62:63]
; %bb.106:                              ;   in Loop: Header=BB132_6 Depth=1
	v_bfe_u32 v93, v95, 16, 1
	v_add3_u32 v93, v95, v93, s84
                                        ; implicit-def: $vgpr95
; %bb.107:                              ;   in Loop: Header=BB132_6 Depth=1
	s_andn2_saveexec_b64 s[62:63], s[62:63]
; %bb.108:                              ;   in Loop: Header=BB132_6 Depth=1
	v_or_b32_e32 v93, 0x10000, v95
	v_cmp_eq_u32_sdwa vcc, v95, v116 src0_sel:WORD_0 src1_sel:DWORD
	v_cndmask_b32_e32 v93, v93, v95, vcc
; %bb.109:                              ;   in Loop: Header=BB132_6 Depth=1
	s_or_b64 exec, exec, s[62:63]
	v_perm_b32 v92, v93, v92, s85
	ds_write_b32 v113, v92 offset:1848
	v_and_b32_e32 v92, 0x7f800000, v88
	v_cmp_ne_u32_e32 vcc, s83, v92
                                        ; implicit-def: $vgpr92
	s_and_saveexec_b64 s[62:63], vcc
	s_xor_b64 s[62:63], exec, s[62:63]
; %bb.110:                              ;   in Loop: Header=BB132_6 Depth=1
	v_bfe_u32 v92, v88, 16, 1
	v_add3_u32 v92, v88, v92, s84
; %bb.111:                              ;   in Loop: Header=BB132_6 Depth=1
	s_andn2_saveexec_b64 s[62:63], s[62:63]
; %bb.112:                              ;   in Loop: Header=BB132_6 Depth=1
	v_or_b32_e32 v92, 0x10000, v88
	v_cmp_eq_u32_sdwa vcc, v88, v116 src0_sel:WORD_0 src1_sel:DWORD
	v_cndmask_b32_e32 v92, v92, v88, vcc
; %bb.113:                              ;   in Loop: Header=BB132_6 Depth=1
	s_or_b64 exec, exec, s[62:63]
	v_and_b32_e32 v88, 0x7f800000, v89
	v_cmp_ne_u32_e32 vcc, s83, v88
                                        ; implicit-def: $vgpr88
	s_and_saveexec_b64 s[62:63], vcc
	s_xor_b64 s[62:63], exec, s[62:63]
; %bb.114:                              ;   in Loop: Header=BB132_6 Depth=1
	v_bfe_u32 v88, v89, 16, 1
	v_add3_u32 v88, v89, v88, s84
                                        ; implicit-def: $vgpr89
; %bb.115:                              ;   in Loop: Header=BB132_6 Depth=1
	s_andn2_saveexec_b64 s[62:63], s[62:63]
; %bb.116:                              ;   in Loop: Header=BB132_6 Depth=1
	v_or_b32_e32 v88, 0x10000, v89
	v_cmp_eq_u32_sdwa vcc, v89, v116 src0_sel:WORD_0 src1_sel:DWORD
	v_cndmask_b32_e32 v88, v88, v89, vcc
; %bb.117:                              ;   in Loop: Header=BB132_6 Depth=1
	s_or_b64 exec, exec, s[62:63]
	v_perm_b32 v88, v88, v92, s85
	ds_write_b32 v113, v88 offset:2112
	v_and_b32_e32 v88, 0x7f800000, v90
	v_cmp_ne_u32_e32 vcc, s83, v88
                                        ; implicit-def: $vgpr88
	s_and_saveexec_b64 s[62:63], vcc
	s_xor_b64 s[62:63], exec, s[62:63]
; %bb.118:                              ;   in Loop: Header=BB132_6 Depth=1
	v_bfe_u32 v88, v90, 16, 1
	v_add3_u32 v88, v90, v88, s84
; %bb.119:                              ;   in Loop: Header=BB132_6 Depth=1
	s_andn2_saveexec_b64 s[62:63], s[62:63]
; %bb.120:                              ;   in Loop: Header=BB132_6 Depth=1
	v_or_b32_e32 v88, 0x10000, v90
	v_cmp_eq_u32_sdwa vcc, v90, v116 src0_sel:WORD_0 src1_sel:DWORD
	v_cndmask_b32_e32 v88, v88, v90, vcc
; %bb.121:                              ;   in Loop: Header=BB132_6 Depth=1
	s_or_b64 exec, exec, s[62:63]
	v_and_b32_e32 v89, 0x7f800000, v91
	v_cmp_ne_u32_e32 vcc, s83, v89
                                        ; implicit-def: $vgpr89
	s_and_saveexec_b64 s[62:63], vcc
	s_xor_b64 s[62:63], exec, s[62:63]
; %bb.122:                              ;   in Loop: Header=BB132_6 Depth=1
	v_bfe_u32 v89, v91, 16, 1
	v_add3_u32 v89, v91, v89, s84
                                        ; implicit-def: $vgpr91
; %bb.123:                              ;   in Loop: Header=BB132_6 Depth=1
	s_andn2_saveexec_b64 s[62:63], s[62:63]
; %bb.124:                              ;   in Loop: Header=BB132_6 Depth=1
	v_or_b32_e32 v89, 0x10000, v91
	v_cmp_eq_u32_sdwa vcc, v91, v116 src0_sel:WORD_0 src1_sel:DWORD
	v_cndmask_b32_e32 v89, v89, v91, vcc
; %bb.125:                              ;   in Loop: Header=BB132_6 Depth=1
	s_or_b64 exec, exec, s[62:63]
	v_perm_b32 v88, v89, v88, s85
	ds_write_b32 v113, v88 offset:2376
	v_and_b32_e32 v88, 0x7f800000, v84
	v_cmp_ne_u32_e32 vcc, s83, v88
                                        ; implicit-def: $vgpr88
	s_and_saveexec_b64 s[62:63], vcc
	s_xor_b64 s[62:63], exec, s[62:63]
; %bb.126:                              ;   in Loop: Header=BB132_6 Depth=1
	v_bfe_u32 v88, v84, 16, 1
	v_add3_u32 v88, v84, v88, s84
; %bb.127:                              ;   in Loop: Header=BB132_6 Depth=1
	s_andn2_saveexec_b64 s[62:63], s[62:63]
; %bb.128:                              ;   in Loop: Header=BB132_6 Depth=1
	v_or_b32_e32 v88, 0x10000, v84
	v_cmp_eq_u32_sdwa vcc, v84, v116 src0_sel:WORD_0 src1_sel:DWORD
	v_cndmask_b32_e32 v88, v88, v84, vcc
; %bb.129:                              ;   in Loop: Header=BB132_6 Depth=1
	s_or_b64 exec, exec, s[62:63]
	v_and_b32_e32 v84, 0x7f800000, v85
	v_cmp_ne_u32_e32 vcc, s83, v84
                                        ; implicit-def: $vgpr84
	s_and_saveexec_b64 s[62:63], vcc
	s_xor_b64 s[62:63], exec, s[62:63]
; %bb.130:                              ;   in Loop: Header=BB132_6 Depth=1
	v_bfe_u32 v84, v85, 16, 1
	v_add3_u32 v84, v85, v84, s84
                                        ; implicit-def: $vgpr85
; %bb.131:                              ;   in Loop: Header=BB132_6 Depth=1
	s_andn2_saveexec_b64 s[62:63], s[62:63]
; %bb.132:                              ;   in Loop: Header=BB132_6 Depth=1
	v_or_b32_e32 v84, 0x10000, v85
	v_cmp_eq_u32_sdwa vcc, v85, v116 src0_sel:WORD_0 src1_sel:DWORD
	v_cndmask_b32_e32 v84, v84, v85, vcc
; %bb.133:                              ;   in Loop: Header=BB132_6 Depth=1
	s_or_b64 exec, exec, s[62:63]
	v_perm_b32 v84, v84, v88, s85
	ds_write_b32 v113, v84 offset:2640
	v_and_b32_e32 v84, 0x7f800000, v86
	v_cmp_ne_u32_e32 vcc, s83, v84
                                        ; implicit-def: $vgpr84
	s_and_saveexec_b64 s[62:63], vcc
	s_xor_b64 s[62:63], exec, s[62:63]
; %bb.134:                              ;   in Loop: Header=BB132_6 Depth=1
	v_bfe_u32 v84, v86, 16, 1
	v_add3_u32 v84, v86, v84, s84
; %bb.135:                              ;   in Loop: Header=BB132_6 Depth=1
	s_andn2_saveexec_b64 s[62:63], s[62:63]
; %bb.136:                              ;   in Loop: Header=BB132_6 Depth=1
	v_or_b32_e32 v84, 0x10000, v86
	v_cmp_eq_u32_sdwa vcc, v86, v116 src0_sel:WORD_0 src1_sel:DWORD
	v_cndmask_b32_e32 v84, v84, v86, vcc
; %bb.137:                              ;   in Loop: Header=BB132_6 Depth=1
	s_or_b64 exec, exec, s[62:63]
	v_and_b32_e32 v85, 0x7f800000, v87
	v_cmp_ne_u32_e32 vcc, s83, v85
                                        ; implicit-def: $vgpr85
	s_and_saveexec_b64 s[62:63], vcc
	s_xor_b64 s[62:63], exec, s[62:63]
; %bb.138:                              ;   in Loop: Header=BB132_6 Depth=1
	v_bfe_u32 v85, v87, 16, 1
	v_add3_u32 v85, v87, v85, s84
                                        ; implicit-def: $vgpr87
; %bb.139:                              ;   in Loop: Header=BB132_6 Depth=1
	s_andn2_saveexec_b64 s[62:63], s[62:63]
; %bb.140:                              ;   in Loop: Header=BB132_6 Depth=1
	v_or_b32_e32 v85, 0x10000, v87
	v_cmp_eq_u32_sdwa vcc, v87, v116 src0_sel:WORD_0 src1_sel:DWORD
	v_cndmask_b32_e32 v85, v85, v87, vcc
; %bb.141:                              ;   in Loop: Header=BB132_6 Depth=1
	s_or_b64 exec, exec, s[62:63]
	v_perm_b32 v84, v85, v84, s85
	ds_write_b32 v113, v84 offset:2904
	v_and_b32_e32 v84, 0x7f800000, v82
	v_cmp_ne_u32_e32 vcc, s83, v84
                                        ; implicit-def: $vgpr84
	s_and_saveexec_b64 s[62:63], vcc
	s_xor_b64 s[62:63], exec, s[62:63]
; %bb.142:                              ;   in Loop: Header=BB132_6 Depth=1
	v_bfe_u32 v84, v82, 16, 1
	v_add3_u32 v84, v82, v84, s84
; %bb.143:                              ;   in Loop: Header=BB132_6 Depth=1
	s_andn2_saveexec_b64 s[62:63], s[62:63]
; %bb.144:                              ;   in Loop: Header=BB132_6 Depth=1
	v_or_b32_e32 v84, 0x10000, v82
	v_cmp_eq_u32_sdwa vcc, v82, v116 src0_sel:WORD_0 src1_sel:DWORD
	v_cndmask_b32_e32 v84, v84, v82, vcc
; %bb.145:                              ;   in Loop: Header=BB132_6 Depth=1
	s_or_b64 exec, exec, s[62:63]
	v_and_b32_e32 v82, 0x7f800000, v83
	v_cmp_ne_u32_e32 vcc, s83, v82
                                        ; implicit-def: $vgpr82
	s_and_saveexec_b64 s[62:63], vcc
	s_xor_b64 s[62:63], exec, s[62:63]
; %bb.146:                              ;   in Loop: Header=BB132_6 Depth=1
	v_bfe_u32 v82, v83, 16, 1
	v_add3_u32 v82, v83, v82, s84
                                        ; implicit-def: $vgpr83
; %bb.147:                              ;   in Loop: Header=BB132_6 Depth=1
	s_andn2_saveexec_b64 s[62:63], s[62:63]
	s_cbranch_execz .LBB132_5
; %bb.148:                              ;   in Loop: Header=BB132_6 Depth=1
	v_or_b32_e32 v82, 0x10000, v83
	v_cmp_eq_u32_sdwa vcc, v83, v116 src0_sel:WORD_0 src1_sel:DWORD
	v_cndmask_b32_e32 v82, v82, v83, vcc
	s_branch .LBB132_5
.LBB132_149:
	s_or_b64 exec, exec, s[8:9]
	v_readlane_b32 s24, v119, 6
	v_readlane_b32 s26, v119, 9
	;; [unrolled: 1-line block ×5, first 2 shown]
.LBB132_150:
	v_readlane_b32 s0, v119, 4
	v_readlane_b32 s1, v119, 5
	s_or_b64 exec, exec, s[0:1]
	s_lshl_b64 s[0:1], s[26:27], 2
	v_readlane_b32 s4, v119, 0
	v_mul_u32_u24_e32 v0, 0x408, v111
	v_lshlrev_b32_e32 v1, 2, v110
	v_or_b32_e32 v2, 12, v109
	v_readlane_b32 s5, v119, 1
	s_add_u32 s3, s4, s0
	v_add3_u32 v0, 0, v0, v1
	v_and_b32_e32 v1, 0x3f0, v109
	v_and_b32_e32 v2, 0x3fc, v2
	s_addc_u32 s8, s5, s1
	v_add_u32_e32 v1, v0, v1
	v_add_u32_e32 v0, v0, v2
	s_barrier
	ds_write2_b32 v1, a0, a1 offset1:1
	ds_write_b32 v1, a2 offset:8
	ds_write_b32 v0, a3
	ds_write2_b32 v1, a4, a5 offset0:16 offset1:17
	ds_write_b32 v1, a6 offset:72
	ds_write_b32 v0, a7 offset:64
	ds_write2_b32 v1, a8, a9 offset0:32 offset1:33
	ds_write_b32 v1, a10 offset:136
	ds_write_b32 v0, a11 offset:128
	;; [unrolled: 3-line block ×3, first 2 shown]
	s_cmp_gt_i32 s14, 0
	v_add_u32_e32 v0, s6, v108
	s_cselect_b64 s[4:5], -1, 0
	v_cmp_gt_i32_e64 s[0:1], s33, v0
	v_cmp_gt_u32_e32 vcc, 13, v108
	s_and_b64 s[0:1], s[4:5], s[0:1]
	v_lshl_add_u32 v5, v109, 2, 0
	v_add_u32_e32 v4, s7, v109
	v_mul_u32_u24_e32 v6, 0x408, v108
	s_and_b64 s[10:11], vcc, s[0:1]
	s_waitcnt lgkmcnt(0)
	s_barrier
	s_and_saveexec_b64 s[0:1], s[10:11]
	s_cbranch_execz .LBB132_153
; %bb.151:
	v_ashrrev_i32_e32 v1, 31, v0
	v_lshlrev_b64 v[2:3], 2, v[0:1]
	v_mov_b32_e32 v1, s8
	v_add_co_u32_e32 v2, vcc, s3, v2
	v_addc_co_u32_e32 v3, vcc, v1, v3, vcc
	global_load_dword v2, v[2:3], off
	s_waitcnt vmcnt(0)
	v_mul_hi_u32 v1, v2, s19
	v_add_u32_e32 v1, v2, v1
	v_lshrrev_b32_e32 v1, s24, v1
	v_cmp_gt_i32_e32 vcc, s13, v1
	s_and_b64 exec, exec, vcc
	s_cbranch_execz .LBB132_153
; %bb.152:
	v_add_u32_e32 v3, v5, v6
	ds_read2st64_b32 v[8:9], v3 offset1:1
	ds_read2st64_b32 v[10:11], v3 offset0:2 offset1:3
	v_mul_lo_u32 v7, v1, s25
	v_sub_u32_e32 v2, v2, v7
	v_mul_lo_u32 v2, v2, s2
	s_waitcnt lgkmcnt(1)
	v_add_f32_e32 v3, 0, v8
	v_add_f32_e32 v3, v3, v9
	s_waitcnt lgkmcnt(0)
	v_add_f32_e32 v3, v3, v10
	v_mul_lo_u32 v1, v1, s21
	v_add_f32_e32 v7, v3, v11
	v_add3_u32 v2, v4, v1, v2
	v_mov_b32_e32 v3, 0
	v_readlane_b32 s10, v119, 2
	v_lshlrev_b64 v[2:3], 2, v[2:3]
	v_readlane_b32 s11, v119, 3
	v_mov_b32_e32 v1, s11
	v_add_co_u32_e32 v2, vcc, s10, v2
	v_addc_co_u32_e32 v3, vcc, v1, v3, vcc
	global_store_dword v[2:3], v7, off
.LBB132_153:
	s_or_b64 exec, exec, s[0:1]
	v_add_u32_e32 v1, 4, v0
	v_cmp_gt_i32_e64 s[0:1], s33, v1
	v_cmp_gt_u32_e32 vcc, 9, v108
	s_and_b64 s[0:1], s[4:5], s[0:1]
	s_and_b64 s[10:11], vcc, s[0:1]
	s_and_saveexec_b64 s[0:1], s[10:11]
	s_cbranch_execz .LBB132_156
; %bb.154:
	s_ashr_i32 s7, s6, 31
	v_mov_b32_e32 v1, s7
	v_add_co_u32_e32 v2, vcc, s6, v108
	v_addc_co_u32_e32 v3, vcc, 0, v1, vcc
	v_lshlrev_b64 v[2:3], 2, v[2:3]
	v_mov_b32_e32 v1, s8
	v_add_co_u32_e32 v2, vcc, s3, v2
	v_addc_co_u32_e32 v3, vcc, v1, v3, vcc
	global_load_dword v2, v[2:3], off offset:16
	v_mov_b32_e32 v3, 0
	s_waitcnt vmcnt(0)
	v_mul_hi_u32 v1, v2, s19
	v_add_u32_e32 v1, v2, v1
	v_lshrrev_b32_e32 v1, s24, v1
	v_cmp_gt_i32_e32 vcc, s13, v1
	s_and_b64 exec, exec, vcc
	s_cbranch_execz .LBB132_156
; %bb.155:
	v_add_u32_e32 v7, v6, v5
	v_add_u32_e32 v7, 32, v7
	ds_read2st64_b32 v[8:9], v7 offset0:16 offset1:17
	ds_read2st64_b32 v[10:11], v7 offset0:18 offset1:19
	v_mul_lo_u32 v12, v1, s25
	v_sub_u32_e32 v2, v2, v12
	v_mul_lo_u32 v2, v2, s2
	v_mul_lo_u32 v1, v1, s21
	s_waitcnt lgkmcnt(1)
	v_add_f32_e32 v7, 0, v8
	v_add3_u32 v2, v4, v1, v2
	v_readlane_b32 s10, v119, 2
	v_add_f32_e32 v7, v7, v9
	v_lshlrev_b64 v[2:3], 2, v[2:3]
	v_readlane_b32 s11, v119, 3
	s_waitcnt lgkmcnt(0)
	v_add_f32_e32 v7, v7, v10
	v_mov_b32_e32 v1, s11
	v_add_co_u32_e32 v2, vcc, s10, v2
	v_add_f32_e32 v7, v7, v11
	v_addc_co_u32_e32 v3, vcc, v1, v3, vcc
	global_store_dword v[2:3], v7, off
.LBB132_156:
	s_or_b64 exec, exec, s[0:1]
	v_add_u32_e32 v0, 8, v0
	v_cmp_gt_i32_e64 s[0:1], s33, v0
	v_cmp_gt_u32_e32 vcc, 5, v108
	s_and_b64 s[0:1], s[4:5], s[0:1]
	s_and_b64 s[10:11], vcc, s[0:1]
	s_and_saveexec_b64 s[0:1], s[10:11]
	s_cbranch_execz .LBB132_159
; %bb.157:
	s_ashr_i32 s7, s6, 31
	v_mov_b32_e32 v1, s7
	v_add_co_u32_e32 v0, vcc, s6, v108
	v_addc_co_u32_e32 v1, vcc, 0, v1, vcc
	v_lshlrev_b64 v[0:1], 2, v[0:1]
	v_mov_b32_e32 v2, s8
	v_add_co_u32_e32 v0, vcc, s3, v0
	v_addc_co_u32_e32 v1, vcc, v2, v1, vcc
	global_load_dword v2, v[0:1], off offset:32
	v_mov_b32_e32 v1, 0
	s_waitcnt vmcnt(0)
	v_mul_hi_u32 v0, v2, s19
	v_add_u32_e32 v0, v2, v0
	v_lshrrev_b32_e32 v0, s24, v0
	v_cmp_gt_i32_e32 vcc, s13, v0
	s_and_b64 exec, exec, vcc
	s_cbranch_execz .LBB132_159
; %bb.158:
	v_add_u32_e32 v3, v5, v6
	v_add_u32_e32 v3, 64, v3
	ds_read2st64_b32 v[6:7], v3 offset0:32 offset1:33
	ds_read2st64_b32 v[8:9], v3 offset0:34 offset1:35
	v_mul_lo_u32 v10, v0, s25
	v_sub_u32_e32 v2, v2, v10
	v_mul_lo_u32 v2, v2, s2
	v_mul_lo_u32 v0, v0, s21
	s_waitcnt lgkmcnt(1)
	v_add_f32_e32 v3, 0, v6
	v_add3_u32 v0, v4, v0, v2
	v_readlane_b32 s10, v119, 2
	v_add_f32_e32 v3, v3, v7
	v_lshlrev_b64 v[0:1], 2, v[0:1]
	v_readlane_b32 s11, v119, 3
	s_waitcnt lgkmcnt(0)
	v_add_f32_e32 v3, v3, v8
	v_mov_b32_e32 v2, s11
	v_add_co_u32_e32 v0, vcc, s10, v0
	v_add_f32_e32 v3, v3, v9
	v_addc_co_u32_e32 v1, vcc, v2, v1, vcc
	global_store_dword v[0:1], v3, off
.LBB132_159:
	s_or_b64 exec, exec, s[0:1]
	v_cmp_eq_u32_e32 vcc, 0, v108
	s_and_saveexec_b64 s[0:1], vcc
	s_cbranch_execz .LBB132_163
; %bb.160:
	s_add_i32 s0, s6, 12
	s_cmp_ge_i32 s0, s33
	s_cselect_b64 s[0:1], -1, 0
	s_xor_b64 s[4:5], s[4:5], -1
	s_or_b64 s[0:1], s[4:5], s[0:1]
	s_and_b64 vcc, exec, s[0:1]
	s_cbranch_vccnz .LBB132_163
; %bb.161:
	s_ashr_i32 s7, s6, 31
	s_lshl_b64 s[0:1], s[6:7], 2
	s_add_u32 s0, s3, s0
	s_addc_u32 s1, s8, s1
	s_load_dword s1, s[0:1], 0x30
	s_waitcnt lgkmcnt(0)
	s_mul_hi_u32 s0, s1, s19
	s_add_i32 s0, s1, s0
	s_lshr_b32 s0, s0, s24
	s_cmp_ge_i32 s0, s13
	s_cbranch_scc1 .LBB132_163
; %bb.162:
	v_add_u32_e32 v2, 0x60, v5
	ds_read2st64_b32 v[0:1], v2 offset0:48 offset1:49
	ds_read2st64_b32 v[2:3], v2 offset0:50 offset1:51
	s_mul_i32 s3, s0, s25
	s_sub_i32 s1, s1, s3
	s_mul_i32 s1, s1, s2
	s_waitcnt lgkmcnt(1)
	v_add_f32_e32 v0, 0, v0
	v_add_f32_e32 v0, v0, v1
	s_mul_i32 s0, s0, s21
	s_waitcnt lgkmcnt(0)
	v_add_f32_e32 v0, v0, v2
	s_add_i32 s1, s1, s0
	v_add_f32_e32 v2, v0, v3
	v_add_u32_e32 v0, s1, v4
	v_mov_b32_e32 v1, 0
	v_readlane_b32 s0, v119, 2
	v_lshlrev_b64 v[0:1], 2, v[0:1]
	v_readlane_b32 s1, v119, 3
	v_mov_b32_e32 v3, s1
	v_add_co_u32_e32 v0, vcc, s0, v0
	v_addc_co_u32_e32 v1, vcc, v3, v1, vcc
	global_store_dword v[0:1], v2, off
.LBB132_163:
	s_endpgm
	.section	.rodata,"a",@progbits
	.p2align	6, 0x0
	.amdhsa_kernel _ZL13mul_mat_f_idsI15__hip_bfloat162Li64ELi13ELi4EEvPKT_PKfPKiS7_S7_Pfiiiiiiiiiiiiii15HIP_vector_typeIjLj3EESA_
		.amdhsa_group_segment_fixed_size 0
		.amdhsa_private_segment_fixed_size 0
		.amdhsa_kernarg_size 128
		.amdhsa_user_sgpr_count 6
		.amdhsa_user_sgpr_private_segment_buffer 1
		.amdhsa_user_sgpr_dispatch_ptr 0
		.amdhsa_user_sgpr_queue_ptr 0
		.amdhsa_user_sgpr_kernarg_segment_ptr 1
		.amdhsa_user_sgpr_dispatch_id 0
		.amdhsa_user_sgpr_flat_scratch_init 0
		.amdhsa_user_sgpr_kernarg_preload_length 0
		.amdhsa_user_sgpr_kernarg_preload_offset 0
		.amdhsa_user_sgpr_private_segment_size 0
		.amdhsa_uses_dynamic_stack 0
		.amdhsa_system_sgpr_private_segment_wavefront_offset 0
		.amdhsa_system_sgpr_workgroup_id_x 1
		.amdhsa_system_sgpr_workgroup_id_y 1
		.amdhsa_system_sgpr_workgroup_id_z 1
		.amdhsa_system_sgpr_workgroup_info 0
		.amdhsa_system_vgpr_workitem_id 1
		.amdhsa_next_free_vgpr 136
		.amdhsa_next_free_sgpr 96
		.amdhsa_accum_offset 120
		.amdhsa_reserve_vcc 1
		.amdhsa_reserve_flat_scratch 0
		.amdhsa_float_round_mode_32 0
		.amdhsa_float_round_mode_16_64 0
		.amdhsa_float_denorm_mode_32 3
		.amdhsa_float_denorm_mode_16_64 3
		.amdhsa_dx10_clamp 1
		.amdhsa_ieee_mode 1
		.amdhsa_fp16_overflow 0
		.amdhsa_tg_split 0
		.amdhsa_exception_fp_ieee_invalid_op 0
		.amdhsa_exception_fp_denorm_src 0
		.amdhsa_exception_fp_ieee_div_zero 0
		.amdhsa_exception_fp_ieee_overflow 0
		.amdhsa_exception_fp_ieee_underflow 0
		.amdhsa_exception_fp_ieee_inexact 0
		.amdhsa_exception_int_div_zero 0
	.end_amdhsa_kernel
	.section	.text._ZL13mul_mat_f_idsI15__hip_bfloat162Li64ELi13ELi4EEvPKT_PKfPKiS7_S7_Pfiiiiiiiiiiiiii15HIP_vector_typeIjLj3EESA_,"axG",@progbits,_ZL13mul_mat_f_idsI15__hip_bfloat162Li64ELi13ELi4EEvPKT_PKfPKiS7_S7_Pfiiiiiiiiiiiiii15HIP_vector_typeIjLj3EESA_,comdat
.Lfunc_end132:
	.size	_ZL13mul_mat_f_idsI15__hip_bfloat162Li64ELi13ELi4EEvPKT_PKfPKiS7_S7_Pfiiiiiiiiiiiiii15HIP_vector_typeIjLj3EESA_, .Lfunc_end132-_ZL13mul_mat_f_idsI15__hip_bfloat162Li64ELi13ELi4EEvPKT_PKfPKiS7_S7_Pfiiiiiiiiiiiiii15HIP_vector_typeIjLj3EESA_
                                        ; -- End function
	.section	.AMDGPU.csdata,"",@progbits
; Kernel info:
; codeLenInByte = 9756
; NumSgprs: 100
; NumVgprs: 120
; NumAgprs: 16
; TotalNumVgprs: 136
; ScratchSize: 0
; MemoryBound: 0
; FloatMode: 240
; IeeeMode: 1
; LDSByteSize: 0 bytes/workgroup (compile time only)
; SGPRBlocks: 12
; VGPRBlocks: 16
; NumSGPRsForWavesPerEU: 100
; NumVGPRsForWavesPerEU: 136
; AccumOffset: 120
; Occupancy: 3
; WaveLimiterHint : 1
; COMPUTE_PGM_RSRC2:SCRATCH_EN: 0
; COMPUTE_PGM_RSRC2:USER_SGPR: 6
; COMPUTE_PGM_RSRC2:TRAP_HANDLER: 0
; COMPUTE_PGM_RSRC2:TGID_X_EN: 1
; COMPUTE_PGM_RSRC2:TGID_Y_EN: 1
; COMPUTE_PGM_RSRC2:TGID_Z_EN: 1
; COMPUTE_PGM_RSRC2:TIDIG_COMP_CNT: 1
; COMPUTE_PGM_RSRC3_GFX90A:ACCUM_OFFSET: 29
; COMPUTE_PGM_RSRC3_GFX90A:TG_SPLIT: 0
	.section	.text._ZL9mul_mat_fI15__hip_bfloat162Li64ELi13ELi4ELb1EEvPKT_PKfPKiPfiiiiiiiiiiiiiiii,"axG",@progbits,_ZL9mul_mat_fI15__hip_bfloat162Li64ELi13ELi4ELb1EEvPKT_PKfPKiPfiiiiiiiiiiiiiiii,comdat
	.globl	_ZL9mul_mat_fI15__hip_bfloat162Li64ELi13ELi4ELb1EEvPKT_PKfPKiPfiiiiiiiiiiiiiiii ; -- Begin function _ZL9mul_mat_fI15__hip_bfloat162Li64ELi13ELi4ELb1EEvPKT_PKfPKiPfiiiiiiiiiiiiiiii
	.p2align	8
	.type	_ZL9mul_mat_fI15__hip_bfloat162Li64ELi13ELi4ELb1EEvPKT_PKfPKiPfiiiiiiiiiiiiiiii,@function
_ZL9mul_mat_fI15__hip_bfloat162Li64ELi13ELi4ELb1EEvPKT_PKfPKiPfiiiiiiiiiiiiiiii: ; @_ZL9mul_mat_fI15__hip_bfloat162Li64ELi13ELi4ELb1EEvPKT_PKfPKiPfiiiiiiiiiiiiiiii
; %bb.0:
	s_load_dwordx8 s[20:27], s[4:5], 0x20
	v_and_b32_e32 v16, 0x3ff, v0
	v_bfe_u32 v17, v0, 10, 10
	v_cmp_eq_u32_e32 vcc, 0, v16
	s_waitcnt lgkmcnt(0)
	s_add_i32 s0, s21, 12
	s_mul_hi_i32 s0, s0, 0x4ec4ec4f
	s_lshr_b32 s1, s0, 31
	s_ashr_i32 s0, s0, 2
	s_add_i32 s0, s0, s1
	v_cvt_f32_u32_e32 v1, s0
	s_load_dwordx4 s[28:31], s[4:5], 0x44
	s_load_dword s1, s[4:5], 0x64
	s_add_u32 s34, s4, 0x60
	s_addc_u32 s35, s5, 0
	v_rcp_iflag_f32_e32 v1, v1
	s_sub_i32 s2, 0, s0
	v_mul_f32_e32 v1, 0x4f7ffffe, v1
	v_cvt_u32_f32_e32 v1, v1
	v_readfirstlane_b32 s3, v1
	s_mul_i32 s2, s2, s3
	s_mul_hi_u32 s2, s3, s2
	s_add_i32 s3, s3, s2
	s_waitcnt lgkmcnt(0)
	s_mul_hi_u32 s2, s1, s3
	s_mul_i32 s3, s2, s0
	s_sub_i32 s1, s1, s3
	s_add_i32 s9, s2, 1
	s_sub_i32 s3, s1, s0
	s_cmp_ge_u32 s1, s0
	s_cselect_b32 s2, s9, s2
	s_cselect_b32 s1, s3, s1
	s_add_i32 s3, s2, 1
	s_cmp_ge_u32 s1, s0
	s_cselect_b32 s10, s3, s2
	v_cvt_f32_u32_e32 v1, s10
	s_abs_i32 s42, s31
	v_cvt_f32_u32_e32 v2, s42
	s_load_dwordx2 s[0:1], s[4:5], 0x10
	v_rcp_iflag_f32_e32 v1, v1
	s_sub_i32 s2, 0, s10
	v_rcp_iflag_f32_e32 v2, v2
	v_mul_f32_e32 v1, 0x4f7ffffe, v1
	v_cvt_u32_f32_e32 v1, v1
	v_mul_f32_e32 v2, 0x4f7ffffe, v2
	v_cvt_u32_f32_e32 v2, v2
	v_readfirstlane_b32 s3, v1
	s_mul_i32 s2, s2, s3
	s_mul_hi_u32 s2, s3, s2
	s_add_i32 s3, s3, s2
	v_readfirstlane_b32 s9, v2
	s_mul_hi_u32 s11, s7, s3
	s_and_saveexec_b64 s[2:3], vcc
	s_cbranch_execz .LBB133_2
; %bb.1:
	v_mov_b32_e32 v1, 0x100
	v_lshl_add_u32 v1, v17, 2, v1
	v_mov_b32_e32 v2, -1
	ds_write_b32 v1, v2
.LBB133_2:
	s_or_b64 exec, exec, s[2:3]
	s_mul_i32 s2, s11, s10
	s_sub_i32 s2, s7, s2
	s_add_i32 s3, s11, 1
	s_sub_i32 s12, s2, s10
	s_cmp_ge_u32 s2, s10
	s_cselect_b32 s3, s3, s11
	s_cselect_b32 s2, s12, s2
	s_add_i32 s11, s3, 1
	s_cmp_ge_u32 s2, s10
	s_cselect_b32 s2, s11, s3
	s_mul_i32 s3, s2, s10
	s_mul_i32 s54, s2, 13
	s_sub_i32 s7, s7, s3
	s_mul_hi_i32 s3, s54, s27
	s_mul_i32 s2, s54, s27
	s_lshl_b64 s[2:3], s[2:3], 2
	s_waitcnt lgkmcnt(0)
	s_add_u32 s0, s0, s2
	v_add_u32_e32 v1, s54, v17
	s_addc_u32 s1, s1, s3
	v_cmp_gt_i32_e64 s[10:11], s22, v16
	v_cmp_gt_i32_e64 s[44:45], s21, v1
	v_mov_b32_e32 v1, 0
	s_and_saveexec_b64 s[14:15], s[44:45]
	s_cbranch_execz .LBB133_10
; %bb.3:
	v_mov_b32_e32 v1, 0
	s_and_saveexec_b64 s[16:17], s[10:11]
	s_cbranch_execz .LBB133_9
; %bb.4:
	v_mul_lo_u32 v2, v17, s27
	v_ashrrev_i32_e32 v3, 31, v2
	v_lshlrev_b64 v[2:3], 2, v[2:3]
	v_mov_b32_e32 v1, s1
	v_add_co_u32_e64 v4, s[2:3], s0, v2
	v_addc_co_u32_e64 v5, s[2:3], v1, v3, s[2:3]
	v_mov_b32_e32 v1, 0x100
	v_lshl_add_u32 v6, v17, 2, v1
	v_mul_lo_u32 v2, v16, s26
	s_lshl_b32 s33, s26, 6
	s_mov_b64 s[18:19], 0
	v_mov_b32_e32 v1, 0
	v_mov_b32_e32 v7, v16
	s_branch .LBB133_6
.LBB133_5:                              ;   in Loop: Header=BB133_6 Depth=1
	s_or_b64 exec, exec, s[36:37]
	v_add_u32_e32 v7, 64, v7
	v_cmp_le_i32_e64 s[12:13], s22, v7
	s_xor_b64 s[2:3], s[2:3], -1
	s_or_b64 s[2:3], s[2:3], s[12:13]
	s_and_b64 s[2:3], exec, s[2:3]
	s_or_b64 s[18:19], s[2:3], s[18:19]
	v_add_u32_e32 v2, s33, v2
	s_andn2_b64 exec, exec, s[18:19]
	s_cbranch_execz .LBB133_8
.LBB133_6:                              ; =>This Inner Loop Header: Depth=1
	v_ashrrev_i32_e32 v3, 31, v2
	v_lshlrev_b64 v[8:9], 2, v[2:3]
	v_add_co_u32_e64 v8, s[2:3], v4, v8
	v_addc_co_u32_e64 v9, s[2:3], v5, v9, s[2:3]
	global_load_dword v3, v[8:9], off
	s_waitcnt vmcnt(0)
	v_cmp_ne_u32_e64 s[2:3], s7, v3
	v_cmp_eq_u32_e64 s[12:13], s7, v3
	s_and_saveexec_b64 s[36:37], s[12:13]
	s_cbranch_execz .LBB133_5
; %bb.7:                                ;   in Loop: Header=BB133_6 Depth=1
	v_mov_b32_e32 v1, 1
	ds_write_b32 v6, v7
	s_branch .LBB133_5
.LBB133_8:
	s_or_b64 exec, exec, s[18:19]
.LBB133_9:
	s_or_b64 exec, exec, s[16:17]
.LBB133_10:
	s_or_b64 exec, exec, s[14:15]
	s_and_saveexec_b64 s[2:3], vcc
	s_cbranch_execz .LBB133_12
; %bb.11:
	v_mov_b32_e32 v2, 0x100
	v_lshl_add_u32 v2, v17, 2, v2
	v_mov_b32_e32 v3, -1
	ds_write_b32 v2, v3 offset:16
.LBB133_12:
	s_or_b64 exec, exec, s[2:3]
	v_add_u32_e32 v86, 4, v17
	v_add_u32_e32 v2, s54, v86
	v_cmp_gt_i32_e64 s[2:3], s21, v2
	s_mov_b64 s[16:17], exec
                                        ; implicit-def: $vgpr104 : SGPR spill to VGPR lane
	v_writelane_b32 v104, s2, 0
	v_writelane_b32 v104, s3, 1
	s_and_b64 s[2:3], s[16:17], s[2:3]
	s_mov_b64 exec, s[2:3]
	s_cbranch_execz .LBB133_20
; %bb.13:
	s_and_saveexec_b64 s[18:19], s[10:11]
	s_cbranch_execz .LBB133_19
; %bb.14:
	v_mul_lo_u32 v2, v86, s27
	v_ashrrev_i32_e32 v3, 31, v2
	v_lshlrev_b64 v[2:3], 2, v[2:3]
	v_mov_b32_e32 v5, s1
	v_add_co_u32_e64 v4, s[12:13], s0, v2
	v_mov_b32_e32 v2, 0x100
	v_addc_co_u32_e64 v5, s[12:13], v5, v3, s[12:13]
	v_lshl_add_u32 v6, v17, 2, v2
	v_mul_lo_u32 v2, v16, s26
	s_lshl_b32 s2, s26, 6
	s_mov_b64 s[36:37], 0
	v_mov_b32_e32 v7, v16
	s_branch .LBB133_16
.LBB133_15:                             ;   in Loop: Header=BB133_16 Depth=1
	s_or_b64 exec, exec, s[38:39]
	v_add_u32_e32 v7, 64, v7
	v_cmp_le_i32_e64 s[14:15], s22, v7
	s_xor_b64 s[12:13], s[12:13], -1
	s_or_b64 s[12:13], s[12:13], s[14:15]
	s_and_b64 s[12:13], exec, s[12:13]
	s_or_b64 s[36:37], s[12:13], s[36:37]
	v_add_u32_e32 v2, s2, v2
	s_andn2_b64 exec, exec, s[36:37]
	s_cbranch_execz .LBB133_18
.LBB133_16:                             ; =>This Inner Loop Header: Depth=1
	v_ashrrev_i32_e32 v3, 31, v2
	v_lshlrev_b64 v[8:9], 2, v[2:3]
	v_add_co_u32_e64 v8, s[12:13], v4, v8
	v_addc_co_u32_e64 v9, s[12:13], v5, v9, s[12:13]
	global_load_dword v3, v[8:9], off
	s_waitcnt vmcnt(0)
	v_cmp_ne_u32_e64 s[12:13], s7, v3
	v_cmp_eq_u32_e64 s[14:15], s7, v3
	s_and_saveexec_b64 s[38:39], s[14:15]
	s_cbranch_execz .LBB133_15
; %bb.17:                               ;   in Loop: Header=BB133_16 Depth=1
	v_mov_b32_e32 v1, 1
	ds_write_b32 v6, v7 offset:16
	s_branch .LBB133_15
.LBB133_18:
	s_or_b64 exec, exec, s[36:37]
.LBB133_19:
	s_or_b64 exec, exec, s[18:19]
.LBB133_20:
	s_or_b64 exec, exec, s[16:17]
	s_sub_i32 s2, 0, s42
	s_and_saveexec_b64 s[12:13], vcc
	s_cbranch_execz .LBB133_22
; %bb.21:
	v_mov_b32_e32 v2, 0x100
	v_lshl_add_u32 v2, v17, 2, v2
	v_mov_b32_e32 v3, -1
	ds_write_b32 v2, v3 offset:32
.LBB133_22:
	s_or_b64 exec, exec, s[12:13]
	v_add_u32_e32 v87, 8, v17
	s_mul_i32 s2, s2, s9
	v_add_u32_e32 v2, s54, v87
	v_cmp_gt_i32_e64 s[12:13], s21, v2
	s_mov_b64 s[18:19], exec
	v_writelane_b32 v104, s12, 2
	v_writelane_b32 v104, s13, 3
	s_and_b64 s[12:13], s[18:19], s[12:13]
	s_mov_b64 exec, s[12:13]
	s_cbranch_execz .LBB133_30
; %bb.23:
	s_and_saveexec_b64 s[36:37], s[10:11]
	s_cbranch_execz .LBB133_29
; %bb.24:
	v_mul_lo_u32 v2, v87, s27
	v_ashrrev_i32_e32 v3, 31, v2
	v_lshlrev_b64 v[2:3], 2, v[2:3]
	v_mov_b32_e32 v5, s1
	v_add_co_u32_e64 v4, s[14:15], s0, v2
	v_mov_b32_e32 v2, 0x100
	v_addc_co_u32_e64 v5, s[14:15], v5, v3, s[14:15]
	v_lshl_add_u32 v6, v17, 2, v2
	v_mul_lo_u32 v2, v16, s26
	s_lshl_b32 s3, s26, 6
	s_mov_b64 s[38:39], 0
	v_mov_b32_e32 v7, v16
	s_branch .LBB133_26
.LBB133_25:                             ;   in Loop: Header=BB133_26 Depth=1
	s_or_b64 exec, exec, s[40:41]
	v_add_u32_e32 v7, 64, v7
	v_cmp_le_i32_e64 s[16:17], s22, v7
	s_xor_b64 s[12:13], s[14:15], -1
	s_or_b64 s[12:13], s[12:13], s[16:17]
	s_and_b64 s[12:13], exec, s[12:13]
	s_or_b64 s[38:39], s[12:13], s[38:39]
	v_add_u32_e32 v2, s3, v2
	s_andn2_b64 exec, exec, s[38:39]
	s_cbranch_execz .LBB133_28
.LBB133_26:                             ; =>This Inner Loop Header: Depth=1
	v_ashrrev_i32_e32 v3, 31, v2
	v_lshlrev_b64 v[8:9], 2, v[2:3]
	v_add_co_u32_e64 v8, s[14:15], v4, v8
	v_addc_co_u32_e64 v9, s[14:15], v5, v9, s[14:15]
	global_load_dword v3, v[8:9], off
	s_waitcnt vmcnt(0)
	v_cmp_ne_u32_e64 s[14:15], s7, v3
	v_cmp_eq_u32_e64 s[16:17], s7, v3
	s_and_saveexec_b64 s[40:41], s[16:17]
	s_cbranch_execz .LBB133_25
; %bb.27:                               ;   in Loop: Header=BB133_26 Depth=1
	v_mov_b32_e32 v1, 1
	ds_write_b32 v6, v7 offset:32
	s_branch .LBB133_25
.LBB133_28:
	s_or_b64 exec, exec, s[38:39]
.LBB133_29:
	s_or_b64 exec, exec, s[36:37]
.LBB133_30:
	s_or_b64 exec, exec, s[18:19]
	s_mul_hi_u32 s3, s9, s2
	s_and_saveexec_b64 s[14:15], vcc
	s_cbranch_execz .LBB133_32
; %bb.31:
	v_mov_b32_e32 v2, 0x100
	v_lshl_add_u32 v2, v17, 2, v2
	v_mov_b32_e32 v3, -1
	ds_write_b32 v2, v3 offset:48
.LBB133_32:
	s_or_b64 exec, exec, s[14:15]
	s_load_dwordx4 s[16:19], s[4:5], 0x54
	v_add_u32_e32 v88, 12, v17
	s_abs_i32 s2, s8
	s_add_i32 s9, s9, s3
	v_add_u32_e32 v2, s54, v88
	v_cmp_gt_i32_e64 s[12:13], s21, v2
	s_mov_b64 s[36:37], exec
	v_writelane_b32 v104, s12, 4
	v_writelane_b32 v104, s13, 5
	s_and_b64 s[12:13], s[36:37], s[12:13]
	s_mov_b64 exec, s[12:13]
	s_cbranch_execz .LBB133_40
; %bb.33:
	s_and_saveexec_b64 s[38:39], s[10:11]
	s_cbranch_execz .LBB133_39
; %bb.34:
	v_mul_lo_u32 v2, v88, s27
	v_ashrrev_i32_e32 v3, 31, v2
	v_lshlrev_b64 v[2:3], 2, v[2:3]
	v_mov_b32_e32 v5, s1
	v_add_co_u32_e32 v4, vcc, s0, v2
	v_mov_b32_e32 v2, 0x100
	v_addc_co_u32_e32 v5, vcc, v5, v3, vcc
	v_lshl_add_u32 v6, v17, 2, v2
	v_mul_lo_u32 v2, v16, s26
	s_lshl_b32 s0, s26, 6
	s_mov_b64 s[26:27], 0
	v_mov_b32_e32 v7, v16
	s_branch .LBB133_36
.LBB133_35:                             ;   in Loop: Header=BB133_36 Depth=1
	s_or_b64 exec, exec, s[40:41]
	v_add_u32_e32 v7, 64, v7
	v_cmp_le_i32_e64 s[10:11], s22, v7
	s_xor_b64 s[12:13], vcc, -1
	s_or_b64 s[10:11], s[12:13], s[10:11]
	s_and_b64 s[10:11], exec, s[10:11]
	s_or_b64 s[26:27], s[10:11], s[26:27]
	v_add_u32_e32 v2, s0, v2
	s_andn2_b64 exec, exec, s[26:27]
	s_cbranch_execz .LBB133_38
.LBB133_36:                             ; =>This Inner Loop Header: Depth=1
	v_ashrrev_i32_e32 v3, 31, v2
	v_lshlrev_b64 v[8:9], 2, v[2:3]
	v_add_co_u32_e32 v8, vcc, v4, v8
	v_addc_co_u32_e32 v9, vcc, v5, v9, vcc
	global_load_dword v3, v[8:9], off
	s_waitcnt vmcnt(0)
	v_cmp_ne_u32_e32 vcc, s7, v3
	v_cmp_eq_u32_e64 s[10:11], s7, v3
	s_and_saveexec_b64 s[40:41], s[10:11]
	s_cbranch_execz .LBB133_35
; %bb.37:                               ;   in Loop: Header=BB133_36 Depth=1
	v_mov_b32_e32 v1, 1
	ds_write_b32 v6, v7 offset:48
	s_branch .LBB133_35
.LBB133_38:
	s_or_b64 exec, exec, s[26:27]
.LBB133_39:
	s_or_b64 exec, exec, s[38:39]
.LBB133_40:
	s_or_b64 exec, exec, s[36:37]
	s_load_dwordx2 s[10:11], s[34:35], 0xc
	s_load_dwordx4 s[36:39], s[4:5], 0x0
	s_load_dwordx2 s[0:1], s[4:5], 0x18
	v_cmp_ne_u32_e32 vcc, 0, v1
	v_cndmask_b32_e64 v1, 0, 1, vcc
                                        ; kill: killed $sgpr4 killed $sgpr5
	s_waitcnt lgkmcnt(0)
	s_lshr_b32 s4, s10, 16
	s_and_b32 s3, s10, 0xffff
	v_or_b32_dpp v1, v1, v1 row_shl:1 row_mask:0xf bank_mask:0xf bound_ctrl:1
	v_writelane_b32 v104, s0, 6
	s_mul_i32 s5, s4, s3
	v_or_b32_dpp v1, v1, v1 row_shl:2 row_mask:0xf bank_mask:0xf bound_ctrl:1
	v_writelane_b32 v104, s1, 7
	s_and_b32 s1, s11, 0xffff
	v_or_b32_dpp v1, v1, v1 row_shl:4 row_mask:0xf bank_mask:0xf bound_ctrl:1
	s_bfe_i32 s5, s5, 0x180000
	s_mul_i32 s1, s5, s1
	v_or_b32_dpp v1, v1, v1 row_shl:8 row_mask:0xf bank_mask:0xf bound_ctrl:1
	s_add_i32 s5, s1, 63
	s_bitcmp1_b32 exec_hi, 0
	v_mov_b32_dpp v2, v1 wave_shl:1 row_mask:0xf bank_mask:0xf bound_ctrl:1
	s_mul_hi_u32 s0, s2, s9
                                        ; kill: killed $sgpr34 killed $sgpr35
	s_nop 0
	v_or_b32_dpp v1, v2, v1 row_mirror row_mask:0xf bank_mask:0xf bound_ctrl:1
	v_readlane_b32 s1, v1, 32
	s_cselect_b32 s1, s1, 0
	v_readlane_b32 s9, v1, 0
	s_or_b32 s1, s1, s9
	s_andn2_b32 s5, s5, 63
	s_cmp_lg_u32 s5, 64
	v_mov_b32_e32 v1, s1
	s_cbranch_scc0 .LBB133_47
; %bb.41:
	v_bfe_u32 v0, v0, 20, 10
	v_mbcnt_lo_u32_b32 v1, -1, 0
	v_mad_u32_u24 v0, v0, s4, v17
	v_mbcnt_hi_u32_b32 v2, -1, v1
	v_mad_u64_u32 v[0:1], s[4:5], v0, s3, v[16:17]
	v_lshrrev_b32_e32 v1, 6, v0
	v_or_b32_e32 v1, v2, v1
	v_cmp_eq_u32_e32 vcc, 0, v1
	s_and_saveexec_b64 s[4:5], vcc
	s_cbranch_execz .LBB133_43
; %bb.42:
	v_mov_b32_e32 v1, 0
	v_mov_b32_e32 v3, s1
	ds_write_b32 v1, v3
.LBB133_43:
	s_or_b64 exec, exec, s[4:5]
	v_cmp_eq_u32_e32 vcc, 0, v2
	v_cmp_lt_u32_e64 s[4:5], 63, v0
	s_and_b64 s[10:11], s[4:5], vcc
	s_waitcnt lgkmcnt(0)
	s_barrier
	s_and_saveexec_b64 s[4:5], s[10:11]
	s_cbranch_execz .LBB133_46
; %bb.44:
	v_mbcnt_lo_u32_b32 v0, exec_lo, 0
	v_mbcnt_hi_u32_b32 v0, exec_hi, v0
	v_cmp_eq_u32_e32 vcc, 0, v0
	s_and_b64 exec, exec, vcc
	s_cbranch_execz .LBB133_46
; %bb.45:
	v_mov_b32_e32 v0, 0
	v_mov_b32_e32 v1, s1
	ds_or_b32 v0, v1
.LBB133_46:
	s_or_b64 exec, exec, s[4:5]
	v_mov_b32_e32 v0, 0
	s_waitcnt lgkmcnt(0)
	s_barrier
	ds_read_b32 v1, v0
	s_waitcnt lgkmcnt(0)
	s_barrier
.LBB133_47:
	v_cmp_ne_u32_e32 vcc, 0, v1
	s_ashr_i32 s1, s8, 31
	s_ashr_i32 s3, s31, 31
	s_cbranch_vccz .LBB133_212
; %bb.48:
	v_lshlrev_b32_e32 v89, 6, v17
	v_add_u32_e32 v91, v89, v16
	v_cmp_le_i32_e32 vcc, s20, v91
	v_and_b32_e32 v90, 15, v16
                                        ; implicit-def: $sgpr9
	s_and_saveexec_b64 s[4:5], vcc
	s_xor_b64 s[4:5], exec, s[4:5]
; %bb.49:
	v_and_b32_e32 v90, 15, v16
	s_mov_b32 s9, 0
                                        ; implicit-def: $vgpr91
; %bb.50:
	s_or_saveexec_b64 s[4:5], s[4:5]
	s_lshl_b32 s6, s6, 6
	v_accvgpr_write_b32 a8, s9
	v_accvgpr_write_b32 a9, s9
	;; [unrolled: 1-line block ×16, first 2 shown]
	v_writelane_b32 v104, s4, 8
	v_writelane_b32 v104, s5, 9
	s_xor_b64 exec, exec, s[4:5]
	s_cbranch_execz .LBB133_197
; %bb.51:
	s_xor_b32 s1, s1, s3
	s_mul_i32 s3, s0, s42
	s_sub_i32 s2, s2, s3
	s_add_i32 s3, s0, 1
	s_sub_i32 s4, s2, s42
	s_cmp_ge_u32 s2, s42
	s_cselect_b32 s0, s3, s0
	s_cselect_b32 s2, s4, s2
	s_add_i32 s3, s0, 1
	s_cmp_ge_u32 s2, s42
	s_cselect_b32 s0, s3, s0
	s_xor_b32 s0, s0, s1
	s_sub_i32 s0, s0, s1
	s_mul_hi_i32 s1, s0, s16
	s_mul_i32 s0, s0, s16
	s_mul_i32 s2, s7, s28
	v_writelane_b32 v104, s44, 10
	s_ashr_i32 s3, s2, 31
	s_lshl_b64 s[0:1], s[0:1], 2
	v_writelane_b32 v104, s45, 11
	s_add_u32 s5, s36, s0
	v_writelane_b32 v104, s6, 12
	s_mul_i32 s4, s6, s23
	s_addc_u32 s6, s37, s1
	s_lshl_b64 s[2:3], s[2:3], 2
	s_add_u32 s7, s5, s2
	s_addc_u32 s6, s6, s3
	s_ashr_i32 s5, s4, 31
	s_lshl_b64 s[4:5], s[4:5], 2
	s_add_u32 s28, s7, s4
	s_addc_u32 s10, s6, s5
	s_movk_i32 s6, 0x1080
	v_mov_b32_e32 v92, 0x100
	v_writelane_b32 v104, s8, 13
	v_mad_u32_u24 v0, v17, s6, v92
	s_mul_hi_i32 s7, s17, s8
	v_writelane_b32 v104, s16, 14
	s_mul_i32 s6, s17, s8
	s_mul_hi_i32 s9, s24, s54
	s_mul_i32 s8, s24, s54
	s_lshl_b64 s[8:9], s[8:9], 3
	s_lshl_b64 s[6:7], s[6:7], 2
	s_add_u32 s6, s38, s6
	s_addc_u32 s7, s39, s7
	s_add_u32 s31, s6, s8
	s_addc_u32 s33, s7, s9
	s_cmp_lt_i32 s54, s21
	v_writelane_b32 v104, s17, 15
	s_cselect_b64 s[6:7], -1, 0
	s_add_i32 s8, s54, 1
	v_writelane_b32 v104, s18, 16
	s_cmp_lt_i32 s8, s21
	v_writelane_b32 v104, s19, 17
	s_cselect_b64 s[16:17], -1, 0
	s_add_i32 s8, s54, 2
	s_cmp_lt_i32 s8, s21
	s_cselect_b64 s[26:27], -1, 0
	s_lshl_b32 s8, s24, 2
	v_writelane_b32 v104, s8, 18
	s_add_i32 s8, s54, 3
	s_cmp_lt_i32 s8, s21
	s_cselect_b64 s[34:35], -1, 0
	s_add_i32 s8, s54, 4
	s_cmp_lt_i32 s8, s21
	s_cselect_b64 s[38:39], -1, 0
	s_lshl_b32 s8, s24, 3
	v_writelane_b32 v104, s8, 19
	s_add_i32 s8, s54, 5
	s_cmp_lt_i32 s8, s21
	s_cselect_b64 s[40:41], -1, 0
	s_add_i32 s8, s54, 6
	s_cmp_lt_i32 s8, s21
	s_mul_i32 s8, s24, 6
	s_cselect_b64 s[42:43], -1, 0
	v_writelane_b32 v104, s8, 20
	s_add_i32 s8, s54, 7
	s_cmp_lt_i32 s8, s21
	s_cselect_b64 s[44:45], -1, 0
	s_add_i32 s8, s54, 8
	s_cmp_lt_i32 s8, s21
	s_cselect_b64 s[46:47], -1, 0
	s_lshl_b32 s8, s24, 4
	v_writelane_b32 v104, s8, 21
	s_add_i32 s8, s54, 9
	s_cmp_lt_i32 s8, s21
	s_cselect_b64 s[48:49], -1, 0
	s_add_i32 s8, s54, 10
	s_cmp_lt_i32 s8, s21
	s_mul_i32 s8, s24, 10
	s_cselect_b64 s[50:51], -1, 0
	v_writelane_b32 v104, s8, 22
	s_add_i32 s8, s54, 11
	s_cmp_lt_i32 s8, s21
	s_cselect_b64 s[52:53], -1, 0
	s_add_i32 s8, s54, 12
	v_writelane_b32 v104, s54, 23
	s_cmp_lt_i32 s8, s21
	s_mul_i32 s8, s24, 12
	s_cselect_b64 s[54:55], -1, 0
	v_writelane_b32 v104, s8, 24
	s_ashr_i32 s9, s23, 31
	s_mov_b32 s8, s23
	s_lshl_b64 s[56:57], s[8:9], 2
	s_add_u32 s0, s0, s4
	v_lshrrev_b32_e32 v2, 1, v16
	s_addc_u32 s1, s1, s5
	v_mul_u32_u24_e32 v1, 0x108, v90
	v_and_b32_e32 v2, 0x1f8, v2
	s_add_u32 s0, s0, s2
	v_lshl_add_u32 v93, v16, 2, v0
	v_add3_u32 v94, v0, v1, v2
	v_lshlrev_b32_e32 v0, 1, v16
	s_addc_u32 s1, s1, s3
	v_lshl_add_u32 v95, v17, 7, v0
	v_lshlrev_b32_e32 v0, 2, v91
	s_add_u32 s0, s36, s0
	v_add_co_u32_e32 v18, vcc, s0, v0
	s_mul_i32 s0, s24, 24
	v_writelane_b32 v104, s0, 25
	s_mul_i32 s0, s24, 22
	v_writelane_b32 v104, s0, 26
	;; [unrolled: 2-line block ×4, first 2 shown]
	s_mul_i32 s0, s24, 14
	s_addc_u32 s1, s37, s1
	v_writelane_b32 v104, s0, 29
	s_lshl_b32 s0, s24, 1
	v_writelane_b32 v104, s0, 30
	s_mul_i32 s0, s23, 3
	v_writelane_b32 v104, s0, 31
	s_mul_i32 s0, s23, 5
	v_writelane_b32 v104, s0, 32
	s_mul_i32 s0, s23, 6
	v_writelane_b32 v104, s0, 33
	s_mul_i32 s0, s23, 7
	v_writelane_b32 v104, s0, 34
	s_mul_i32 s0, s23, 9
	v_writelane_b32 v104, s0, 35
	s_mul_i32 s0, s23, 10
	v_writelane_b32 v104, s0, 36
	s_mul_i32 s0, s23, 11
	v_mov_b32_e32 v1, s1
	v_writelane_b32 v104, s0, 37
	s_mul_i32 s0, s23, 12
	v_addc_co_u32_e32 v19, vcc, 0, v1, vcc
	s_lshl_b32 s68, s23, 1
	s_lshl_b32 s70, s23, 2
	;; [unrolled: 1-line block ×3, first 2 shown]
	v_writelane_b32 v104, s0, 38
	s_mul_i32 s79, s23, 13
	s_mul_i32 s80, s23, 14
	;; [unrolled: 1-line block ×3, first 2 shown]
	s_lshl_b32 s82, s23, 4
	v_mov_b32_e32 v96, s10
	s_mul_i32 s83, s23, 17
	v_mov_b32_e32 v97, 0
	v_accvgpr_write_b32 a15, 0
	v_accvgpr_write_b32 a14, 0
	;; [unrolled: 1-line block ×16, first 2 shown]
	v_mov_b32_e32 v98, s57
	s_mul_i32 s57, s23, 18
	s_mul_i32 s84, s23, 19
	;; [unrolled: 1-line block ×14, first 2 shown]
	s_lshl_b32 s11, s23, 5
	s_mul_i32 s19, s23, 33
	s_mul_i32 s18, s23, 34
	;; [unrolled: 1-line block ×31, first 2 shown]
	s_mov_b32 s76, 0x7f800000
	s_movk_i32 s77, 0x7fff
	s_mov_b32 s78, 0x7060302
	s_mov_b64 s[22:23], 0
	s_branch .LBB133_53
.LBB133_52:                             ;   in Loop: Header=BB133_53 Depth=1
	s_or_b64 exec, exec, s[36:37]
	v_perm_b32 v84, v84, v99, s78
	v_add_u32_e32 v85, 0xc00, v93
	ds_write2_b32 v85, v84, v97 offset0:40 offset1:106
	ds_write2_b32 v85, v97, v97 offset0:172 offset1:238
	ds_read2_b64 v[100:103], v94 offset0:8 offset1:12
	v_accvgpr_write_b32 a0, v0
	v_accvgpr_write_b32 a4, v4
	;; [unrolled: 1-line block ×16, first 2 shown]
	s_waitcnt lgkmcnt(0)
	v_mfma_f32_16x16x16bf16_1k a[0:3], v[34:35], v[100:101], a[0:3]
	ds_read2_b64 v[0:3], v94 offset0:16 offset1:20
	v_add_co_u32_e32 v18, vcc, 0x400, v18
	v_add_u32_e32 v91, 0x100, v91
	v_addc_co_u32_e32 v19, vcc, 0, v19, vcc
	v_cmp_le_i32_e32 vcc, s20, v91
	v_mfma_f32_16x16x16bf16_1k a[4:7], v[52:53], v[100:101], a[4:7]
	v_add_u32_e32 v95, 0x200, v95
	s_or_b64 s[22:23], vcc, s[22:23]
	v_mfma_f32_16x16x16bf16_1k a[8:11], v[66:67], v[100:101], a[8:11]
	v_mfma_f32_16x16x16bf16_1k a[12:15], v[82:83], v[100:101], a[12:15]
	;; [unrolled: 1-line block ×6, first 2 shown]
	s_waitcnt lgkmcnt(0)
	v_mfma_f32_16x16x16bf16_1k a[0:3], v[28:29], v[0:1], a[0:3]
	v_mfma_f32_16x16x16bf16_1k a[4:7], v[46:47], v[0:1], a[4:7]
	;; [unrolled: 1-line block ×8, first 2 shown]
	ds_read2_b64 v[0:3], v94 offset0:24 offset1:28
	s_waitcnt lgkmcnt(0)
	v_mfma_f32_16x16x16bf16_1k a[0:3], v[30:31], v[0:1], a[0:3]
	v_mfma_f32_16x16x16bf16_1k a[4:7], v[42:43], v[0:1], a[4:7]
	;; [unrolled: 1-line block ×8, first 2 shown]
	ds_read2_b64 v[0:3], v94 offset0:32 offset1:36
	s_waitcnt lgkmcnt(0)
	v_mfma_f32_16x16x16bf16_1k a[0:3], v[22:23], v[0:1], a[0:3]
	v_mfma_f32_16x16x16bf16_1k a[4:7], v[38:39], v[0:1], a[4:7]
	;; [unrolled: 1-line block ×8, first 2 shown]
	s_andn2_b64 exec, exec, s[22:23]
	s_cbranch_execz .LBB133_196
.LBB133_53:                             ; =>This Inner Loop Header: Depth=1
	v_add_co_u32_e32 v0, vcc, s56, v18
	v_addc_co_u32_e32 v1, vcc, v19, v98, vcc
	global_load_dword v20, v[18:19], off
	global_load_dword v21, v[0:1], off
	v_add_u32_e32 v0, s68, v91
	v_ashrrev_i32_e32 v1, 31, v0
	v_readlane_b32 s36, v104, 31
	v_lshlrev_b64 v[0:1], 2, v[0:1]
	v_add_u32_e32 v2, s36, v91
	v_add_co_u32_e32 v0, vcc, s28, v0
	v_ashrrev_i32_e32 v3, 31, v2
	v_addc_co_u32_e32 v1, vcc, v96, v1, vcc
	v_lshlrev_b64 v[2:3], 2, v[2:3]
	v_add_u32_e32 v4, s70, v91
	v_add_co_u32_e32 v2, vcc, s28, v2
	v_ashrrev_i32_e32 v5, 31, v4
	v_readlane_b32 s36, v104, 32
	v_addc_co_u32_e32 v3, vcc, v96, v3, vcc
	v_lshlrev_b64 v[4:5], 2, v[4:5]
	v_add_u32_e32 v6, s36, v91
	v_add_co_u32_e32 v4, vcc, s28, v4
	v_ashrrev_i32_e32 v7, 31, v6
	v_readlane_b32 s36, v104, 33
	;; [unrolled: 6-line block ×3, first 2 shown]
	v_addc_co_u32_e32 v7, vcc, v96, v7, vcc
	v_lshlrev_b64 v[8:9], 2, v[8:9]
	v_add_u32_e32 v10, s36, v91
	v_add_co_u32_e32 v8, vcc, s28, v8
	v_ashrrev_i32_e32 v11, 31, v10
	v_addc_co_u32_e32 v9, vcc, v96, v9, vcc
	v_lshlrev_b64 v[10:11], 2, v[10:11]
	v_add_u32_e32 v12, s74, v91
	v_add_co_u32_e32 v10, vcc, s28, v10
	v_ashrrev_i32_e32 v13, 31, v12
	v_readlane_b32 s36, v104, 35
	v_addc_co_u32_e32 v11, vcc, v96, v11, vcc
	v_lshlrev_b64 v[12:13], 2, v[12:13]
	v_add_u32_e32 v14, s36, v91
	v_add_co_u32_e32 v12, vcc, s28, v12
	v_ashrrev_i32_e32 v15, 31, v14
	v_addc_co_u32_e32 v13, vcc, v96, v13, vcc
	v_lshlrev_b64 v[14:15], 2, v[14:15]
	v_add_co_u32_e32 v14, vcc, s28, v14
	v_readlane_b32 s36, v104, 36
	v_addc_co_u32_e32 v15, vcc, v96, v15, vcc
	global_load_dword v22, v[0:1], off
	global_load_dword v23, v[2:3], off
	;; [unrolled: 1-line block ×6, first 2 shown]
	s_nop 0
	global_load_dword v12, v[12:13], off
	s_nop 0
	global_load_dword v13, v[14:15], off
	v_add_u32_e32 v0, s36, v91
	v_ashrrev_i32_e32 v1, 31, v0
	v_readlane_b32 s36, v104, 37
	v_lshlrev_b64 v[0:1], 2, v[0:1]
	v_add_u32_e32 v2, s36, v91
	v_add_co_u32_e32 v0, vcc, s28, v0
	v_ashrrev_i32_e32 v3, 31, v2
	v_readlane_b32 s36, v104, 38
	v_addc_co_u32_e32 v1, vcc, v96, v1, vcc
	v_lshlrev_b64 v[2:3], 2, v[2:3]
	v_add_u32_e32 v4, s36, v91
	v_add_co_u32_e32 v2, vcc, s28, v2
	v_ashrrev_i32_e32 v5, 31, v4
	v_addc_co_u32_e32 v3, vcc, v96, v3, vcc
	v_lshlrev_b64 v[4:5], 2, v[4:5]
	v_add_u32_e32 v6, s79, v91
	v_add_co_u32_e32 v4, vcc, s28, v4
	v_ashrrev_i32_e32 v7, 31, v6
	;; [unrolled: 5-line block ×4, first 2 shown]
	v_addc_co_u32_e32 v9, vcc, v96, v9, vcc
	v_lshlrev_b64 v[10:11], 2, v[10:11]
	v_add_co_u32_e32 v10, vcc, s28, v10
	v_addc_co_u32_e32 v11, vcc, v96, v11, vcc
	global_load_dword v14, v[0:1], off
	global_load_dword v15, v[2:3], off
	s_nop 0
	global_load_dword v4, v[4:5], off
	s_nop 0
	;; [unrolled: 2-line block ×3, first 2 shown]
	global_load_dword v6, v[8:9], off
	global_load_dword v7, v[10:11], off
	v_add_u32_e32 v0, s82, v91
	v_ashrrev_i32_e32 v1, 31, v0
	v_lshlrev_b64 v[0:1], 2, v[0:1]
	v_add_u32_e32 v2, s83, v91
	v_add_co_u32_e32 v0, vcc, s28, v0
	v_ashrrev_i32_e32 v3, 31, v2
	v_addc_co_u32_e32 v1, vcc, v96, v1, vcc
	v_lshlrev_b64 v[2:3], 2, v[2:3]
	s_waitcnt vmcnt(15)
	ds_write_b32 v93, v20 offset:64
	s_waitcnt vmcnt(14)
	ds_write_b32 v93, v21 offset:328
	;; [unrolled: 2-line block ×10, first 2 shown]
	v_add_co_u32_e32 v2, vcc, s28, v2
	v_addc_co_u32_e32 v3, vcc, v96, v3, vcc
	global_load_dword v0, v[0:1], off
	s_nop 0
	global_load_dword v1, v[2:3], off
	v_add_u32_e32 v2, s57, v91
	v_ashrrev_i32_e32 v3, 31, v2
	s_waitcnt vmcnt(7)
	ds_write_b32 v93, v14 offset:2704
	s_waitcnt vmcnt(6)
	ds_write_b32 v93, v15 offset:2968
	;; [unrolled: 2-line block ×6, first 2 shown]
	v_lshlrev_b64 v[2:3], 2, v[2:3]
	v_add_u32_e32 v4, s84, v91
	v_add_co_u32_e32 v2, vcc, s28, v2
	v_ashrrev_i32_e32 v5, 31, v4
	v_addc_co_u32_e32 v3, vcc, v96, v3, vcc
	v_lshlrev_b64 v[4:5], 2, v[4:5]
	v_add_u32_e32 v6, s85, v91
	v_add_co_u32_e32 v4, vcc, s28, v4
	v_ashrrev_i32_e32 v7, 31, v6
	v_addc_co_u32_e32 v5, vcc, v96, v5, vcc
	v_lshlrev_b64 v[6:7], 2, v[6:7]
	v_add_u32_e32 v8, s86, v91
	v_add_co_u32_e32 v6, vcc, s28, v6
	v_ashrrev_i32_e32 v9, 31, v8
	v_addc_co_u32_e32 v7, vcc, v96, v7, vcc
	v_lshlrev_b64 v[8:9], 2, v[8:9]
	v_add_u32_e32 v10, s87, v91
	v_add_co_u32_e32 v8, vcc, s28, v8
	v_ashrrev_i32_e32 v11, 31, v10
	v_addc_co_u32_e32 v9, vcc, v96, v9, vcc
	v_lshlrev_b64 v[10:11], 2, v[10:11]
	v_add_u32_e32 v12, s88, v91
	v_add_co_u32_e32 v10, vcc, s28, v10
	v_ashrrev_i32_e32 v13, 31, v12
	v_addc_co_u32_e32 v11, vcc, v96, v11, vcc
	v_lshlrev_b64 v[12:13], 2, v[12:13]
	v_add_u32_e32 v14, s89, v91
	v_add_co_u32_e32 v12, vcc, s28, v12
	v_ashrrev_i32_e32 v15, 31, v14
	v_addc_co_u32_e32 v13, vcc, v96, v13, vcc
	v_lshlrev_b64 v[14:15], 2, v[14:15]
	v_add_u32_e32 v20, s90, v91
	v_add_co_u32_e32 v14, vcc, s28, v14
	v_ashrrev_i32_e32 v21, 31, v20
	v_addc_co_u32_e32 v15, vcc, v96, v15, vcc
	v_lshlrev_b64 v[20:21], 2, v[20:21]
	v_add_co_u32_e32 v20, vcc, s28, v20
	v_addc_co_u32_e32 v21, vcc, v96, v21, vcc
	global_load_dword v36, v[2:3], off
	global_load_dword v37, v[4:5], off
	global_load_dword v38, v[6:7], off
	global_load_dword v39, v[8:9], off
	global_load_dword v40, v[10:11], off
	global_load_dword v41, v[12:13], off
	global_load_dword v42, v[14:15], off
	global_load_dword v43, v[20:21], off
	v_add_u32_e32 v2, s91, v91
	v_ashrrev_i32_e32 v3, 31, v2
	v_lshlrev_b64 v[2:3], 2, v[2:3]
	v_add_u32_e32 v4, s92, v91
	v_add_co_u32_e32 v2, vcc, s28, v2
	v_ashrrev_i32_e32 v5, 31, v4
	v_addc_co_u32_e32 v3, vcc, v96, v3, vcc
	v_lshlrev_b64 v[4:5], 2, v[4:5]
	v_add_u32_e32 v6, s93, v91
	v_add_co_u32_e32 v4, vcc, s28, v4
	v_ashrrev_i32_e32 v7, 31, v6
	v_addc_co_u32_e32 v5, vcc, v96, v5, vcc
	v_lshlrev_b64 v[6:7], 2, v[6:7]
	v_add_u32_e32 v8, s94, v91
	v_add_co_u32_e32 v6, vcc, s28, v6
	v_ashrrev_i32_e32 v9, 31, v8
	v_addc_co_u32_e32 v7, vcc, v96, v7, vcc
	v_lshlrev_b64 v[8:9], 2, v[8:9]
	v_add_u32_e32 v10, s95, v91
	v_add_co_u32_e32 v8, vcc, s28, v8
	v_ashrrev_i32_e32 v11, 31, v10
	v_addc_co_u32_e32 v9, vcc, v96, v9, vcc
	v_lshlrev_b64 v[10:11], 2, v[10:11]
	v_add_u32_e32 v12, s10, v91
	v_add_co_u32_e32 v10, vcc, s28, v10
	v_ashrrev_i32_e32 v13, 31, v12
	v_addc_co_u32_e32 v11, vcc, v96, v11, vcc
	v_lshlrev_b64 v[12:13], 2, v[12:13]
	v_add_u32_e32 v14, s11, v91
	v_add_co_u32_e32 v12, vcc, s28, v12
	v_ashrrev_i32_e32 v15, 31, v14
	v_addc_co_u32_e32 v13, vcc, v96, v13, vcc
	v_lshlrev_b64 v[14:15], 2, v[14:15]
	v_add_u32_e32 v20, s19, v91
	v_add_co_u32_e32 v14, vcc, s28, v14
	v_ashrrev_i32_e32 v21, 31, v20
	v_addc_co_u32_e32 v15, vcc, v96, v15, vcc
	v_lshlrev_b64 v[20:21], 2, v[20:21]
	v_add_co_u32_e32 v20, vcc, s28, v20
	v_addc_co_u32_e32 v21, vcc, v96, v21, vcc
	global_load_dword v44, v[2:3], off
	global_load_dword v45, v[4:5], off
	global_load_dword v46, v[6:7], off
	global_load_dword v47, v[8:9], off
	global_load_dword v48, v[10:11], off
	global_load_dword v49, v[12:13], off
	global_load_dword v54, v[14:15], off
	global_load_dword v55, v[20:21], off
	v_add_u32_e32 v2, s18, v91
	v_ashrrev_i32_e32 v3, 31, v2
	;; [unrolled: 48-line block ×5, first 2 shown]
	v_lshlrev_b64 v[2:3], 2, v[2:3]
	v_add_u32_e32 v4, s69, v91
	v_add_co_u32_e32 v2, vcc, s28, v2
	v_ashrrev_i32_e32 v5, 31, v4
	v_addc_co_u32_e32 v3, vcc, v96, v3, vcc
	v_lshlrev_b64 v[4:5], 2, v[4:5]
	v_add_u32_e32 v6, s71, v91
	v_add_co_u32_e32 v4, vcc, s28, v4
	v_ashrrev_i32_e32 v7, 31, v6
	v_addc_co_u32_e32 v5, vcc, v96, v5, vcc
	v_lshlrev_b64 v[6:7], 2, v[6:7]
	v_add_u32_e32 v8, s72, v91
	v_add_co_u32_e32 v6, vcc, s28, v6
	v_ashrrev_i32_e32 v9, 31, v8
	v_addc_co_u32_e32 v7, vcc, v96, v7, vcc
	v_lshlrev_b64 v[8:9], 2, v[8:9]
	v_add_u32_e32 v10, s73, v91
	v_add_co_u32_e32 v8, vcc, s28, v8
	v_ashrrev_i32_e32 v11, 31, v10
	v_addc_co_u32_e32 v9, vcc, v96, v9, vcc
	v_lshlrev_b64 v[10:11], 2, v[10:11]
	v_add_u32_e32 v12, s75, v91
	v_add_co_u32_e32 v10, vcc, s28, v10
	v_ashrrev_i32_e32 v13, 31, v12
	v_addc_co_u32_e32 v11, vcc, v96, v11, vcc
	v_lshlrev_b64 v[12:13], 2, v[12:13]
	v_add_co_u32_e32 v12, vcc, s28, v12
	v_addc_co_u32_e32 v13, vcc, v96, v13, vcc
	ds_read_b64 v[34:35], v94 offset:64
	ds_read_b64 v[32:33], v94 offset:96
	ds_read_b64 v[28:29], v94 offset:128
	ds_read_b64 v[24:25], v94 offset:160
	global_load_dword v80, v[2:3], off
	global_load_dword v81, v[4:5], off
	;; [unrolled: 1-line block ×6, first 2 shown]
	ds_read_b64 v[30:31], v94 offset:192
	ds_read_b64 v[26:27], v94 offset:224
	ds_read_b64 v[22:23], v94 offset:256
	ds_read_b64 v[20:21], v94 offset:288
	s_waitcnt vmcnt(47)
	ds_write_b32 v93, v0 offset:64
	s_waitcnt vmcnt(46)
	ds_write_b32 v93, v1 offset:328
	s_waitcnt vmcnt(45)
	ds_write_b32 v93, v36 offset:592
	s_waitcnt vmcnt(44)
	ds_write_b32 v93, v37 offset:856
	s_waitcnt vmcnt(43)
	ds_write_b32 v93, v38 offset:1120
	s_waitcnt vmcnt(42)
	ds_write_b32 v93, v39 offset:1384
	s_waitcnt vmcnt(41)
	ds_write_b32 v93, v40 offset:1648
	s_waitcnt vmcnt(40)
	ds_write_b32 v93, v41 offset:1912
	s_waitcnt vmcnt(39)
	ds_write_b32 v93, v42 offset:2176
	s_waitcnt vmcnt(38)
	ds_write_b32 v93, v43 offset:2440
	s_waitcnt vmcnt(37)
	ds_write_b32 v93, v44 offset:2704
	s_waitcnt vmcnt(36)
	ds_write_b32 v93, v45 offset:2968
	s_waitcnt vmcnt(35)
	ds_write_b32 v93, v46 offset:3232
	s_waitcnt vmcnt(34)
	ds_write_b32 v93, v47 offset:3496
	s_waitcnt vmcnt(33)
	ds_write_b32 v93, v48 offset:3760
	s_waitcnt vmcnt(32)
	ds_write_b32 v93, v49 offset:4024
	ds_read_b64 v[52:53], v94 offset:64
	ds_read_b64 v[50:51], v94 offset:96
	ds_read_b64 v[46:47], v94 offset:128
	ds_read_b64 v[44:45], v94 offset:160
	ds_read_b64 v[42:43], v94 offset:192
	ds_read_b64 v[40:41], v94 offset:224
	ds_read_b64 v[38:39], v94 offset:256
	ds_read_b64 v[36:37], v94 offset:288
	s_waitcnt vmcnt(31)
	ds_write_b32 v93, v54 offset:64
	s_waitcnt vmcnt(30)
	ds_write_b32 v93, v55 offset:328
	s_waitcnt vmcnt(29)
	ds_write_b32 v93, v56 offset:592
	s_waitcnt vmcnt(28)
	ds_write_b32 v93, v57 offset:856
	s_waitcnt vmcnt(27)
	ds_write_b32 v93, v58 offset:1120
	s_waitcnt vmcnt(26)
	ds_write_b32 v93, v59 offset:1384
	s_waitcnt vmcnt(25)
	ds_write_b32 v93, v60 offset:1648
	s_waitcnt vmcnt(24)
	ds_write_b32 v93, v61 offset:1912
	s_waitcnt vmcnt(23)
	ds_write_b32 v93, v62 offset:2176
	s_waitcnt vmcnt(22)
	ds_write_b32 v93, v63 offset:2440
	s_waitcnt vmcnt(21)
	ds_write_b32 v93, v64 offset:2704
	s_waitcnt vmcnt(20)
	ds_write_b32 v93, v65 offset:2968
	s_waitcnt vmcnt(19)
	ds_write_b32 v93, v66 offset:3232
	s_waitcnt vmcnt(18)
	ds_write_b32 v93, v67 offset:3496
	s_waitcnt vmcnt(17)
	ds_write_b32 v93, v68 offset:3760
	s_waitcnt vmcnt(16)
	ds_write_b32 v93, v69 offset:4024
	ds_read_b64 v[66:67], v94 offset:64
	ds_read_b64 v[64:65], v94 offset:96
	ds_read_b64 v[62:63], v94 offset:128
	ds_read_b64 v[60:61], v94 offset:160
	;; [unrolled: 40-line block ×3, first 2 shown]
	ds_read_b64 v[78:79], v94 offset:192
	ds_read_b64 v[74:75], v94 offset:224
	;; [unrolled: 1-line block ×4, first 2 shown]
	v_accvgpr_read_b32 v3, a15
	v_accvgpr_read_b32 v2, a14
	;; [unrolled: 1-line block ×16, first 2 shown]
	s_andn2_b64 vcc, exec, s[6:7]
	v_mov_b32_e32 v84, 0
	v_mov_b32_e32 v85, 0
	s_cbranch_vccnz .LBB133_56
; %bb.54:                               ;   in Loop: Header=BB133_53 Depth=1
	ds_read_b32 v99, v92
	v_mov_b32_e32 v85, 0
	v_mov_b32_e32 v84, 0
	s_waitcnt lgkmcnt(0)
	v_cmp_gt_i32_e32 vcc, 0, v99
	s_cbranch_vccnz .LBB133_56
; %bb.55:                               ;   in Loop: Header=BB133_53 Depth=1
	v_mul_lo_u32 v84, v99, s29
	v_add_u32_e32 v84, v95, v84
	v_ashrrev_i32_e32 v85, 31, v84
	v_lshlrev_b64 v[84:85], 2, v[84:85]
	v_mov_b32_e32 v99, s33
	v_add_co_u32_e32 v84, vcc, s31, v84
	v_addc_co_u32_e32 v85, vcc, v99, v85, vcc
	global_load_dwordx2 v[84:85], v[84:85], off
.LBB133_56:                             ;   in Loop: Header=BB133_53 Depth=1
	s_waitcnt vmcnt(0)
	v_and_b32_e32 v99, 0x7f800000, v84
	v_cmp_ne_u32_e32 vcc, s76, v99
                                        ; implicit-def: $vgpr99
	s_and_saveexec_b64 s[36:37], vcc
	s_xor_b64 s[36:37], exec, s[36:37]
; %bb.57:                               ;   in Loop: Header=BB133_53 Depth=1
	v_bfe_u32 v99, v84, 16, 1
	v_add3_u32 v99, v84, v99, s77
; %bb.58:                               ;   in Loop: Header=BB133_53 Depth=1
	s_andn2_saveexec_b64 s[36:37], s[36:37]
; %bb.59:                               ;   in Loop: Header=BB133_53 Depth=1
	v_or_b32_e32 v99, 0x10000, v84
	v_cmp_eq_u32_sdwa vcc, v84, v97 src0_sel:WORD_0 src1_sel:DWORD
	v_cndmask_b32_e32 v99, v99, v84, vcc
; %bb.60:                               ;   in Loop: Header=BB133_53 Depth=1
	s_or_b64 exec, exec, s[36:37]
	v_and_b32_e32 v84, 0x7f800000, v85
	v_cmp_ne_u32_e32 vcc, s76, v84
                                        ; implicit-def: $vgpr84
	s_and_saveexec_b64 s[36:37], vcc
	s_xor_b64 s[36:37], exec, s[36:37]
; %bb.61:                               ;   in Loop: Header=BB133_53 Depth=1
	v_bfe_u32 v84, v85, 16, 1
	v_add3_u32 v84, v85, v84, s77
                                        ; implicit-def: $vgpr85
; %bb.62:                               ;   in Loop: Header=BB133_53 Depth=1
	s_andn2_saveexec_b64 s[36:37], s[36:37]
; %bb.63:                               ;   in Loop: Header=BB133_53 Depth=1
	v_or_b32_e32 v84, 0x10000, v85
	v_cmp_eq_u32_sdwa vcc, v85, v97 src0_sel:WORD_0 src1_sel:DWORD
	v_cndmask_b32_e32 v84, v84, v85, vcc
; %bb.64:                               ;   in Loop: Header=BB133_53 Depth=1
	s_or_b64 exec, exec, s[36:37]
	v_perm_b32 v84, v84, v99, s78
	ds_write_b32 v93, v84 offset:64
	s_andn2_b64 vcc, exec, s[16:17]
	v_mov_b32_e32 v84, 0
	v_mov_b32_e32 v85, 0
	s_cbranch_vccnz .LBB133_67
; %bb.65:                               ;   in Loop: Header=BB133_53 Depth=1
	ds_read_b32 v99, v92 offset:4
	v_mov_b32_e32 v85, 0
	v_mov_b32_e32 v84, 0
	s_waitcnt lgkmcnt(0)
	v_cmp_gt_i32_e32 vcc, 0, v99
	s_cbranch_vccnz .LBB133_67
; %bb.66:                               ;   in Loop: Header=BB133_53 Depth=1
	v_mul_lo_u32 v84, v99, s29
	v_readlane_b32 s36, v104, 30
	v_add_u32_e32 v84, s36, v84
	v_add_u32_e32 v84, v84, v95
	v_ashrrev_i32_e32 v85, 31, v84
	v_lshlrev_b64 v[84:85], 2, v[84:85]
	v_mov_b32_e32 v99, s33
	v_add_co_u32_e32 v84, vcc, s31, v84
	v_addc_co_u32_e32 v85, vcc, v99, v85, vcc
	global_load_dwordx2 v[84:85], v[84:85], off
.LBB133_67:                             ;   in Loop: Header=BB133_53 Depth=1
	s_waitcnt vmcnt(0)
	v_and_b32_e32 v99, 0x7f800000, v84
	v_cmp_ne_u32_e32 vcc, s76, v99
                                        ; implicit-def: $vgpr99
	s_and_saveexec_b64 s[36:37], vcc
	s_xor_b64 s[36:37], exec, s[36:37]
; %bb.68:                               ;   in Loop: Header=BB133_53 Depth=1
	v_bfe_u32 v99, v84, 16, 1
	v_add3_u32 v99, v84, v99, s77
; %bb.69:                               ;   in Loop: Header=BB133_53 Depth=1
	s_andn2_saveexec_b64 s[36:37], s[36:37]
; %bb.70:                               ;   in Loop: Header=BB133_53 Depth=1
	v_or_b32_e32 v99, 0x10000, v84
	v_cmp_eq_u32_sdwa vcc, v84, v97 src0_sel:WORD_0 src1_sel:DWORD
	v_cndmask_b32_e32 v99, v99, v84, vcc
; %bb.71:                               ;   in Loop: Header=BB133_53 Depth=1
	s_or_b64 exec, exec, s[36:37]
	v_and_b32_e32 v84, 0x7f800000, v85
	v_cmp_ne_u32_e32 vcc, s76, v84
                                        ; implicit-def: $vgpr84
	s_and_saveexec_b64 s[36:37], vcc
	s_xor_b64 s[36:37], exec, s[36:37]
; %bb.72:                               ;   in Loop: Header=BB133_53 Depth=1
	v_bfe_u32 v84, v85, 16, 1
	v_add3_u32 v84, v85, v84, s77
                                        ; implicit-def: $vgpr85
; %bb.73:                               ;   in Loop: Header=BB133_53 Depth=1
	s_andn2_saveexec_b64 s[36:37], s[36:37]
; %bb.74:                               ;   in Loop: Header=BB133_53 Depth=1
	v_or_b32_e32 v84, 0x10000, v85
	v_cmp_eq_u32_sdwa vcc, v85, v97 src0_sel:WORD_0 src1_sel:DWORD
	v_cndmask_b32_e32 v84, v84, v85, vcc
; %bb.75:                               ;   in Loop: Header=BB133_53 Depth=1
	s_or_b64 exec, exec, s[36:37]
	v_perm_b32 v84, v84, v99, s78
	ds_write_b32 v93, v84 offset:328
	s_andn2_b64 vcc, exec, s[26:27]
	v_mov_b32_e32 v84, 0
	v_mov_b32_e32 v85, 0
	s_cbranch_vccnz .LBB133_78
; %bb.76:                               ;   in Loop: Header=BB133_53 Depth=1
	ds_read_b32 v99, v92 offset:8
	v_mov_b32_e32 v85, 0
	v_mov_b32_e32 v84, 0
	s_waitcnt lgkmcnt(0)
	v_cmp_gt_i32_e32 vcc, 0, v99
	s_cbranch_vccnz .LBB133_78
; %bb.77:                               ;   in Loop: Header=BB133_53 Depth=1
	v_mul_lo_u32 v84, v99, s29
	v_readlane_b32 s36, v104, 18
	v_add_u32_e32 v84, s36, v84
	v_add_u32_e32 v84, v84, v95
	v_ashrrev_i32_e32 v85, 31, v84
	v_lshlrev_b64 v[84:85], 2, v[84:85]
	v_mov_b32_e32 v99, s33
	v_add_co_u32_e32 v84, vcc, s31, v84
	v_addc_co_u32_e32 v85, vcc, v99, v85, vcc
	global_load_dwordx2 v[84:85], v[84:85], off
.LBB133_78:                             ;   in Loop: Header=BB133_53 Depth=1
	;; [unrolled: 59-line block ×3, first 2 shown]
	s_waitcnt vmcnt(0)
	v_and_b32_e32 v99, 0x7f800000, v84
	v_cmp_ne_u32_e32 vcc, s76, v99
                                        ; implicit-def: $vgpr99
	s_and_saveexec_b64 s[36:37], vcc
	s_xor_b64 s[36:37], exec, s[36:37]
; %bb.90:                               ;   in Loop: Header=BB133_53 Depth=1
	v_bfe_u32 v99, v84, 16, 1
	v_add3_u32 v99, v84, v99, s77
; %bb.91:                               ;   in Loop: Header=BB133_53 Depth=1
	s_andn2_saveexec_b64 s[36:37], s[36:37]
; %bb.92:                               ;   in Loop: Header=BB133_53 Depth=1
	v_or_b32_e32 v99, 0x10000, v84
	v_cmp_eq_u32_sdwa vcc, v84, v97 src0_sel:WORD_0 src1_sel:DWORD
	v_cndmask_b32_e32 v99, v99, v84, vcc
; %bb.93:                               ;   in Loop: Header=BB133_53 Depth=1
	s_or_b64 exec, exec, s[36:37]
	v_and_b32_e32 v84, 0x7f800000, v85
	v_cmp_ne_u32_e32 vcc, s76, v84
                                        ; implicit-def: $vgpr84
	s_and_saveexec_b64 s[36:37], vcc
	s_xor_b64 s[36:37], exec, s[36:37]
; %bb.94:                               ;   in Loop: Header=BB133_53 Depth=1
	v_bfe_u32 v84, v85, 16, 1
	v_add3_u32 v84, v85, v84, s77
                                        ; implicit-def: $vgpr85
; %bb.95:                               ;   in Loop: Header=BB133_53 Depth=1
	s_andn2_saveexec_b64 s[36:37], s[36:37]
; %bb.96:                               ;   in Loop: Header=BB133_53 Depth=1
	v_or_b32_e32 v84, 0x10000, v85
	v_cmp_eq_u32_sdwa vcc, v85, v97 src0_sel:WORD_0 src1_sel:DWORD
	v_cndmask_b32_e32 v84, v84, v85, vcc
; %bb.97:                               ;   in Loop: Header=BB133_53 Depth=1
	s_or_b64 exec, exec, s[36:37]
	v_perm_b32 v84, v84, v99, s78
	ds_write_b32 v93, v84 offset:856
	s_andn2_b64 vcc, exec, s[38:39]
	v_mov_b32_e32 v84, 0
	v_mov_b32_e32 v85, 0
	s_cbranch_vccnz .LBB133_100
; %bb.98:                               ;   in Loop: Header=BB133_53 Depth=1
	ds_read_b32 v99, v92 offset:16
	v_mov_b32_e32 v85, 0
	v_mov_b32_e32 v84, 0
	s_waitcnt lgkmcnt(0)
	v_cmp_gt_i32_e32 vcc, 0, v99
	s_cbranch_vccnz .LBB133_100
; %bb.99:                               ;   in Loop: Header=BB133_53 Depth=1
	v_mul_lo_u32 v84, v99, s29
	v_readlane_b32 s36, v104, 19
	v_add_u32_e32 v84, s36, v84
	v_add_u32_e32 v84, v84, v95
	v_ashrrev_i32_e32 v85, 31, v84
	v_lshlrev_b64 v[84:85], 2, v[84:85]
	v_mov_b32_e32 v99, s33
	v_add_co_u32_e32 v84, vcc, s31, v84
	v_addc_co_u32_e32 v85, vcc, v99, v85, vcc
	global_load_dwordx2 v[84:85], v[84:85], off
.LBB133_100:                            ;   in Loop: Header=BB133_53 Depth=1
	s_waitcnt vmcnt(0)
	v_and_b32_e32 v99, 0x7f800000, v84
	v_cmp_ne_u32_e32 vcc, s76, v99
                                        ; implicit-def: $vgpr99
	s_and_saveexec_b64 s[36:37], vcc
	s_xor_b64 s[36:37], exec, s[36:37]
; %bb.101:                              ;   in Loop: Header=BB133_53 Depth=1
	v_bfe_u32 v99, v84, 16, 1
	v_add3_u32 v99, v84, v99, s77
; %bb.102:                              ;   in Loop: Header=BB133_53 Depth=1
	s_andn2_saveexec_b64 s[36:37], s[36:37]
; %bb.103:                              ;   in Loop: Header=BB133_53 Depth=1
	v_or_b32_e32 v99, 0x10000, v84
	v_cmp_eq_u32_sdwa vcc, v84, v97 src0_sel:WORD_0 src1_sel:DWORD
	v_cndmask_b32_e32 v99, v99, v84, vcc
; %bb.104:                              ;   in Loop: Header=BB133_53 Depth=1
	s_or_b64 exec, exec, s[36:37]
	v_and_b32_e32 v84, 0x7f800000, v85
	v_cmp_ne_u32_e32 vcc, s76, v84
                                        ; implicit-def: $vgpr84
	s_and_saveexec_b64 s[36:37], vcc
	s_xor_b64 s[36:37], exec, s[36:37]
; %bb.105:                              ;   in Loop: Header=BB133_53 Depth=1
	v_bfe_u32 v84, v85, 16, 1
	v_add3_u32 v84, v85, v84, s77
                                        ; implicit-def: $vgpr85
; %bb.106:                              ;   in Loop: Header=BB133_53 Depth=1
	s_andn2_saveexec_b64 s[36:37], s[36:37]
; %bb.107:                              ;   in Loop: Header=BB133_53 Depth=1
	v_or_b32_e32 v84, 0x10000, v85
	v_cmp_eq_u32_sdwa vcc, v85, v97 src0_sel:WORD_0 src1_sel:DWORD
	v_cndmask_b32_e32 v84, v84, v85, vcc
; %bb.108:                              ;   in Loop: Header=BB133_53 Depth=1
	s_or_b64 exec, exec, s[36:37]
	v_perm_b32 v84, v84, v99, s78
	ds_write_b32 v93, v84 offset:1120
	s_andn2_b64 vcc, exec, s[40:41]
	v_mov_b32_e32 v84, 0
	v_mov_b32_e32 v85, 0
	s_cbranch_vccnz .LBB133_111
; %bb.109:                              ;   in Loop: Header=BB133_53 Depth=1
	ds_read_b32 v99, v92 offset:20
	v_mov_b32_e32 v85, 0
	v_mov_b32_e32 v84, 0
	s_waitcnt lgkmcnt(0)
	v_cmp_gt_i32_e32 vcc, 0, v99
	s_cbranch_vccnz .LBB133_111
; %bb.110:                              ;   in Loop: Header=BB133_53 Depth=1
	v_mul_lo_u32 v84, v99, s29
	v_readlane_b32 s36, v104, 22
	v_add_u32_e32 v84, s36, v84
	v_add_u32_e32 v84, v84, v95
	v_ashrrev_i32_e32 v85, 31, v84
	v_lshlrev_b64 v[84:85], 2, v[84:85]
	v_mov_b32_e32 v99, s33
	v_add_co_u32_e32 v84, vcc, s31, v84
	v_addc_co_u32_e32 v85, vcc, v99, v85, vcc
	global_load_dwordx2 v[84:85], v[84:85], off
.LBB133_111:                            ;   in Loop: Header=BB133_53 Depth=1
	s_waitcnt vmcnt(0)
	v_and_b32_e32 v99, 0x7f800000, v84
	v_cmp_ne_u32_e32 vcc, s76, v99
                                        ; implicit-def: $vgpr99
	s_and_saveexec_b64 s[36:37], vcc
	s_xor_b64 s[36:37], exec, s[36:37]
; %bb.112:                              ;   in Loop: Header=BB133_53 Depth=1
	v_bfe_u32 v99, v84, 16, 1
	v_add3_u32 v99, v84, v99, s77
; %bb.113:                              ;   in Loop: Header=BB133_53 Depth=1
	s_andn2_saveexec_b64 s[36:37], s[36:37]
; %bb.114:                              ;   in Loop: Header=BB133_53 Depth=1
	v_or_b32_e32 v99, 0x10000, v84
	v_cmp_eq_u32_sdwa vcc, v84, v97 src0_sel:WORD_0 src1_sel:DWORD
	v_cndmask_b32_e32 v99, v99, v84, vcc
; %bb.115:                              ;   in Loop: Header=BB133_53 Depth=1
	s_or_b64 exec, exec, s[36:37]
	v_and_b32_e32 v84, 0x7f800000, v85
	v_cmp_ne_u32_e32 vcc, s76, v84
                                        ; implicit-def: $vgpr84
	s_and_saveexec_b64 s[36:37], vcc
	s_xor_b64 s[36:37], exec, s[36:37]
; %bb.116:                              ;   in Loop: Header=BB133_53 Depth=1
	v_bfe_u32 v84, v85, 16, 1
	v_add3_u32 v84, v85, v84, s77
                                        ; implicit-def: $vgpr85
; %bb.117:                              ;   in Loop: Header=BB133_53 Depth=1
	s_andn2_saveexec_b64 s[36:37], s[36:37]
; %bb.118:                              ;   in Loop: Header=BB133_53 Depth=1
	v_or_b32_e32 v84, 0x10000, v85
	v_cmp_eq_u32_sdwa vcc, v85, v97 src0_sel:WORD_0 src1_sel:DWORD
	v_cndmask_b32_e32 v84, v84, v85, vcc
; %bb.119:                              ;   in Loop: Header=BB133_53 Depth=1
	s_or_b64 exec, exec, s[36:37]
	v_perm_b32 v84, v84, v99, s78
	ds_write_b32 v93, v84 offset:1384
	s_andn2_b64 vcc, exec, s[42:43]
	v_mov_b32_e32 v84, 0
	v_mov_b32_e32 v85, 0
	s_cbranch_vccnz .LBB133_122
; %bb.120:                              ;   in Loop: Header=BB133_53 Depth=1
	ds_read_b32 v99, v92 offset:24
	v_mov_b32_e32 v85, 0
	v_mov_b32_e32 v84, 0
	s_waitcnt lgkmcnt(0)
	v_cmp_gt_i32_e32 vcc, 0, v99
	s_cbranch_vccnz .LBB133_122
; %bb.121:                              ;   in Loop: Header=BB133_53 Depth=1
	v_mul_lo_u32 v84, v99, s29
	v_readlane_b32 s36, v104, 24
	v_add_u32_e32 v84, s36, v84
	v_add_u32_e32 v84, v84, v95
	v_ashrrev_i32_e32 v85, 31, v84
	v_lshlrev_b64 v[84:85], 2, v[84:85]
	v_mov_b32_e32 v99, s33
	v_add_co_u32_e32 v84, vcc, s31, v84
	v_addc_co_u32_e32 v85, vcc, v99, v85, vcc
	global_load_dwordx2 v[84:85], v[84:85], off
.LBB133_122:                            ;   in Loop: Header=BB133_53 Depth=1
	;; [unrolled: 59-line block ×8, first 2 shown]
	s_waitcnt vmcnt(0)
	v_and_b32_e32 v99, 0x7f800000, v84
	v_cmp_ne_u32_e32 vcc, s76, v99
                                        ; implicit-def: $vgpr99
	s_and_saveexec_b64 s[36:37], vcc
	s_xor_b64 s[36:37], exec, s[36:37]
; %bb.189:                              ;   in Loop: Header=BB133_53 Depth=1
	v_bfe_u32 v99, v84, 16, 1
	v_add3_u32 v99, v84, v99, s77
; %bb.190:                              ;   in Loop: Header=BB133_53 Depth=1
	s_andn2_saveexec_b64 s[36:37], s[36:37]
; %bb.191:                              ;   in Loop: Header=BB133_53 Depth=1
	v_or_b32_e32 v99, 0x10000, v84
	v_cmp_eq_u32_sdwa vcc, v84, v97 src0_sel:WORD_0 src1_sel:DWORD
	v_cndmask_b32_e32 v99, v99, v84, vcc
; %bb.192:                              ;   in Loop: Header=BB133_53 Depth=1
	s_or_b64 exec, exec, s[36:37]
	v_and_b32_e32 v84, 0x7f800000, v85
	v_cmp_ne_u32_e32 vcc, s76, v84
                                        ; implicit-def: $vgpr84
	s_and_saveexec_b64 s[36:37], vcc
	s_xor_b64 s[36:37], exec, s[36:37]
; %bb.193:                              ;   in Loop: Header=BB133_53 Depth=1
	v_bfe_u32 v84, v85, 16, 1
	v_add3_u32 v84, v85, v84, s77
                                        ; implicit-def: $vgpr85
; %bb.194:                              ;   in Loop: Header=BB133_53 Depth=1
	s_andn2_saveexec_b64 s[36:37], s[36:37]
	s_cbranch_execz .LBB133_52
; %bb.195:                              ;   in Loop: Header=BB133_53 Depth=1
	v_or_b32_e32 v84, 0x10000, v85
	v_cmp_eq_u32_sdwa vcc, v85, v97 src0_sel:WORD_0 src1_sel:DWORD
	v_cndmask_b32_e32 v84, v84, v85, vcc
	s_branch .LBB133_52
.LBB133_196:
	s_or_b64 exec, exec, s[22:23]
	v_readlane_b32 s44, v104, 10
	v_readlane_b32 s16, v104, 14
	;; [unrolled: 1-line block ×9, first 2 shown]
.LBB133_197:
	v_readlane_b32 s0, v104, 8
	v_readlane_b32 s1, v104, 9
	s_or_b64 exec, exec, s[0:1]
	v_mul_u32_u24_e32 v0, 0x408, v90
	s_movk_i32 s1, 0x100
	v_lshlrev_b32_e32 v1, 2, v89
	v_add3_u32 v0, s1, v0, v1
	v_and_b32_e32 v2, 0x3f0, v16
	v_add_u32_e32 v3, v0, v2
	s_barrier
	ds_write2_b32 v3, a12, a13 offset0:16 offset1:17
	v_or_b32_e32 v3, 12, v16
	v_add_u32_e32 v1, 64, v0
	v_and_b32_e32 v3, 0x3fc, v3
	v_add_u32_e32 v2, v1, v2
	v_add_u32_e32 v0, v0, v3
	v_mov_b32_e32 v4, 0x100
	s_movk_i32 s0, 0x408
	ds_write_b32 v2, a14 offset:8
	ds_write_b32 v0, a15 offset:64
	ds_write2_b32 v2, a4, a5 offset0:16 offset1:17
	ds_write_b32 v2, a6 offset:72
	v_add_u32_e32 v0, v1, v3
	v_lshl_add_u32 v5, v16, 2, v4
	ds_write_b32 v0, a7 offset:64
	ds_write2_b32 v2, a0, a1 offset0:32 offset1:33
	ds_write_b32 v2, a2 offset:136
	ds_write_b32 v0, a3 offset:128
	ds_write2_b32 v2, a8, a9 offset0:48 offset1:49
	ds_write_b32 v2, a10 offset:200
	ds_write_b32 v0, a11 offset:192
	v_mad_u32_u24 v0, v17, s0, v5
	s_waitcnt lgkmcnt(0)
	s_barrier
	ds_read2_b32 v[2:3], v0 offset0:16 offset1:80
	ds_read2_b32 v[0:1], v0 offset0:144 offset1:208
	v_cmp_gt_u32_e32 vcc, 13, v17
	v_mov_b32_e32 v7, -1
	s_and_saveexec_b64 s[4:5], vcc
	s_cbranch_execz .LBB133_199
; %bb.198:
	v_lshl_add_u32 v4, v17, 2, v4
	ds_read_b32 v7, v4
.LBB133_199:
	s_or_b64 exec, exec, s[4:5]
	s_mul_hi_i32 s1, s18, s8
	s_mul_i32 s0, s18, s8
	s_lshl_b64 s[0:1], s[0:1], 2
	v_readlane_b32 s4, v104, 6
	s_mul_hi_i32 s3, s54, s25
	s_mul_i32 s2, s54, s25
	v_readlane_b32 s5, v104, 7
	s_add_u32 s4, s4, s0
	s_addc_u32 s5, s5, s1
	s_lshl_b64 s[0:1], s[2:3], 2
	s_add_u32 s2, s4, s0
	s_waitcnt lgkmcnt(0)
	v_cmp_lt_i32_e32 vcc, -1, v7
	v_mul_u32_u24_e32 v6, 0x408, v17
	v_add_u32_e32 v4, s6, v16
	s_addc_u32 s3, s5, s1
	s_and_b64 s[4:5], vcc, s[44:45]
	s_and_saveexec_b64 s[0:1], s[4:5]
	s_cbranch_execz .LBB133_201
; %bb.200:
	v_add_f32_e32 v2, 0, v2
	v_add_f32_e32 v2, v2, v3
	;; [unrolled: 1-line block ×4, first 2 shown]
	v_mul_lo_u32 v0, v7, s30
	v_mul_lo_u32 v1, v17, s25
	v_add3_u32 v0, v4, v1, v0
	v_mov_b32_e32 v1, 0
	v_lshlrev_b64 v[0:1], 2, v[0:1]
	v_mov_b32_e32 v3, s3
	v_add_co_u32_e32 v0, vcc, s2, v0
	v_addc_co_u32_e32 v1, vcc, v3, v1, vcc
	global_store_dword v[0:1], v2, off
.LBB133_201:
	s_or_b64 exec, exec, s[0:1]
	v_add_u32_e32 v5, v6, v5
	v_add_u32_e32 v0, 0x60, v5
	ds_read2st64_b32 v[2:3], v0 offset0:16 offset1:17
	ds_read2st64_b32 v[0:1], v0 offset0:18 offset1:19
	v_cmp_gt_u32_e32 vcc, 9, v17
	v_mov_b32_e32 v6, -1
	s_and_saveexec_b64 s[0:1], vcc
	s_cbranch_execz .LBB133_203
; %bb.202:
	v_mov_b32_e32 v6, 0x100
	v_lshl_add_u32 v6, v17, 2, v6
	ds_read_b32 v6, v6 offset:16
.LBB133_203:
	s_or_b64 exec, exec, s[0:1]
	v_readlane_b32 s0, v104, 0
	s_waitcnt lgkmcnt(0)
	v_cmp_lt_i32_e32 vcc, -1, v6
	v_readlane_b32 s1, v104, 1
	s_and_b64 s[4:5], vcc, s[0:1]
	s_and_saveexec_b64 s[0:1], s[4:5]
	s_cbranch_execz .LBB133_205
; %bb.204:
	v_add_f32_e32 v2, 0, v2
	v_add_f32_e32 v2, v2, v3
	;; [unrolled: 1-line block ×4, first 2 shown]
	v_mul_lo_u32 v0, v6, s30
	v_mul_lo_u32 v1, v86, s25
	v_add3_u32 v0, v4, v1, v0
	v_mov_b32_e32 v1, 0
	v_lshlrev_b64 v[0:1], 2, v[0:1]
	v_mov_b32_e32 v3, s3
	v_add_co_u32_e32 v0, vcc, s2, v0
	v_addc_co_u32_e32 v1, vcc, v3, v1, vcc
	global_store_dword v[0:1], v2, off
.LBB133_205:
	s_or_b64 exec, exec, s[0:1]
	v_add_u32_e32 v0, 0x80, v5
	ds_read2st64_b32 v[2:3], v0 offset0:32 offset1:33
	ds_read2st64_b32 v[0:1], v0 offset0:34 offset1:35
	v_cmp_gt_u32_e32 vcc, 5, v17
	v_mov_b32_e32 v6, -1
	s_and_saveexec_b64 s[0:1], vcc
	s_cbranch_execz .LBB133_207
; %bb.206:
	v_mov_b32_e32 v6, 0x100
	v_lshl_add_u32 v6, v17, 2, v6
	ds_read_b32 v6, v6 offset:32
.LBB133_207:
	s_or_b64 exec, exec, s[0:1]
	v_readlane_b32 s0, v104, 2
	s_waitcnt lgkmcnt(0)
	v_cmp_lt_i32_e32 vcc, -1, v6
	v_readlane_b32 s1, v104, 3
	s_and_b64 s[4:5], vcc, s[0:1]
	s_and_saveexec_b64 s[0:1], s[4:5]
	s_cbranch_execz .LBB133_209
; %bb.208:
	v_add_f32_e32 v2, 0, v2
	v_add_f32_e32 v2, v2, v3
	;; [unrolled: 1-line block ×4, first 2 shown]
	v_mul_lo_u32 v0, v6, s30
	v_mul_lo_u32 v1, v87, s25
	v_add3_u32 v0, v4, v1, v0
	v_mov_b32_e32 v1, 0
	v_lshlrev_b64 v[0:1], 2, v[0:1]
	v_mov_b32_e32 v3, s3
	v_add_co_u32_e32 v0, vcc, s2, v0
	v_addc_co_u32_e32 v1, vcc, v3, v1, vcc
	global_store_dword v[0:1], v2, off
.LBB133_209:
	s_or_b64 exec, exec, s[0:1]
	v_cmp_eq_u32_e32 vcc, 0, v17
	s_and_saveexec_b64 s[0:1], vcc
	s_cbranch_execz .LBB133_212
; %bb.210:
	v_mov_b32_e32 v0, 0x100
	ds_read_b32 v0, v0 offset:48
	v_readlane_b32 s4, v104, 4
	v_readlane_b32 s5, v104, 5
	s_waitcnt lgkmcnt(0)
	v_readfirstlane_b32 s0, v0
	s_cmp_gt_i32 s0, -1
	s_cselect_b64 s[0:1], -1, 0
	s_and_b64 s[0:1], s[0:1], s[4:5]
	s_and_b64 exec, exec, s[0:1]
	s_cbranch_execz .LBB133_212
; %bb.211:
	v_add_u32_e32 v1, 0xa0, v5
	ds_read2st64_b32 v[2:3], v1 offset0:48 offset1:49
	v_mul_lo_u32 v5, v0, s30
	ds_read2st64_b32 v[0:1], v1 offset0:50 offset1:51
	v_mul_lo_u32 v6, v88, s25
	v_add3_u32 v4, v4, v6, v5
	s_waitcnt lgkmcnt(1)
	v_add_f32_e32 v2, 0, v2
	v_add_f32_e32 v2, v2, v3
	s_waitcnt lgkmcnt(0)
	v_add_f32_e32 v0, v2, v0
	v_mov_b32_e32 v5, 0
	v_add_f32_e32 v2, v0, v1
	v_lshlrev_b64 v[0:1], 2, v[4:5]
	v_mov_b32_e32 v3, s3
	v_add_co_u32_e32 v0, vcc, s2, v0
	v_addc_co_u32_e32 v1, vcc, v3, v1, vcc
	global_store_dword v[0:1], v2, off
.LBB133_212:
	s_endpgm
	.section	.rodata,"a",@progbits
	.p2align	6, 0x0
	.amdhsa_kernel _ZL9mul_mat_fI15__hip_bfloat162Li64ELi13ELi4ELb1EEvPKT_PKfPKiPfiiiiiiiiiiiiiiii
		.amdhsa_group_segment_fixed_size 256
		.amdhsa_private_segment_fixed_size 0
		.amdhsa_kernarg_size 352
		.amdhsa_user_sgpr_count 6
		.amdhsa_user_sgpr_private_segment_buffer 1
		.amdhsa_user_sgpr_dispatch_ptr 0
		.amdhsa_user_sgpr_queue_ptr 0
		.amdhsa_user_sgpr_kernarg_segment_ptr 1
		.amdhsa_user_sgpr_dispatch_id 0
		.amdhsa_user_sgpr_flat_scratch_init 0
		.amdhsa_user_sgpr_kernarg_preload_length 0
		.amdhsa_user_sgpr_kernarg_preload_offset 0
		.amdhsa_user_sgpr_private_segment_size 0
		.amdhsa_uses_dynamic_stack 0
		.amdhsa_system_sgpr_private_segment_wavefront_offset 0
		.amdhsa_system_sgpr_workgroup_id_x 1
		.amdhsa_system_sgpr_workgroup_id_y 1
		.amdhsa_system_sgpr_workgroup_id_z 1
		.amdhsa_system_sgpr_workgroup_info 0
		.amdhsa_system_vgpr_workitem_id 2
		.amdhsa_next_free_vgpr 128
		.amdhsa_next_free_sgpr 96
		.amdhsa_accum_offset 108
		.amdhsa_reserve_vcc 1
		.amdhsa_reserve_flat_scratch 0
		.amdhsa_float_round_mode_32 0
		.amdhsa_float_round_mode_16_64 0
		.amdhsa_float_denorm_mode_32 3
		.amdhsa_float_denorm_mode_16_64 3
		.amdhsa_dx10_clamp 1
		.amdhsa_ieee_mode 1
		.amdhsa_fp16_overflow 0
		.amdhsa_tg_split 0
		.amdhsa_exception_fp_ieee_invalid_op 0
		.amdhsa_exception_fp_denorm_src 0
		.amdhsa_exception_fp_ieee_div_zero 0
		.amdhsa_exception_fp_ieee_overflow 0
		.amdhsa_exception_fp_ieee_underflow 0
		.amdhsa_exception_fp_ieee_inexact 0
		.amdhsa_exception_int_div_zero 0
	.end_amdhsa_kernel
	.section	.text._ZL9mul_mat_fI15__hip_bfloat162Li64ELi13ELi4ELb1EEvPKT_PKfPKiPfiiiiiiiiiiiiiiii,"axG",@progbits,_ZL9mul_mat_fI15__hip_bfloat162Li64ELi13ELi4ELb1EEvPKT_PKfPKiPfiiiiiiiiiiiiiiii,comdat
.Lfunc_end133:
	.size	_ZL9mul_mat_fI15__hip_bfloat162Li64ELi13ELi4ELb1EEvPKT_PKfPKiPfiiiiiiiiiiiiiiii, .Lfunc_end133-_ZL9mul_mat_fI15__hip_bfloat162Li64ELi13ELi4ELb1EEvPKT_PKfPKiPfiiiiiiiiiiiiiiii
                                        ; -- End function
	.section	.AMDGPU.csdata,"",@progbits
; Kernel info:
; codeLenInByte = 11304
; NumSgprs: 100
; NumVgprs: 105
; NumAgprs: 20
; TotalNumVgprs: 128
; ScratchSize: 0
; MemoryBound: 0
; FloatMode: 240
; IeeeMode: 1
; LDSByteSize: 256 bytes/workgroup (compile time only)
; SGPRBlocks: 12
; VGPRBlocks: 15
; NumSGPRsForWavesPerEU: 100
; NumVGPRsForWavesPerEU: 128
; AccumOffset: 108
; Occupancy: 4
; WaveLimiterHint : 0
; COMPUTE_PGM_RSRC2:SCRATCH_EN: 0
; COMPUTE_PGM_RSRC2:USER_SGPR: 6
; COMPUTE_PGM_RSRC2:TRAP_HANDLER: 0
; COMPUTE_PGM_RSRC2:TGID_X_EN: 1
; COMPUTE_PGM_RSRC2:TGID_Y_EN: 1
; COMPUTE_PGM_RSRC2:TGID_Z_EN: 1
; COMPUTE_PGM_RSRC2:TIDIG_COMP_CNT: 2
; COMPUTE_PGM_RSRC3_GFX90A:ACCUM_OFFSET: 26
; COMPUTE_PGM_RSRC3_GFX90A:TG_SPLIT: 0
	.section	.text._ZL9mul_mat_fI15__hip_bfloat162Li64ELi13ELi4ELb0EEvPKT_PKfPKiPfiiiiiiiiiiiiiiii,"axG",@progbits,_ZL9mul_mat_fI15__hip_bfloat162Li64ELi13ELi4ELb0EEvPKT_PKfPKiPfiiiiiiiiiiiiiiii,comdat
	.globl	_ZL9mul_mat_fI15__hip_bfloat162Li64ELi13ELi4ELb0EEvPKT_PKfPKiPfiiiiiiiiiiiiiiii ; -- Begin function _ZL9mul_mat_fI15__hip_bfloat162Li64ELi13ELi4ELb0EEvPKT_PKfPKiPfiiiiiiiiiiiiiiii
	.p2align	8
	.type	_ZL9mul_mat_fI15__hip_bfloat162Li64ELi13ELi4ELb0EEvPKT_PKfPKiPfiiiiiiiiiiiiiiii,@function
_ZL9mul_mat_fI15__hip_bfloat162Li64ELi13ELi4ELb0EEvPKT_PKfPKiPfiiiiiiiiiiiiiiii: ; @_ZL9mul_mat_fI15__hip_bfloat162Li64ELi13ELi4ELb0EEvPKT_PKfPKiPfiiiiiiiiiiiiiiii
; %bb.0:
	s_load_dwordx8 s[12:19], s[4:5], 0x40
	s_load_dword s9, s[4:5], 0x20
	s_load_dwordx4 s[0:3], s[4:5], 0x2c
	v_bfe_u32 v86, v0, 10, 10
	v_lshlrev_b32_e32 v88, 6, v86
	v_and_b32_e32 v87, 0x3ff, v0
	s_waitcnt lgkmcnt(0)
	s_abs_i32 s27, s12
	s_abs_i32 s26, s16
	v_cvt_f32_u32_e32 v1, s27
	v_cvt_f32_u32_e32 v2, s26
	v_add_u32_e32 v90, v88, v87
	s_mov_b32 s22, 0
	v_rcp_iflag_f32_e32 v1, v1
	v_rcp_iflag_f32_e32 v2, v2
	s_ashr_i32 s28, s8, 31
	v_cmp_le_i32_e32 vcc, s9, v90
	v_mul_f32_e32 v1, 0x4f7ffffe, v1
	v_mul_f32_e32 v2, 0x4f7ffffe, v2
	v_cvt_u32_f32_e32 v1, v1
	v_cvt_u32_f32_e32 v2, v2
	v_and_b32_e32 v89, 15, v87
	v_readfirstlane_b32 s21, v1
	v_readfirstlane_b32 s20, v2
	s_and_saveexec_b64 s[10:11], vcc
	s_xor_b64 s[10:11], exec, s[10:11]
; %bb.1:
	v_and_b32_e32 v89, 15, v87
                                        ; implicit-def: $vgpr90
; %bb.2:
	s_or_saveexec_b64 s[24:25], s[10:11]
	s_load_dwordx2 s[10:11], s[4:5], 0x18
	s_lshl_b32 s3, s6, 6
	v_accvgpr_write_b32 a0, s22
	v_accvgpr_write_b32 a1, s22
	;; [unrolled: 1-line block ×16, first 2 shown]
	s_xor_b64 exec, exec, s[24:25]
	s_cbranch_execz .LBB134_110
; %bb.3:
                                        ; implicit-def: $vgpr101 : SGPR spill to VGPR lane
	s_sub_i32 s6, 0, s27
	s_waitcnt lgkmcnt(0)
	v_writelane_b32 v101, s10, 0
	v_writelane_b32 v101, s11, 1
	s_sub_i32 s10, 0, s26
	s_mul_i32 s6, s6, s21
	s_mul_i32 s10, s10, s20
	s_mul_hi_u32 s6, s21, s6
	s_mul_hi_u32 s10, s20, s10
	s_abs_i32 s11, s7
	s_add_i32 s6, s21, s6
	s_abs_i32 s29, s8
	s_add_i32 s10, s20, s10
	s_load_dwordx4 s[20:23], s[4:5], 0x0
	s_mul_hi_u32 s4, s11, s6
	s_mul_hi_u32 s5, s29, s10
	s_ashr_i32 s6, s7, 31
	s_ashr_i32 s10, s12, 31
	s_xor_b32 s6, s6, s10
	s_mul_i32 s10, s4, s27
	s_sub_i32 s10, s11, s10
	s_ashr_i32 s12, s16, 31
	s_add_i32 s11, s4, 1
	s_sub_i32 s16, s10, s27
	s_cmp_ge_u32 s10, s27
	s_cselect_b32 s4, s11, s4
	s_cselect_b32 s10, s16, s10
	s_add_i32 s11, s4, 1
	s_cmp_ge_u32 s10, s27
	s_cselect_b32 s4, s11, s4
	s_mul_i32 s10, s5, s26
	s_xor_b32 s4, s4, s6
	s_sub_i32 s10, s29, s10
	s_sub_i32 s6, s4, s6
	s_xor_b32 s4, s28, s12
	s_add_i32 s11, s5, 1
	s_sub_i32 s12, s10, s26
	s_cmp_ge_u32 s10, s26
	s_cselect_b32 s5, s11, s5
	s_cselect_b32 s10, s12, s10
	s_add_i32 s11, s5, 1
	s_cmp_ge_u32 s10, s26
	s_cselect_b32 s5, s11, s5
	s_xor_b32 s5, s5, s4
	s_sub_i32 s4, s5, s4
	s_mul_hi_i32 s5, s4, s17
	s_mul_i32 s4, s4, s17
	s_mul_i32 s10, s6, s13
	s_ashr_i32 s11, s10, 31
	s_lshl_b64 s[16:17], s[4:5], 2
	s_mul_i32 s12, s3, s0
	s_waitcnt lgkmcnt(0)
	s_add_u32 s6, s20, s16
	s_addc_u32 s27, s21, s17
	s_ashr_i32 s13, s12, 31
	s_lshl_b64 s[12:13], s[12:13], 2
	s_lshl_b64 s[10:11], s[10:11], 2
	s_add_u32 s28, s10, s12
	s_addc_u32 s29, s11, s13
	s_mul_i32 s26, s7, s14
	s_add_u32 s6, s28, s6
	s_mul_hi_i32 s5, s18, s8
	s_mul_i32 s4, s18, s8
	s_addc_u32 s76, s29, s27
	s_ashr_i32 s27, s26, 31
	s_lshl_b64 s[10:11], s[4:5], 2
	s_lshl_b64 s[4:5], s[26:27], 2
	s_add_u32 s22, s22, s4
	s_addc_u32 s23, s23, s5
	s_add_u32 s14, s22, s10
	s_movk_i32 s4, 0x1080
	s_addc_u32 s18, s23, s11
	v_mad_u32_u24 v0, v86, s4, 0
	s_ashr_i32 s5, s0, 31
	s_mov_b32 s4, s0
	v_lshrrev_b32_e32 v3, 1, v87
	s_ashr_i32 s13, s1, 31
	s_lshl_b64 s[4:5], s[4:5], 2
	v_lshlrev_b32_e32 v1, 2, v87
	v_mul_u32_u24_e32 v2, 0x108, v89
	v_and_b32_e32 v3, 0x1f8, v3
	s_add_u32 s16, s28, s16
	v_add_u32_e32 v91, v0, v1
	v_add3_u32 v92, v0, v2, v3
	v_lshlrev_b32_e32 v0, 8, v86
	s_addc_u32 s17, s29, s17
	v_mov_b32_e32 v2, s17
	v_add_co_u32_e32 v0, vcc, s16, v0
	v_addc_co_u32_e32 v2, vcc, 0, v2, vcc
	v_add_co_u32_e32 v0, vcc, v0, v1
	v_addc_co_u32_e32 v1, vcc, 0, v2, vcc
	v_mov_b32_e32 v2, s21
	v_add_co_u32_e32 v16, vcc, s20, v0
	v_addc_co_u32_e32 v17, vcc, v2, v1, vcc
	v_lshlrev_b32_e32 v0, 9, v86
	v_mov_b32_e32 v1, s11
	v_add_co_u32_e32 v0, vcc, s10, v0
	v_addc_co_u32_e32 v1, vcc, 0, v1, vcc
	v_lshlrev_b32_e32 v2, 3, v87
	v_add_co_u32_e32 v0, vcc, v0, v2
	v_addc_co_u32_e32 v1, vcc, 0, v1, vcc
	s_mov_b32 s12, s1
	v_mov_b32_e32 v2, s23
	v_add_co_u32_e32 v18, vcc, s22, v0
	s_lshl_b64 s[12:13], s[12:13], 3
	v_addc_co_u32_e32 v19, vcc, v2, v1, vcc
	s_mul_i32 s20, s0, 63
	s_lshl_b32 s21, s1, 1
	s_mul_i32 s22, s1, 3
	s_lshl_b32 s23, s1, 2
	s_mul_i32 s26, s1, 5
	s_mul_i32 s27, s1, 6
	;; [unrolled: 1-line block ×3, first 2 shown]
	s_lshl_b32 s29, s1, 3
	s_mul_i32 s30, s1, 9
	s_mul_i32 s31, s1, 10
	;; [unrolled: 1-line block ×4, first 2 shown]
	s_lshl_b32 s35, s0, 1
	s_mul_i32 s36, s0, 3
	s_lshl_b32 s37, s0, 2
	s_mul_i32 s38, s0, 5
	s_mul_i32 s39, s0, 6
	;; [unrolled: 1-line block ×3, first 2 shown]
	s_lshl_b32 s41, s0, 3
	s_mul_i32 s42, s0, 9
	s_mul_i32 s43, s0, 10
	;; [unrolled: 1-line block ×7, first 2 shown]
	s_lshl_b32 s49, s0, 4
	s_mul_i32 s50, s0, 17
	s_mul_i32 s51, s0, 18
	;; [unrolled: 1-line block ×15, first 2 shown]
	s_lshl_b32 s65, s0, 5
	s_mul_i32 s66, s0, 33
	s_mul_i32 s67, s0, 34
	;; [unrolled: 1-line block ×10, first 2 shown]
	v_mov_b32_e32 v93, s76
	s_mul_i32 s76, s0, 43
	v_mov_b32_e32 v94, 0
	v_accvgpr_write_b32 a15, 0
	v_accvgpr_write_b32 a14, 0
	;; [unrolled: 1-line block ×16, first 2 shown]
	v_mov_b32_e32 v95, s5
	s_mul_i32 s5, s0, 44
	s_mul_i32 s77, s0, 45
	;; [unrolled: 1-line block ×19, first 2 shown]
	s_mov_b32 s95, 0x7f800000
	s_movk_i32 s10, 0x7fff
	s_mov_b32 s11, 0x7060302
	s_mov_b64 s[0:1], 0
	s_branch .LBB134_5
.LBB134_4:                              ;   in Loop: Header=BB134_5 Depth=1
	s_or_b64 exec, exec, s[16:17]
	v_perm_b32 v84, v97, v96, s11
	v_add_u32_e32 v85, 0xc00, v91
	ds_write2_b32 v85, v84, v94 offset0:24 offset1:90
	ds_write2_b32 v85, v94, v94 offset0:156 offset1:222
	ds_read2_b64 v[96:99], v92 offset1:4
	v_accvgpr_write_b32 a0, v0
	v_accvgpr_write_b32 a4, v4
	;; [unrolled: 1-line block ×16, first 2 shown]
	s_waitcnt lgkmcnt(0)
	v_mfma_f32_16x16x16bf16_1k a[0:3], v[38:39], v[96:97], a[0:3]
	ds_read2_b64 v[0:3], v92 offset0:8 offset1:12
	v_add_co_u32_e32 v16, vcc, 0x400, v16
	v_addc_co_u32_e32 v17, vcc, 0, v17, vcc
	v_add_co_u32_e32 v18, vcc, 0x800, v18
	v_mfma_f32_16x16x16bf16_1k a[4:7], v[52:53], v[96:97], a[4:7]
	v_add_u32_e32 v90, 0x100, v90
	v_addc_co_u32_e32 v19, vcc, 0, v19, vcc
	v_cmp_le_i32_e32 vcc, s9, v90
	s_or_b64 s[0:1], vcc, s[0:1]
	v_mfma_f32_16x16x16bf16_1k a[8:11], v[68:69], v[96:97], a[8:11]
	v_mfma_f32_16x16x16bf16_1k a[12:15], v[82:83], v[96:97], a[12:15]
	;; [unrolled: 1-line block ×6, first 2 shown]
	s_waitcnt lgkmcnt(0)
	v_mfma_f32_16x16x16bf16_1k a[0:3], v[30:31], v[0:1], a[0:3]
	v_mfma_f32_16x16x16bf16_1k a[4:7], v[46:47], v[0:1], a[4:7]
	;; [unrolled: 1-line block ×8, first 2 shown]
	ds_read2_b64 v[0:3], v92 offset0:16 offset1:20
	s_waitcnt lgkmcnt(0)
	v_mfma_f32_16x16x16bf16_1k a[0:3], v[26:27], v[0:1], a[0:3]
	v_mfma_f32_16x16x16bf16_1k a[4:7], v[42:43], v[0:1], a[4:7]
	;; [unrolled: 1-line block ×8, first 2 shown]
	ds_read2_b64 v[0:3], v92 offset0:24 offset1:28
	s_waitcnt lgkmcnt(0)
	v_mfma_f32_16x16x16bf16_1k a[0:3], v[22:23], v[0:1], a[0:3]
	v_mfma_f32_16x16x16bf16_1k a[4:7], v[36:37], v[0:1], a[4:7]
	;; [unrolled: 1-line block ×8, first 2 shown]
	s_andn2_b64 exec, exec, s[0:1]
	s_cbranch_execz .LBB134_109
.LBB134_5:                              ; =>This Inner Loop Header: Depth=1
	v_add_co_u32_e32 v0, vcc, s4, v16
	v_addc_co_u32_e32 v1, vcc, v17, v95, vcc
	global_load_dword v20, v[16:17], off
	global_load_dword v21, v[0:1], off
	v_add_u32_e32 v0, s35, v90
	v_ashrrev_i32_e32 v1, 31, v0
	v_lshlrev_b64 v[0:1], 2, v[0:1]
	v_add_u32_e32 v2, s36, v90
	v_add_co_u32_e32 v0, vcc, s6, v0
	v_ashrrev_i32_e32 v3, 31, v2
	v_addc_co_u32_e32 v1, vcc, v93, v1, vcc
	v_lshlrev_b64 v[2:3], 2, v[2:3]
	v_add_u32_e32 v4, s37, v90
	v_add_co_u32_e32 v2, vcc, s6, v2
	v_ashrrev_i32_e32 v5, 31, v4
	v_addc_co_u32_e32 v3, vcc, v93, v3, vcc
	;; [unrolled: 5-line block ×6, first 2 shown]
	v_lshlrev_b64 v[12:13], 2, v[12:13]
	v_add_co_u32_e32 v12, vcc, s6, v12
	v_addc_co_u32_e32 v13, vcc, v93, v13, vcc
	global_load_dword v22, v[0:1], off
	global_load_dword v23, v[2:3], off
	;; [unrolled: 1-line block ×7, first 2 shown]
	v_add_u32_e32 v12, s42, v90
	v_ashrrev_i32_e32 v13, 31, v12
	v_lshlrev_b64 v[12:13], 2, v[12:13]
	v_add_co_u32_e32 v12, vcc, s6, v12
	v_addc_co_u32_e32 v13, vcc, v93, v13, vcc
	v_add_u32_e32 v30, s48, v90
	v_ashrrev_i32_e32 v31, 31, v30
	v_lshlrev_b64 v[30:31], 2, v[30:31]
	v_add_u32_e32 v32, s49, v90
	v_ashrrev_i32_e32 v33, 31, v32
	v_lshlrev_b64 v[32:33], 2, v[32:33]
	;; [unrolled: 3-line block ×6, first 2 shown]
	s_waitcnt vmcnt(8)
	ds_write_b32 v91, v20
	s_waitcnt vmcnt(7)
	ds_write_b32 v91, v21 offset:264
	v_add_u32_e32 v20, s43, v90
	v_ashrrev_i32_e32 v21, 31, v20
	global_load_dword v12, v[12:13], off
	v_lshlrev_b64 v[20:21], 2, v[20:21]
	v_add_co_u32_e32 v20, vcc, s6, v20
	v_addc_co_u32_e32 v21, vcc, v93, v21, vcc
	v_add_u32_e32 v42, s58, v90
	v_ashrrev_i32_e32 v43, 31, v42
	v_lshlrev_b64 v[42:43], 2, v[42:43]
	v_accvgpr_read_b32 v3, a15
	v_accvgpr_read_b32 v2, a14
	s_waitcnt vmcnt(7)
	ds_write_b32 v91, v22 offset:528
	s_waitcnt vmcnt(6)
	ds_write_b32 v91, v23 offset:792
	s_waitcnt vmcnt(5)
	ds_write_b32 v91, v24 offset:1056
	s_waitcnt vmcnt(4)
	ds_write_b32 v91, v25 offset:1320
	s_waitcnt vmcnt(3)
	ds_write_b32 v91, v26 offset:1584
	s_waitcnt vmcnt(2)
	ds_write_b32 v91, v27 offset:1848
	s_waitcnt vmcnt(1)
	ds_write_b32 v91, v28 offset:2112
	v_add_u32_e32 v22, s44, v90
	v_ashrrev_i32_e32 v23, 31, v22
	v_lshlrev_b64 v[22:23], 2, v[22:23]
	v_add_u32_e32 v24, s45, v90
	v_add_co_u32_e32 v22, vcc, s6, v22
	v_ashrrev_i32_e32 v25, 31, v24
	v_addc_co_u32_e32 v23, vcc, v93, v23, vcc
	v_lshlrev_b64 v[24:25], 2, v[24:25]
	v_add_u32_e32 v26, s46, v90
	v_add_co_u32_e32 v24, vcc, s6, v24
	v_ashrrev_i32_e32 v27, 31, v26
	v_addc_co_u32_e32 v25, vcc, v93, v25, vcc
	;; [unrolled: 5-line block ×3, first 2 shown]
	v_lshlrev_b64 v[28:29], 2, v[28:29]
	v_add_co_u32_e32 v28, vcc, s6, v28
	v_addc_co_u32_e32 v29, vcc, v93, v29, vcc
	v_add_co_u32_e32 v30, vcc, s6, v30
	v_addc_co_u32_e32 v31, vcc, v93, v31, vcc
	;; [unrolled: 2-line block ×4, first 2 shown]
	global_load_dword v20, v[20:21], off
	s_nop 0
	global_load_dword v21, v[22:23], off
	s_nop 0
	global_load_dword v22, v[24:25], off
	global_load_dword v23, v[26:27], off
	s_nop 0
	global_load_dword v24, v[28:29], off
	global_load_dword v25, v[30:31], off
	;; [unrolled: 1-line block ×3, first 2 shown]
	s_nop 0
	global_load_dword v34, v[34:35], off
	v_add_u32_e32 v26, s51, v90
	v_ashrrev_i32_e32 v27, 31, v26
	v_lshlrev_b64 v[26:27], 2, v[26:27]
	v_add_u32_e32 v28, s52, v90
	v_add_co_u32_e32 v26, vcc, s6, v26
	v_ashrrev_i32_e32 v29, 31, v28
	v_addc_co_u32_e32 v27, vcc, v93, v27, vcc
	v_lshlrev_b64 v[28:29], 2, v[28:29]
	v_add_u32_e32 v30, s53, v90
	v_add_co_u32_e32 v28, vcc, s6, v28
	v_ashrrev_i32_e32 v31, 31, v30
	v_addc_co_u32_e32 v29, vcc, v93, v29, vcc
	;; [unrolled: 5-line block ×3, first 2 shown]
	v_lshlrev_b64 v[32:33], 2, v[32:33]
	v_add_co_u32_e32 v32, vcc, s6, v32
	v_addc_co_u32_e32 v33, vcc, v93, v33, vcc
	v_add_co_u32_e32 v36, vcc, s6, v36
	v_addc_co_u32_e32 v37, vcc, v93, v37, vcc
	;; [unrolled: 2-line block ×5, first 2 shown]
	global_load_dword v35, v[26:27], off
	global_load_dword v44, v[28:29], off
	global_load_dword v45, v[30:31], off
	global_load_dword v46, v[32:33], off
	global_load_dword v47, v[36:37], off
	global_load_dword v48, v[38:39], off
	global_load_dword v49, v[40:41], off
	global_load_dword v50, v[42:43], off
	v_add_u32_e32 v26, s59, v90
	v_ashrrev_i32_e32 v27, 31, v26
	v_lshlrev_b64 v[26:27], 2, v[26:27]
	v_add_u32_e32 v28, s60, v90
	v_add_co_u32_e32 v26, vcc, s6, v26
	v_ashrrev_i32_e32 v29, 31, v28
	v_addc_co_u32_e32 v27, vcc, v93, v27, vcc
	v_lshlrev_b64 v[28:29], 2, v[28:29]
	v_add_u32_e32 v30, s61, v90
	v_add_co_u32_e32 v28, vcc, s6, v28
	v_ashrrev_i32_e32 v31, 31, v30
	v_addc_co_u32_e32 v29, vcc, v93, v29, vcc
	v_lshlrev_b64 v[30:31], 2, v[30:31]
	v_add_u32_e32 v32, s62, v90
	v_add_co_u32_e32 v30, vcc, s6, v30
	v_ashrrev_i32_e32 v33, 31, v32
	v_addc_co_u32_e32 v31, vcc, v93, v31, vcc
	v_lshlrev_b64 v[32:33], 2, v[32:33]
	v_add_u32_e32 v36, s63, v90
	v_add_co_u32_e32 v32, vcc, s6, v32
	v_ashrrev_i32_e32 v37, 31, v36
	v_addc_co_u32_e32 v33, vcc, v93, v33, vcc
	v_lshlrev_b64 v[36:37], 2, v[36:37]
	v_add_u32_e32 v38, s64, v90
	v_add_co_u32_e32 v36, vcc, s6, v36
	v_ashrrev_i32_e32 v39, 31, v38
	v_addc_co_u32_e32 v37, vcc, v93, v37, vcc
	v_lshlrev_b64 v[38:39], 2, v[38:39]
	v_add_u32_e32 v40, s65, v90
	v_add_co_u32_e32 v38, vcc, s6, v38
	v_ashrrev_i32_e32 v41, 31, v40
	v_addc_co_u32_e32 v39, vcc, v93, v39, vcc
	v_lshlrev_b64 v[40:41], 2, v[40:41]
	v_add_u32_e32 v42, s66, v90
	v_add_co_u32_e32 v40, vcc, s6, v40
	v_ashrrev_i32_e32 v43, 31, v42
	v_addc_co_u32_e32 v41, vcc, v93, v41, vcc
	v_lshlrev_b64 v[42:43], 2, v[42:43]
	v_add_co_u32_e32 v42, vcc, s6, v42
	v_addc_co_u32_e32 v43, vcc, v93, v43, vcc
	global_load_dword v51, v[26:27], off
	global_load_dword v52, v[28:29], off
	global_load_dword v53, v[30:31], off
	global_load_dword v54, v[32:33], off
	global_load_dword v55, v[36:37], off
	global_load_dword v56, v[38:39], off
	global_load_dword v57, v[40:41], off
	global_load_dword v58, v[42:43], off
	v_add_u32_e32 v26, s67, v90
	v_ashrrev_i32_e32 v27, 31, v26
	v_lshlrev_b64 v[26:27], 2, v[26:27]
	v_add_u32_e32 v28, s68, v90
	v_add_co_u32_e32 v26, vcc, s6, v26
	v_ashrrev_i32_e32 v29, 31, v28
	v_addc_co_u32_e32 v27, vcc, v93, v27, vcc
	v_lshlrev_b64 v[28:29], 2, v[28:29]
	v_add_u32_e32 v30, s69, v90
	v_add_co_u32_e32 v28, vcc, s6, v28
	v_ashrrev_i32_e32 v31, 31, v30
	v_addc_co_u32_e32 v29, vcc, v93, v29, vcc
	v_lshlrev_b64 v[30:31], 2, v[30:31]
	v_add_u32_e32 v32, s70, v90
	v_add_co_u32_e32 v30, vcc, s6, v30
	v_ashrrev_i32_e32 v33, 31, v32
	v_addc_co_u32_e32 v31, vcc, v93, v31, vcc
	v_lshlrev_b64 v[32:33], 2, v[32:33]
	v_add_u32_e32 v36, s71, v90
	v_add_co_u32_e32 v32, vcc, s6, v32
	v_ashrrev_i32_e32 v37, 31, v36
	v_addc_co_u32_e32 v33, vcc, v93, v33, vcc
	v_lshlrev_b64 v[36:37], 2, v[36:37]
	v_add_u32_e32 v38, s72, v90
	v_add_co_u32_e32 v36, vcc, s6, v36
	v_ashrrev_i32_e32 v39, 31, v38
	v_addc_co_u32_e32 v37, vcc, v93, v37, vcc
	v_lshlrev_b64 v[38:39], 2, v[38:39]
	v_add_u32_e32 v40, s73, v90
	v_add_co_u32_e32 v38, vcc, s6, v38
	v_ashrrev_i32_e32 v41, 31, v40
	v_addc_co_u32_e32 v39, vcc, v93, v39, vcc
	v_lshlrev_b64 v[40:41], 2, v[40:41]
	v_add_u32_e32 v42, s74, v90
	v_add_co_u32_e32 v40, vcc, s6, v40
	v_ashrrev_i32_e32 v43, 31, v42
	v_addc_co_u32_e32 v41, vcc, v93, v41, vcc
	v_lshlrev_b64 v[42:43], 2, v[42:43]
	v_add_co_u32_e32 v42, vcc, s6, v42
	v_addc_co_u32_e32 v43, vcc, v93, v43, vcc
	;; [unrolled: 48-line block ×4, first 2 shown]
	global_load_dword v75, v[26:27], off
	global_load_dword v76, v[28:29], off
	;; [unrolled: 1-line block ×8, first 2 shown]
	v_add_u32_e32 v26, s90, v90
	v_ashrrev_i32_e32 v27, 31, v26
	v_lshlrev_b64 v[26:27], 2, v[26:27]
	v_add_u32_e32 v28, s91, v90
	v_add_co_u32_e32 v26, vcc, s6, v26
	v_ashrrev_i32_e32 v29, 31, v28
	v_addc_co_u32_e32 v27, vcc, v93, v27, vcc
	v_lshlrev_b64 v[28:29], 2, v[28:29]
	v_add_u32_e32 v30, s92, v90
	v_add_co_u32_e32 v28, vcc, s6, v28
	v_ashrrev_i32_e32 v31, 31, v30
	v_addc_co_u32_e32 v29, vcc, v93, v29, vcc
	;; [unrolled: 5-line block ×5, first 2 shown]
	v_lshlrev_b64 v[38:39], 2, v[38:39]
	v_add_co_u32_e32 v38, vcc, s6, v38
	v_addc_co_u32_e32 v39, vcc, v93, v39, vcc
	global_load_dword v83, v[26:27], off
	global_load_dword v96, v[28:29], off
	;; [unrolled: 1-line block ×6, first 2 shown]
	s_waitcnt vmcnt(54)
	ds_write_b32 v91, v12 offset:2376
	s_waitcnt vmcnt(53)
	ds_write_b32 v91, v20 offset:2640
	;; [unrolled: 2-line block ×7, first 2 shown]
	global_load_dwordx2 v[84:85], v[18:19], off
	ds_read_b64 v[38:39], v92
	ds_read_b64 v[32:33], v92 offset:32
	ds_read_b64 v[30:31], v92 offset:64
	ds_read_b64 v[28:29], v92 offset:96
	ds_read_b64 v[26:27], v92 offset:128
	ds_read_b64 v[24:25], v92 offset:160
	ds_read_b64 v[22:23], v92 offset:192
	ds_read_b64 v[20:21], v92 offset:224
	s_waitcnt vmcnt(48)
	ds_write_b32 v91, v13
	s_waitcnt vmcnt(47)
	ds_write_b32 v91, v34 offset:264
	s_waitcnt vmcnt(46)
	ds_write_b32 v91, v35 offset:528
	s_waitcnt vmcnt(45)
	ds_write_b32 v91, v44 offset:792
	s_waitcnt vmcnt(44)
	ds_write_b32 v91, v45 offset:1056
	s_waitcnt vmcnt(43)
	ds_write_b32 v91, v46 offset:1320
	s_waitcnt vmcnt(42)
	ds_write_b32 v91, v47 offset:1584
	s_waitcnt vmcnt(41)
	ds_write_b32 v91, v48 offset:1848
	s_waitcnt vmcnt(40)
	ds_write_b32 v91, v49 offset:2112
	s_waitcnt vmcnt(39)
	ds_write_b32 v91, v50 offset:2376
	s_waitcnt vmcnt(38)
	ds_write_b32 v91, v51 offset:2640
	s_waitcnt vmcnt(37)
	ds_write_b32 v91, v52 offset:2904
	s_waitcnt vmcnt(36)
	ds_write_b32 v91, v53 offset:3168
	s_waitcnt vmcnt(35)
	ds_write_b32 v91, v54 offset:3432
	s_waitcnt vmcnt(34)
	ds_write_b32 v91, v55 offset:3696
	s_waitcnt vmcnt(33)
	ds_write_b32 v91, v56 offset:3960
	ds_read_b64 v[52:53], v92
	ds_read_b64 v[50:51], v92 offset:32
	ds_read_b64 v[46:47], v92 offset:64
	ds_read_b64 v[44:45], v92 offset:96
	ds_read_b64 v[42:43], v92 offset:128
	ds_read_b64 v[40:41], v92 offset:160
	ds_read_b64 v[36:37], v92 offset:192
	ds_read_b64 v[34:35], v92 offset:224
	s_waitcnt vmcnt(32)
	ds_write_b32 v91, v57
	s_waitcnt vmcnt(31)
	ds_write_b32 v91, v58 offset:264
	s_waitcnt vmcnt(30)
	ds_write_b32 v91, v59 offset:528
	s_waitcnt vmcnt(29)
	ds_write_b32 v91, v60 offset:792
	s_waitcnt vmcnt(28)
	ds_write_b32 v91, v61 offset:1056
	s_waitcnt vmcnt(27)
	ds_write_b32 v91, v62 offset:1320
	s_waitcnt vmcnt(26)
	ds_write_b32 v91, v63 offset:1584
	s_waitcnt vmcnt(25)
	ds_write_b32 v91, v64 offset:1848
	s_waitcnt vmcnt(24)
	ds_write_b32 v91, v65 offset:2112
	s_waitcnt vmcnt(23)
	ds_write_b32 v91, v66 offset:2376
	s_waitcnt vmcnt(22)
	ds_write_b32 v91, v67 offset:2640
	s_waitcnt vmcnt(21)
	ds_write_b32 v91, v68 offset:2904
	s_waitcnt vmcnt(20)
	ds_write_b32 v91, v69 offset:3168
	s_waitcnt vmcnt(19)
	ds_write_b32 v91, v70 offset:3432
	s_waitcnt vmcnt(18)
	ds_write_b32 v91, v71 offset:3696
	s_waitcnt vmcnt(17)
	ds_write_b32 v91, v72 offset:3960
	;; [unrolled: 40-line block ×3, first 2 shown]
	ds_read_b64 v[82:83], v92
	ds_read_b64 v[80:81], v92 offset:32
	ds_read_b64 v[78:79], v92 offset:64
	ds_read_b64 v[76:77], v92 offset:96
	ds_read_b64 v[74:75], v92 offset:128
	ds_read_b64 v[72:73], v92 offset:160
	ds_read_b64 v[70:71], v92 offset:192
	ds_read_b64 v[56:57], v92 offset:224
	s_waitcnt vmcnt(0)
	v_and_b32_e32 v96, 0x7f800000, v84
	v_accvgpr_read_b32 v1, a13
	v_accvgpr_read_b32 v0, a12
	;; [unrolled: 1-line block ×14, first 2 shown]
	v_cmp_ne_u32_e32 vcc, s95, v96
                                        ; implicit-def: $vgpr96
	s_and_saveexec_b64 s[16:17], vcc
	s_xor_b64 s[16:17], exec, s[16:17]
; %bb.6:                                ;   in Loop: Header=BB134_5 Depth=1
	v_bfe_u32 v96, v84, 16, 1
	v_add3_u32 v96, v84, v96, s10
; %bb.7:                                ;   in Loop: Header=BB134_5 Depth=1
	s_andn2_saveexec_b64 s[16:17], s[16:17]
; %bb.8:                                ;   in Loop: Header=BB134_5 Depth=1
	v_or_b32_e32 v96, 0x10000, v84
	v_cmp_eq_u32_sdwa vcc, v84, v94 src0_sel:WORD_0 src1_sel:DWORD
	v_cndmask_b32_e32 v96, v96, v84, vcc
; %bb.9:                                ;   in Loop: Header=BB134_5 Depth=1
	s_or_b64 exec, exec, s[16:17]
	v_and_b32_e32 v84, 0x7f800000, v85
	v_cmp_ne_u32_e32 vcc, s95, v84
                                        ; implicit-def: $vgpr97
	s_and_saveexec_b64 s[16:17], vcc
	s_xor_b64 s[16:17], exec, s[16:17]
; %bb.10:                               ;   in Loop: Header=BB134_5 Depth=1
	v_bfe_u32 v84, v85, 16, 1
	v_add3_u32 v97, v85, v84, s10
                                        ; implicit-def: $vgpr84_vgpr85
; %bb.11:                               ;   in Loop: Header=BB134_5 Depth=1
	s_andn2_saveexec_b64 s[16:17], s[16:17]
; %bb.12:                               ;   in Loop: Header=BB134_5 Depth=1
	v_or_b32_e32 v84, 0x10000, v85
	v_cmp_eq_u32_sdwa vcc, v85, v94 src0_sel:WORD_0 src1_sel:DWORD
	v_cndmask_b32_e32 v97, v84, v85, vcc
; %bb.13:                               ;   in Loop: Header=BB134_5 Depth=1
	s_or_b64 exec, exec, s[16:17]
	v_mov_b32_e32 v85, s13
	v_add_co_u32_e32 v84, vcc, s12, v18
	v_addc_co_u32_e32 v85, vcc, v19, v85, vcc
	global_load_dwordx2 v[84:85], v[84:85], off
	v_perm_b32 v96, v97, v96, s11
	ds_write_b32 v91, v96
	s_waitcnt vmcnt(0)
	v_and_b32_e32 v96, 0x7f800000, v84
	v_cmp_ne_u32_e32 vcc, s95, v96
                                        ; implicit-def: $vgpr96
	s_and_saveexec_b64 s[16:17], vcc
	s_xor_b64 s[16:17], exec, s[16:17]
; %bb.14:                               ;   in Loop: Header=BB134_5 Depth=1
	v_bfe_u32 v96, v84, 16, 1
	v_add3_u32 v96, v84, v96, s10
; %bb.15:                               ;   in Loop: Header=BB134_5 Depth=1
	s_andn2_saveexec_b64 s[16:17], s[16:17]
; %bb.16:                               ;   in Loop: Header=BB134_5 Depth=1
	v_or_b32_e32 v96, 0x10000, v84
	v_cmp_eq_u32_sdwa vcc, v84, v94 src0_sel:WORD_0 src1_sel:DWORD
	v_cndmask_b32_e32 v96, v96, v84, vcc
; %bb.17:                               ;   in Loop: Header=BB134_5 Depth=1
	s_or_b64 exec, exec, s[16:17]
	v_and_b32_e32 v84, 0x7f800000, v85
	v_cmp_ne_u32_e32 vcc, s95, v84
                                        ; implicit-def: $vgpr97
	s_and_saveexec_b64 s[16:17], vcc
	s_xor_b64 s[16:17], exec, s[16:17]
; %bb.18:                               ;   in Loop: Header=BB134_5 Depth=1
	v_bfe_u32 v84, v85, 16, 1
	v_add3_u32 v97, v85, v84, s10
                                        ; implicit-def: $vgpr84_vgpr85
; %bb.19:                               ;   in Loop: Header=BB134_5 Depth=1
	s_andn2_saveexec_b64 s[16:17], s[16:17]
; %bb.20:                               ;   in Loop: Header=BB134_5 Depth=1
	v_or_b32_e32 v84, 0x10000, v85
	v_cmp_eq_u32_sdwa vcc, v85, v94 src0_sel:WORD_0 src1_sel:DWORD
	v_cndmask_b32_e32 v97, v84, v85, vcc
; %bb.21:                               ;   in Loop: Header=BB134_5 Depth=1
	s_or_b64 exec, exec, s[16:17]
	v_add_u32_e32 v84, s21, v90
	v_ashrrev_i32_e32 v85, 31, v84
	v_lshlrev_b64 v[84:85], 3, v[84:85]
	v_mov_b32_e32 v98, s18
	v_add_co_u32_e32 v84, vcc, s14, v84
	v_addc_co_u32_e32 v85, vcc, v98, v85, vcc
	global_load_dwordx2 v[84:85], v[84:85], off
	v_perm_b32 v96, v97, v96, s11
	ds_write_b32 v91, v96 offset:264
	s_waitcnt vmcnt(0)
	v_and_b32_e32 v96, 0x7f800000, v84
	v_cmp_ne_u32_e32 vcc, s95, v96
                                        ; implicit-def: $vgpr96
	s_and_saveexec_b64 s[16:17], vcc
	s_xor_b64 s[16:17], exec, s[16:17]
; %bb.22:                               ;   in Loop: Header=BB134_5 Depth=1
	v_bfe_u32 v96, v84, 16, 1
	v_add3_u32 v96, v84, v96, s10
; %bb.23:                               ;   in Loop: Header=BB134_5 Depth=1
	s_andn2_saveexec_b64 s[16:17], s[16:17]
; %bb.24:                               ;   in Loop: Header=BB134_5 Depth=1
	v_or_b32_e32 v96, 0x10000, v84
	v_cmp_eq_u32_sdwa vcc, v84, v94 src0_sel:WORD_0 src1_sel:DWORD
	v_cndmask_b32_e32 v96, v96, v84, vcc
; %bb.25:                               ;   in Loop: Header=BB134_5 Depth=1
	s_or_b64 exec, exec, s[16:17]
	v_and_b32_e32 v84, 0x7f800000, v85
	v_cmp_ne_u32_e32 vcc, s95, v84
                                        ; implicit-def: $vgpr97
	s_and_saveexec_b64 s[16:17], vcc
	s_xor_b64 s[16:17], exec, s[16:17]
; %bb.26:                               ;   in Loop: Header=BB134_5 Depth=1
	v_bfe_u32 v84, v85, 16, 1
	v_add3_u32 v97, v85, v84, s10
                                        ; implicit-def: $vgpr84_vgpr85
; %bb.27:                               ;   in Loop: Header=BB134_5 Depth=1
	s_andn2_saveexec_b64 s[16:17], s[16:17]
; %bb.28:                               ;   in Loop: Header=BB134_5 Depth=1
	v_or_b32_e32 v84, 0x10000, v85
	v_cmp_eq_u32_sdwa vcc, v85, v94 src0_sel:WORD_0 src1_sel:DWORD
	v_cndmask_b32_e32 v97, v84, v85, vcc
; %bb.29:                               ;   in Loop: Header=BB134_5 Depth=1
	s_or_b64 exec, exec, s[16:17]
	v_add_u32_e32 v84, s22, v90
	v_ashrrev_i32_e32 v85, 31, v84
	v_lshlrev_b64 v[84:85], 3, v[84:85]
	v_mov_b32_e32 v98, s18
	v_add_co_u32_e32 v84, vcc, s14, v84
	v_addc_co_u32_e32 v85, vcc, v98, v85, vcc
	global_load_dwordx2 v[84:85], v[84:85], off
	v_perm_b32 v96, v97, v96, s11
	ds_write_b32 v91, v96 offset:528
	;; [unrolled: 43-line block ×10, first 2 shown]
	s_waitcnt vmcnt(0)
	v_and_b32_e32 v96, 0x7f800000, v84
	v_cmp_ne_u32_e32 vcc, s95, v96
                                        ; implicit-def: $vgpr96
	s_and_saveexec_b64 s[16:17], vcc
	s_xor_b64 s[16:17], exec, s[16:17]
; %bb.94:                               ;   in Loop: Header=BB134_5 Depth=1
	v_bfe_u32 v96, v84, 16, 1
	v_add3_u32 v96, v84, v96, s10
; %bb.95:                               ;   in Loop: Header=BB134_5 Depth=1
	s_andn2_saveexec_b64 s[16:17], s[16:17]
; %bb.96:                               ;   in Loop: Header=BB134_5 Depth=1
	v_or_b32_e32 v96, 0x10000, v84
	v_cmp_eq_u32_sdwa vcc, v84, v94 src0_sel:WORD_0 src1_sel:DWORD
	v_cndmask_b32_e32 v96, v96, v84, vcc
; %bb.97:                               ;   in Loop: Header=BB134_5 Depth=1
	s_or_b64 exec, exec, s[16:17]
	v_and_b32_e32 v84, 0x7f800000, v85
	v_cmp_ne_u32_e32 vcc, s95, v84
                                        ; implicit-def: $vgpr97
	s_and_saveexec_b64 s[16:17], vcc
	s_xor_b64 s[16:17], exec, s[16:17]
; %bb.98:                               ;   in Loop: Header=BB134_5 Depth=1
	v_bfe_u32 v84, v85, 16, 1
	v_add3_u32 v97, v85, v84, s10
                                        ; implicit-def: $vgpr84_vgpr85
; %bb.99:                               ;   in Loop: Header=BB134_5 Depth=1
	s_andn2_saveexec_b64 s[16:17], s[16:17]
; %bb.100:                              ;   in Loop: Header=BB134_5 Depth=1
	v_or_b32_e32 v84, 0x10000, v85
	v_cmp_eq_u32_sdwa vcc, v85, v94 src0_sel:WORD_0 src1_sel:DWORD
	v_cndmask_b32_e32 v97, v84, v85, vcc
; %bb.101:                              ;   in Loop: Header=BB134_5 Depth=1
	s_or_b64 exec, exec, s[16:17]
	v_add_u32_e32 v84, s34, v90
	v_ashrrev_i32_e32 v85, 31, v84
	v_lshlrev_b64 v[84:85], 3, v[84:85]
	v_mov_b32_e32 v98, s18
	v_add_co_u32_e32 v84, vcc, s14, v84
	v_addc_co_u32_e32 v85, vcc, v98, v85, vcc
	global_load_dwordx2 v[84:85], v[84:85], off
	v_perm_b32 v96, v97, v96, s11
	ds_write_b32 v91, v96 offset:2904
	s_waitcnt vmcnt(0)
	v_and_b32_e32 v96, 0x7f800000, v84
	v_cmp_ne_u32_e32 vcc, s95, v96
                                        ; implicit-def: $vgpr96
	s_and_saveexec_b64 s[16:17], vcc
	s_xor_b64 s[16:17], exec, s[16:17]
; %bb.102:                              ;   in Loop: Header=BB134_5 Depth=1
	v_bfe_u32 v96, v84, 16, 1
	v_add3_u32 v96, v84, v96, s10
; %bb.103:                              ;   in Loop: Header=BB134_5 Depth=1
	s_andn2_saveexec_b64 s[16:17], s[16:17]
; %bb.104:                              ;   in Loop: Header=BB134_5 Depth=1
	v_or_b32_e32 v96, 0x10000, v84
	v_cmp_eq_u32_sdwa vcc, v84, v94 src0_sel:WORD_0 src1_sel:DWORD
	v_cndmask_b32_e32 v96, v96, v84, vcc
; %bb.105:                              ;   in Loop: Header=BB134_5 Depth=1
	s_or_b64 exec, exec, s[16:17]
	v_and_b32_e32 v84, 0x7f800000, v85
	v_cmp_ne_u32_e32 vcc, s95, v84
                                        ; implicit-def: $vgpr97
	s_and_saveexec_b64 s[16:17], vcc
	s_xor_b64 s[16:17], exec, s[16:17]
; %bb.106:                              ;   in Loop: Header=BB134_5 Depth=1
	v_bfe_u32 v84, v85, 16, 1
	v_add3_u32 v97, v85, v84, s10
                                        ; implicit-def: $vgpr84_vgpr85
; %bb.107:                              ;   in Loop: Header=BB134_5 Depth=1
	s_andn2_saveexec_b64 s[16:17], s[16:17]
	s_cbranch_execz .LBB134_4
; %bb.108:                              ;   in Loop: Header=BB134_5 Depth=1
	v_or_b32_e32 v84, 0x10000, v85
	v_cmp_eq_u32_sdwa vcc, v85, v94 src0_sel:WORD_0 src1_sel:DWORD
	v_cndmask_b32_e32 v97, v84, v85, vcc
	s_branch .LBB134_4
.LBB134_109:
	s_or_b64 exec, exec, s[0:1]
	v_readlane_b32 s10, v101, 0
	v_readlane_b32 s11, v101, 1
.LBB134_110:
	s_or_b64 exec, exec, s[24:25]
	s_mul_hi_i32 s1, s19, s8
	s_mul_i32 s0, s19, s8
	s_lshl_b64 s[0:1], s[0:1], 2
	v_mul_u32_u24_e32 v0, 0x408, v89
	v_lshlrev_b32_e32 v1, 2, v88
	v_or_b32_e32 v2, 12, v87
	s_mul_i32 s4, s7, s15
	s_waitcnt lgkmcnt(0)
	s_add_u32 s6, s10, s0
	v_add3_u32 v0, 0, v0, v1
	v_and_b32_e32 v1, 0x3f0, v87
	v_and_b32_e32 v2, 0x3fc, v2
	s_addc_u32 s7, s11, s1
	s_ashr_i32 s5, s4, 31
	v_add_u32_e32 v1, v0, v1
	v_add_u32_e32 v0, v0, v2
	s_lshl_b64 s[0:1], s[4:5], 2
	s_barrier
	s_movk_i32 s4, 0x408
	ds_write2_b32 v1, a12, a13 offset1:1
	ds_write_b32 v1, a14 offset:8
	ds_write_b32 v0, a15
	ds_write2_b32 v1, a8, a9 offset0:16 offset1:17
	ds_write_b32 v1, a10 offset:72
	ds_write_b32 v0, a11 offset:64
	ds_write2_b32 v1, a4, a5 offset0:32 offset1:33
	ds_write_b32 v1, a6 offset:136
	ds_write_b32 v0, a7 offset:128
	;; [unrolled: 3-line block ×3, first 2 shown]
	v_lshl_add_u32 v1, v87, 2, 0
	v_mad_u32_u24 v10, v86, s4, v1
	s_waitcnt lgkmcnt(0)
	s_barrier
	ds_read2st64_b32 v[2:3], v10 offset1:1
	ds_read2st64_b32 v[4:5], v10 offset0:2 offset1:3
	v_add_u32_e32 v0, s3, v87
	v_add_u32_e32 v8, 32, v10
	s_add_u32 s0, s6, s0
	s_waitcnt lgkmcnt(1)
	v_add_f32_e32 v2, 0, v2
	v_add_f32_e32 v2, v2, v3
	s_waitcnt lgkmcnt(0)
	v_add_f32_e32 v2, v2, v4
	v_add_f32_e32 v11, v2, v5
	v_mad_u64_u32 v[2:3], s[4:5], v86, s2, v[0:1]
	v_mov_b32_e32 v3, 0
	ds_read2st64_b32 v[6:7], v8 offset0:16 offset1:17
	ds_read2st64_b32 v[8:9], v8 offset0:18 offset1:19
	s_addc_u32 s1, s7, s1
	v_lshlrev_b64 v[4:5], 2, v[2:3]
	v_mov_b32_e32 v12, s1
	v_add_co_u32_e32 v4, vcc, s0, v4
	v_addc_co_u32_e32 v5, vcc, v12, v5, vcc
	global_store_dword v[4:5], v11, off
	s_waitcnt lgkmcnt(1)
	v_add_f32_e32 v4, 0, v6
	v_add_f32_e32 v4, v4, v7
	s_waitcnt lgkmcnt(0)
	v_add_f32_e32 v4, v4, v8
	s_lshl_b32 s3, s2, 2
	v_add_u32_e32 v8, 64, v10
	v_add_f32_e32 v11, v4, v9
	v_add_u32_e32 v2, s3, v2
	ds_read2st64_b32 v[6:7], v8 offset0:32 offset1:33
	ds_read2st64_b32 v[8:9], v8 offset0:34 offset1:35
	v_lshlrev_b64 v[4:5], 2, v[2:3]
	v_add_co_u32_e32 v4, vcc, s0, v4
	v_addc_co_u32_e32 v5, vcc, v12, v5, vcc
	global_store_dword v[4:5], v11, off
	s_waitcnt lgkmcnt(1)
	v_add_f32_e32 v4, 0, v6
	v_add_f32_e32 v4, v4, v7
	s_waitcnt lgkmcnt(0)
	v_add_f32_e32 v4, v4, v8
	v_add_u32_e32 v2, s3, v2
	v_add_f32_e32 v6, v4, v9
	v_lshlrev_b64 v[4:5], 2, v[2:3]
	v_mov_b32_e32 v2, s1
	v_add_co_u32_e32 v4, vcc, s0, v4
	v_addc_co_u32_e32 v5, vcc, v2, v5, vcc
	v_cmp_eq_u32_e32 vcc, 0, v86
	global_store_dword v[4:5], v6, off
	s_and_saveexec_b64 s[4:5], vcc
	s_cbranch_execz .LBB134_112
; %bb.111:
	v_add_u32_e32 v1, 0x60, v1
	ds_read2st64_b32 v[4:5], v1 offset0:48 offset1:49
	ds_read2st64_b32 v[6:7], v1 offset0:50 offset1:51
	v_mad_u64_u32 v[0:1], s[2:3], s2, 12, v[0:1]
	v_mov_b32_e32 v1, v3
	s_waitcnt lgkmcnt(1)
	v_add_f32_e32 v2, 0, v4
	v_add_f32_e32 v2, v2, v5
	v_lshlrev_b64 v[0:1], 2, v[0:1]
	s_waitcnt lgkmcnt(0)
	v_add_f32_e32 v2, v2, v6
	v_mov_b32_e32 v3, s1
	v_add_co_u32_e32 v0, vcc, s0, v0
	v_add_f32_e32 v2, v2, v7
	v_addc_co_u32_e32 v1, vcc, v3, v1, vcc
	global_store_dword v[0:1], v2, off
.LBB134_112:
	s_endpgm
	.section	.rodata,"a",@progbits
	.p2align	6, 0x0
	.amdhsa_kernel _ZL9mul_mat_fI15__hip_bfloat162Li64ELi13ELi4ELb0EEvPKT_PKfPKiPfiiiiiiiiiiiiiiii
		.amdhsa_group_segment_fixed_size 0
		.amdhsa_private_segment_fixed_size 0
		.amdhsa_kernarg_size 96
		.amdhsa_user_sgpr_count 6
		.amdhsa_user_sgpr_private_segment_buffer 1
		.amdhsa_user_sgpr_dispatch_ptr 0
		.amdhsa_user_sgpr_queue_ptr 0
		.amdhsa_user_sgpr_kernarg_segment_ptr 1
		.amdhsa_user_sgpr_dispatch_id 0
		.amdhsa_user_sgpr_flat_scratch_init 0
		.amdhsa_user_sgpr_kernarg_preload_length 0
		.amdhsa_user_sgpr_kernarg_preload_offset 0
		.amdhsa_user_sgpr_private_segment_size 0
		.amdhsa_uses_dynamic_stack 0
		.amdhsa_system_sgpr_private_segment_wavefront_offset 0
		.amdhsa_system_sgpr_workgroup_id_x 1
		.amdhsa_system_sgpr_workgroup_id_y 1
		.amdhsa_system_sgpr_workgroup_id_z 1
		.amdhsa_system_sgpr_workgroup_info 0
		.amdhsa_system_vgpr_workitem_id 1
		.amdhsa_next_free_vgpr 128
		.amdhsa_next_free_sgpr 96
		.amdhsa_accum_offset 104
		.amdhsa_reserve_vcc 1
		.amdhsa_reserve_flat_scratch 0
		.amdhsa_float_round_mode_32 0
		.amdhsa_float_round_mode_16_64 0
		.amdhsa_float_denorm_mode_32 3
		.amdhsa_float_denorm_mode_16_64 3
		.amdhsa_dx10_clamp 1
		.amdhsa_ieee_mode 1
		.amdhsa_fp16_overflow 0
		.amdhsa_tg_split 0
		.amdhsa_exception_fp_ieee_invalid_op 0
		.amdhsa_exception_fp_denorm_src 0
		.amdhsa_exception_fp_ieee_div_zero 0
		.amdhsa_exception_fp_ieee_overflow 0
		.amdhsa_exception_fp_ieee_underflow 0
		.amdhsa_exception_fp_ieee_inexact 0
		.amdhsa_exception_int_div_zero 0
	.end_amdhsa_kernel
	.section	.text._ZL9mul_mat_fI15__hip_bfloat162Li64ELi13ELi4ELb0EEvPKT_PKfPKiPfiiiiiiiiiiiiiiii,"axG",@progbits,_ZL9mul_mat_fI15__hip_bfloat162Li64ELi13ELi4ELb0EEvPKT_PKfPKiPfiiiiiiiiiiiiiiii,comdat
.Lfunc_end134:
	.size	_ZL9mul_mat_fI15__hip_bfloat162Li64ELi13ELi4ELb0EEvPKT_PKfPKiPfiiiiiiiiiiiiiiii, .Lfunc_end134-_ZL9mul_mat_fI15__hip_bfloat162Li64ELi13ELi4ELb0EEvPKT_PKfPKiPfiiiiiiiiiiiiiiii
                                        ; -- End function
	.section	.AMDGPU.csdata,"",@progbits
; Kernel info:
; codeLenInByte = 7812
; NumSgprs: 100
; NumVgprs: 102
; NumAgprs: 24
; TotalNumVgprs: 128
; ScratchSize: 0
; MemoryBound: 0
; FloatMode: 240
; IeeeMode: 1
; LDSByteSize: 0 bytes/workgroup (compile time only)
; SGPRBlocks: 12
; VGPRBlocks: 15
; NumSGPRsForWavesPerEU: 100
; NumVGPRsForWavesPerEU: 128
; AccumOffset: 104
; Occupancy: 4
; WaveLimiterHint : 0
; COMPUTE_PGM_RSRC2:SCRATCH_EN: 0
; COMPUTE_PGM_RSRC2:USER_SGPR: 6
; COMPUTE_PGM_RSRC2:TRAP_HANDLER: 0
; COMPUTE_PGM_RSRC2:TGID_X_EN: 1
; COMPUTE_PGM_RSRC2:TGID_Y_EN: 1
; COMPUTE_PGM_RSRC2:TGID_Z_EN: 1
; COMPUTE_PGM_RSRC2:TIDIG_COMP_CNT: 1
; COMPUTE_PGM_RSRC3_GFX90A:ACCUM_OFFSET: 25
; COMPUTE_PGM_RSRC3_GFX90A:TG_SPLIT: 0
	.section	.text._ZL13mul_mat_f_idsI15__hip_bfloat162Li64ELi13ELi5EEvPKT_PKfPKiS7_S7_Pfiiiiiiiiiiiiii15HIP_vector_typeIjLj3EESA_,"axG",@progbits,_ZL13mul_mat_f_idsI15__hip_bfloat162Li64ELi13ELi5EEvPKT_PKfPKiS7_S7_Pfiiiiiiiiiiiiii15HIP_vector_typeIjLj3EESA_,comdat
	.globl	_ZL13mul_mat_f_idsI15__hip_bfloat162Li64ELi13ELi5EEvPKT_PKfPKiS7_S7_Pfiiiiiiiiiiiiii15HIP_vector_typeIjLj3EESA_ ; -- Begin function _ZL13mul_mat_f_idsI15__hip_bfloat162Li64ELi13ELi5EEvPKT_PKfPKiS7_S7_Pfiiiiiiiiiiiiii15HIP_vector_typeIjLj3EESA_
	.p2align	8
	.type	_ZL13mul_mat_f_idsI15__hip_bfloat162Li64ELi13ELi5EEvPKT_PKfPKiS7_S7_Pfiiiiiiiiiiiiii15HIP_vector_typeIjLj3EESA_,@function
_ZL13mul_mat_f_idsI15__hip_bfloat162Li64ELi13ELi5EEvPKT_PKfPKiS7_S7_Pfiiiiiiiiiiiiii15HIP_vector_typeIjLj3EESA_: ; @_ZL13mul_mat_f_idsI15__hip_bfloat162Li64ELi13ELi5EEvPKT_PKfPKiS7_S7_Pfiiiiiiiiiiiiii15HIP_vector_typeIjLj3EESA_
; %bb.0:
	s_load_dwordx2 s[0:1], s[4:5], 0x20
	s_mov_b32 s34, s7
	s_ashr_i32 s35, s7, 31
	s_lshl_b64 s[2:3], s[34:35], 2
	s_waitcnt lgkmcnt(0)
	s_add_u32 s0, s0, s2
	s_addc_u32 s1, s1, s3
	s_load_dwordx2 s[26:27], s[0:1], 0x0
	s_waitcnt lgkmcnt(0)
	s_sub_i32 s33, s27, s26
	s_add_i32 s0, s33, 12
	s_mul_hi_i32 s0, s0, 0x4ec4ec4f
	s_lshr_b32 s1, s0, 31
	s_ashr_i32 s0, s0, 2
	s_add_i32 s0, s0, s1
	s_cmp_ge_i32 s8, s0
	s_cbranch_scc1 .LBB135_160
; %bb.1:
	v_bfe_u32 v108, v0, 10, 10
	v_lshlrev_b32_e32 v110, 6, v108
	v_and_b32_e32 v109, 0x3ff, v0
	s_load_dwordx4 s[12:15], s[4:5], 0x30
	s_load_dwordx2 s[20:21], s[4:5], 0x40
	s_load_dwordx4 s[0:3], s[4:5], 0x4c
	s_load_dwordx4 s[16:19], s[4:5], 0x68
	s_load_dwordx2 s[24:25], s[4:5], 0x78
	v_add_u32_e32 v112, v110, v109
	s_ashr_i32 s27, s26, 31
	s_waitcnt lgkmcnt(0)
	v_cmp_le_i32_e32 vcc, s12, v112
	v_and_b32_e32 v111, 15, v109
                                        ; implicit-def: $sgpr3
	s_and_saveexec_b64 s[10:11], vcc
	s_xor_b64 s[10:11], exec, s[10:11]
; %bb.2:
	v_and_b32_e32 v111, 15, v109
	s_mov_b32 s3, 0
                                        ; implicit-def: $vgpr112
; %bb.3:
	s_or_saveexec_b64 s[22:23], s[10:11]
	s_load_dwordx2 s[10:11], s[4:5], 0x18
                                        ; implicit-def: $vgpr119 : SGPR spill to VGPR lane
	s_lshl_b32 s28, s6, 6
	s_mul_i32 s6, s8, 13
	v_mov_b32_e32 v15, s3
	v_mov_b32_e32 v14, s3
	s_waitcnt lgkmcnt(0)
	v_writelane_b32 v119, s10, 0
	v_writelane_b32 v119, s11, 1
	s_load_dwordx2 s[10:11], s[4:5], 0x28
	v_mov_b32_e32 v13, s3
	v_mov_b32_e32 v12, s3
	;; [unrolled: 1-line block ×4, first 2 shown]
	s_waitcnt lgkmcnt(0)
	v_writelane_b32 v119, s10, 2
	v_writelane_b32 v119, s11, 3
	v_mov_b32_e32 v1, s3
	v_mov_b32_e32 v0, s3
	v_mov_b32_e32 v7, s3
	v_mov_b32_e32 v6, s3
	v_mov_b32_e32 v5, s3
	v_mov_b32_e32 v4, s3
	v_mov_b32_e32 v11, s3
	v_mov_b32_e32 v10, s3
	v_mov_b32_e32 v9, s3
	v_mov_b32_e32 v8, s3
	v_writelane_b32 v119, s22, 4
	v_writelane_b32 v119, s23, 5
	s_xor_b64 exec, exec, s[22:23]
	s_cbranch_execz .LBB135_150
; %bb.4:
	v_writelane_b32 v119, s24, 6
	v_writelane_b32 v119, s25, 7
	s_load_dwordx4 s[8:11], s[4:5], 0x0
	s_load_dwordx2 s[22:23], s[4:5], 0x10
	s_mul_i32 s4, s34, s0
	s_mul_i32 s24, s28, s15
	s_ashr_i32 s5, s4, 31
	s_ashr_i32 s25, s24, 31
	s_lshl_b64 s[24:25], s[24:25], 2
	s_lshl_b64 s[4:5], s[4:5], 2
	s_add_u32 s3, s4, s24
	s_addc_u32 s24, s5, s25
	v_writelane_b32 v119, s28, 8
	s_waitcnt lgkmcnt(0)
	s_add_u32 s0, s3, s8
	s_addc_u32 s25, s24, s9
	v_writelane_b32 v119, s26, 9
	s_lshl_b64 s[4:5], s[26:27], 2
	v_writelane_b32 v119, s27, 10
	s_add_u32 s26, s22, s4
	s_addc_u32 s27, s23, s5
	s_movk_i32 s4, 0x1080
	s_cmp_lt_i32 s6, s33
	v_mad_u32_u24 v0, v108, s4, 0
	s_cselect_b64 s[4:5], -1, 0
	s_ashr_i32 s7, s6, 31
	s_lshl_b64 s[22:23], s[6:7], 2
	s_add_u32 s34, s26, s22
	s_addc_u32 s35, s27, s23
	s_add_i32 s7, s6, 1
	s_cmp_lt_i32 s7, s33
	s_cselect_b64 s[36:37], -1, 0
	s_add_i32 s7, s6, 2
	s_cmp_lt_i32 s7, s33
	v_lshrrev_b32_e32 v3, 1, v109
	s_cselect_b64 s[38:39], -1, 0
	s_add_i32 s7, s6, 3
	v_lshlrev_b32_e32 v1, 2, v109
	v_mul_u32_u24_e32 v2, 0x108, v111
	v_and_b32_e32 v3, 0x1f8, v3
	s_cmp_lt_i32 s7, s33
	v_add_u32_e32 v113, v0, v1
	v_add3_u32 v114, v0, v2, v3
	s_cselect_b64 s[40:41], -1, 0
	s_add_i32 s7, s6, 4
	v_lshlrev_b32_e32 v0, 8, v108
	s_cmp_lt_i32 s7, s33
	v_add_co_u32_e32 v0, vcc, s3, v0
	s_mul_i32 s3, s15, 3
	s_cselect_b64 s[42:43], -1, 0
	s_add_i32 s7, s6, 5
	v_writelane_b32 v119, s3, 11
	s_mul_i32 s3, s15, 5
	s_cmp_lt_i32 s7, s33
	v_writelane_b32 v119, s3, 12
	s_mul_i32 s3, s15, 6
	s_cselect_b64 s[44:45], -1, 0
	s_add_i32 s7, s6, 6
	v_writelane_b32 v119, s3, 13
	s_mul_i32 s3, s15, 7
	s_cmp_lt_i32 s7, s33
	v_writelane_b32 v119, s3, 14
	;; [unrolled: 7-line block ×6, first 2 shown]
	s_mul_i32 s3, s15, 18
	s_cselect_b64 s[54:55], -1, 0
	s_add_i32 s7, s6, 11
	v_writelane_b32 v119, s3, 23
	s_mul_i32 s3, s15, 19
	s_cmp_lt_i32 s7, s33
	v_mov_b32_e32 v2, s24
	v_writelane_b32 v119, s3, 24
	s_mul_i32 s3, s15, 20
	s_cselect_b64 s[56:57], -1, 0
	s_add_i32 s7, s6, 12
	v_addc_co_u32_e32 v2, vcc, 0, v2, vcc
	v_writelane_b32 v119, s3, 25
	s_mul_i32 s3, s15, 21
	s_cmp_lt_i32 s7, s33
	v_add_co_u32_e32 v0, vcc, v0, v1
	v_writelane_b32 v119, s3, 26
	s_mul_i32 s3, s15, 22
	s_cselect_b64 s[58:59], -1, 0
	s_ashr_i32 s23, s15, 31
	s_mov_b32 s22, s15
	v_addc_co_u32_e32 v1, vcc, 0, v2, vcc
	v_writelane_b32 v119, s3, 27
	s_mul_i32 s3, s15, 23
	s_lshl_b64 s[60:61], s[22:23], 2
	v_mov_b32_e32 v2, s9
	v_add_co_u32_e32 v16, vcc, s8, v0
	v_writelane_b32 v119, s3, 28
	s_mul_i32 s3, s15, 24
	v_mov_b32_e32 v116, 0
	v_addc_co_u32_e32 v17, vcc, v2, v1, vcc
	s_lshl_b32 s7, s15, 1
	s_lshl_b32 s65, s15, 2
	;; [unrolled: 1-line block ×4, first 2 shown]
	v_writelane_b32 v119, s3, 29
	s_mul_i32 s86, s15, 25
	s_mul_i32 s87, s15, 26
	;; [unrolled: 1-line block ×5, first 2 shown]
	v_mov_b32_e32 v115, s25
	s_mul_i32 s91, s15, 30
	v_mov_b32_e32 v117, s61
	v_mov_b32_e32 v8, 0
	;; [unrolled: 1-line block ×17, first 2 shown]
	s_mul_i32 s61, s15, 31
	s_lshl_b32 s92, s15, 5
	s_mul_i32 s93, s15, 33
	s_mul_i32 s94, s15, 34
	;; [unrolled: 1-line block ×31, first 2 shown]
	s_mov_b32 s83, 0x7f800000
	s_movk_i32 s84, 0x7fff
	s_mov_b32 s85, 0x7060302
	s_mov_b64 s[8:9], 0
	s_branch .LBB135_6
.LBB135_5:                              ;   in Loop: Header=BB135_6 Depth=1
	s_or_b64 exec, exec, s[62:63]
	v_perm_b32 v82, v82, v84, s85
	v_add_u32_e32 v83, 0xc00, v113
	ds_write2_b32 v83, v82, v116 offset0:24 offset1:90
	ds_write2_b32 v83, v116, v116 offset0:156 offset1:222
	ds_read2_b64 v[82:85], v114 offset1:4
	v_add_co_u32_e32 v16, vcc, 0x500, v16
	v_add_u32_e32 v112, 0x140, v112
	s_waitcnt lgkmcnt(0)
	v_mfma_f32_16x16x16bf16_1k v[8:11], v[34:35], v[82:83], v[8:11]
	v_addc_co_u32_e32 v17, vcc, 0, v17, vcc
	v_cmp_le_i32_e32 vcc, s12, v112
	s_or_b64 s[8:9], vcc, s[8:9]
	v_mfma_f32_16x16x16bf16_1k v[4:7], v[50:51], v[82:83], v[4:7]
	v_mfma_f32_16x16x16bf16_1k v[0:3], v[64:65], v[82:83], v[0:3]
	;; [unrolled: 1-line block ×6, first 2 shown]
	ds_read2_b64 v[62:65], v114 offset0:8 offset1:12
	v_mfma_f32_16x16x16bf16_1k v[12:15], v[78:79], v[84:85], v[12:15]
	s_waitcnt lgkmcnt(0)
	v_mfma_f32_16x16x16bf16_1k v[8:11], v[28:29], v[62:63], v[8:11]
	v_mfma_f32_16x16x16bf16_1k v[4:7], v[44:45], v[62:63], v[4:7]
	;; [unrolled: 1-line block ×5, first 2 shown]
	ds_read2_b64 v[26:29], v114 offset0:16 offset1:20
	v_mfma_f32_16x16x16bf16_1k v[4:7], v[42:43], v[64:65], v[4:7]
	v_mfma_f32_16x16x16bf16_1k v[0:3], v[58:59], v[64:65], v[0:3]
	;; [unrolled: 1-line block ×3, first 2 shown]
	s_waitcnt lgkmcnt(0)
	v_mfma_f32_16x16x16bf16_1k v[8:11], v[24:25], v[26:27], v[8:11]
	v_mfma_f32_16x16x16bf16_1k v[4:7], v[40:41], v[26:27], v[4:7]
	;; [unrolled: 1-line block ×5, first 2 shown]
	ds_read2_b64 v[22:25], v114 offset0:24 offset1:28
	v_mfma_f32_16x16x16bf16_1k v[4:7], v[38:39], v[28:29], v[4:7]
	v_mfma_f32_16x16x16bf16_1k v[0:3], v[54:55], v[28:29], v[0:3]
	;; [unrolled: 1-line block ×3, first 2 shown]
	s_waitcnt lgkmcnt(0)
	v_mfma_f32_16x16x16bf16_1k v[8:11], v[20:21], v[22:23], v[8:11]
	v_mfma_f32_16x16x16bf16_1k v[4:7], v[36:37], v[22:23], v[4:7]
	;; [unrolled: 1-line block ×8, first 2 shown]
	s_andn2_b64 exec, exec, s[8:9]
	s_cbranch_execz .LBB135_149
.LBB135_6:                              ; =>This Inner Loop Header: Depth=1
	v_add_co_u32_e32 v18, vcc, s60, v16
	v_addc_co_u32_e32 v19, vcc, v17, v117, vcc
	global_load_dword v30, v[16:17], off
	global_load_dword v31, v[18:19], off
	v_add_u32_e32 v18, s7, v112
	v_ashrrev_i32_e32 v19, 31, v18
	v_readlane_b32 s62, v119, 11
	v_lshlrev_b64 v[18:19], 2, v[18:19]
	v_add_u32_e32 v20, s62, v112
	v_add_co_u32_e32 v18, vcc, s0, v18
	v_ashrrev_i32_e32 v21, 31, v20
	v_addc_co_u32_e32 v19, vcc, v115, v19, vcc
	v_lshlrev_b64 v[20:21], 2, v[20:21]
	v_add_u32_e32 v22, s65, v112
	v_add_co_u32_e32 v20, vcc, s0, v20
	v_ashrrev_i32_e32 v23, 31, v22
	v_readlane_b32 s62, v119, 12
	v_addc_co_u32_e32 v21, vcc, v115, v21, vcc
	v_lshlrev_b64 v[22:23], 2, v[22:23]
	v_add_u32_e32 v24, s62, v112
	v_add_co_u32_e32 v22, vcc, s0, v22
	v_ashrrev_i32_e32 v25, 31, v24
	v_readlane_b32 s62, v119, 13
	;; [unrolled: 6-line block ×3, first 2 shown]
	v_addc_co_u32_e32 v25, vcc, v115, v25, vcc
	v_lshlrev_b64 v[26:27], 2, v[26:27]
	v_add_u32_e32 v28, s62, v112
	v_add_co_u32_e32 v26, vcc, s0, v26
	v_ashrrev_i32_e32 v29, 31, v28
	v_addc_co_u32_e32 v27, vcc, v115, v27, vcc
	v_lshlrev_b64 v[28:29], 2, v[28:29]
	v_add_co_u32_e32 v28, vcc, s0, v28
	v_addc_co_u32_e32 v29, vcc, v115, v29, vcc
	global_load_dword v32, v[18:19], off
	global_load_dword v33, v[20:21], off
	;; [unrolled: 1-line block ×3, first 2 shown]
	s_nop 0
	global_load_dword v24, v[24:25], off
	s_nop 0
	global_load_dword v25, v[26:27], off
	;; [unrolled: 2-line block ×3, first 2 shown]
	v_add_u32_e32 v18, s69, v112
	v_readlane_b32 s62, v119, 15
	v_ashrrev_i32_e32 v19, 31, v18
	v_add_u32_e32 v20, s62, v112
	v_lshlrev_b64 v[18:19], 2, v[18:19]
	v_readlane_b32 s62, v119, 16
	v_ashrrev_i32_e32 v21, 31, v20
	v_add_co_u32_e32 v18, vcc, s0, v18
	v_add_u32_e32 v22, s62, v112
	v_lshlrev_b64 v[20:21], 2, v[20:21]
	v_addc_co_u32_e32 v19, vcc, v115, v19, vcc
	v_ashrrev_i32_e32 v23, 31, v22
	v_add_co_u32_e32 v20, vcc, s0, v20
	v_readlane_b32 s62, v119, 17
	v_lshlrev_b64 v[22:23], 2, v[22:23]
	v_addc_co_u32_e32 v21, vcc, v115, v21, vcc
	global_load_dword v18, v[18:19], off
	s_nop 0
	global_load_dword v19, v[20:21], off
	v_add_u32_e32 v20, s62, v112
	v_add_co_u32_e32 v22, vcc, s0, v22
	v_ashrrev_i32_e32 v21, 31, v20
	v_addc_co_u32_e32 v23, vcc, v115, v23, vcc
	v_lshlrev_b64 v[20:21], 2, v[20:21]
	v_readlane_b32 s62, v119, 18
	v_add_u32_e32 v58, s29, v112
	v_ashrrev_i32_e32 v59, 31, v58
	v_lshlrev_b64 v[58:59], 2, v[58:59]
	v_mov_b32_e32 v106, 0
	v_mov_b32_e32 v107, 0
	s_waitcnt vmcnt(9)
	ds_write_b32 v113, v30
	s_waitcnt vmcnt(8)
	ds_write_b32 v113, v31 offset:264
	s_waitcnt vmcnt(7)
	ds_write_b32 v113, v32 offset:528
	;; [unrolled: 2-line block ×7, first 2 shown]
	v_add_co_u32_e32 v24, vcc, s0, v20
	v_add_u32_e32 v20, s62, v112
	v_addc_co_u32_e32 v25, vcc, v115, v21, vcc
	v_ashrrev_i32_e32 v21, 31, v20
	v_lshlrev_b64 v[20:21], 2, v[20:21]
	v_readlane_b32 s62, v119, 19
	v_add_co_u32_e32 v26, vcc, s0, v20
	v_add_u32_e32 v20, s62, v112
	v_addc_co_u32_e32 v27, vcc, v115, v21, vcc
	v_ashrrev_i32_e32 v21, 31, v20
	v_lshlrev_b64 v[20:21], 2, v[20:21]
	v_readlane_b32 s62, v119, 20
	;; [unrolled: 6-line block ×3, first 2 shown]
	v_add_co_u32_e32 v30, vcc, s0, v20
	v_add_u32_e32 v20, s62, v112
	v_addc_co_u32_e32 v31, vcc, v115, v21, vcc
	v_ashrrev_i32_e32 v21, 31, v20
	v_lshlrev_b64 v[20:21], 2, v[20:21]
	v_add_co_u32_e32 v32, vcc, s0, v20
	v_add_u32_e32 v20, s77, v112
	v_addc_co_u32_e32 v33, vcc, v115, v21, vcc
	v_ashrrev_i32_e32 v21, 31, v20
	v_lshlrev_b64 v[20:21], 2, v[20:21]
	v_readlane_b32 s62, v119, 22
	v_add_co_u32_e32 v34, vcc, s0, v20
	v_add_u32_e32 v20, s62, v112
	v_addc_co_u32_e32 v35, vcc, v115, v21, vcc
	v_ashrrev_i32_e32 v21, 31, v20
	v_lshlrev_b64 v[20:21], 2, v[20:21]
	v_add_co_u32_e32 v36, vcc, s0, v20
	v_readlane_b32 s62, v119, 23
	v_addc_co_u32_e32 v37, vcc, v115, v21, vcc
	global_load_dword v20, v[22:23], off
	global_load_dword v21, v[24:25], off
	s_nop 0
	global_load_dword v22, v[26:27], off
	global_load_dword v23, v[28:29], off
	;; [unrolled: 1-line block ×4, first 2 shown]
	s_nop 0
	global_load_dword v32, v[34:35], off
	global_load_dword v33, v[36:37], off
	v_add_u32_e32 v26, s62, v112
	v_ashrrev_i32_e32 v27, 31, v26
	v_readlane_b32 s62, v119, 24
	v_lshlrev_b64 v[26:27], 2, v[26:27]
	v_add_u32_e32 v28, s62, v112
	v_add_co_u32_e32 v26, vcc, s0, v26
	v_ashrrev_i32_e32 v29, 31, v28
	v_readlane_b32 s62, v119, 25
	v_addc_co_u32_e32 v27, vcc, v115, v27, vcc
	v_lshlrev_b64 v[28:29], 2, v[28:29]
	v_add_u32_e32 v30, s62, v112
	v_add_co_u32_e32 v28, vcc, s0, v28
	v_ashrrev_i32_e32 v31, 31, v30
	v_readlane_b32 s62, v119, 26
	v_addc_co_u32_e32 v29, vcc, v115, v29, vcc
	;; [unrolled: 6-line block ×3, first 2 shown]
	v_lshlrev_b64 v[34:35], 2, v[34:35]
	v_add_u32_e32 v36, s62, v112
	v_add_co_u32_e32 v34, vcc, s0, v34
	v_ashrrev_i32_e32 v37, 31, v36
	v_addc_co_u32_e32 v35, vcc, v115, v35, vcc
	v_lshlrev_b64 v[36:37], 2, v[36:37]
	v_readlane_b32 s62, v119, 28
	v_add_co_u32_e32 v40, vcc, s0, v36
	v_add_u32_e32 v36, s62, v112
	v_addc_co_u32_e32 v41, vcc, v115, v37, vcc
	v_ashrrev_i32_e32 v37, 31, v36
	v_lshlrev_b64 v[36:37], 2, v[36:37]
	v_readlane_b32 s62, v119, 29
	v_add_co_u32_e32 v42, vcc, s0, v36
	v_add_u32_e32 v36, s62, v112
	v_addc_co_u32_e32 v43, vcc, v115, v37, vcc
	v_ashrrev_i32_e32 v37, 31, v36
	v_lshlrev_b64 v[36:37], 2, v[36:37]
	v_add_co_u32_e32 v44, vcc, s0, v36
	v_add_u32_e32 v36, s86, v112
	v_addc_co_u32_e32 v45, vcc, v115, v37, vcc
	v_ashrrev_i32_e32 v37, 31, v36
	v_lshlrev_b64 v[36:37], 2, v[36:37]
	v_add_co_u32_e32 v46, vcc, s0, v36
	v_addc_co_u32_e32 v47, vcc, v115, v37, vcc
	global_load_dword v36, v[26:27], off
	global_load_dword v37, v[28:29], off
	global_load_dword v38, v[30:31], off
	global_load_dword v39, v[34:35], off
	s_nop 0
	global_load_dword v40, v[40:41], off
	s_nop 0
	global_load_dword v41, v[42:43], off
	;; [unrolled: 2-line block ×3, first 2 shown]
	global_load_dword v43, v[46:47], off
	v_add_u32_e32 v26, s87, v112
	v_ashrrev_i32_e32 v27, 31, v26
	v_lshlrev_b64 v[26:27], 2, v[26:27]
	v_add_u32_e32 v28, s88, v112
	v_add_co_u32_e32 v26, vcc, s0, v26
	v_ashrrev_i32_e32 v29, 31, v28
	v_addc_co_u32_e32 v27, vcc, v115, v27, vcc
	v_lshlrev_b64 v[28:29], 2, v[28:29]
	v_add_u32_e32 v30, s89, v112
	v_add_co_u32_e32 v28, vcc, s0, v28
	v_ashrrev_i32_e32 v31, 31, v30
	v_addc_co_u32_e32 v29, vcc, v115, v29, vcc
	v_lshlrev_b64 v[30:31], 2, v[30:31]
	v_add_u32_e32 v34, s90, v112
	v_add_co_u32_e32 v30, vcc, s0, v30
	v_ashrrev_i32_e32 v35, 31, v34
	v_addc_co_u32_e32 v31, vcc, v115, v31, vcc
	v_lshlrev_b64 v[34:35], 2, v[34:35]
	v_add_u32_e32 v44, s91, v112
	v_add_co_u32_e32 v34, vcc, s0, v34
	v_ashrrev_i32_e32 v45, 31, v44
	v_addc_co_u32_e32 v35, vcc, v115, v35, vcc
	v_lshlrev_b64 v[44:45], 2, v[44:45]
	v_add_co_u32_e32 v48, vcc, s0, v44
	v_add_u32_e32 v44, s61, v112
	v_addc_co_u32_e32 v49, vcc, v115, v45, vcc
	v_ashrrev_i32_e32 v45, 31, v44
	v_lshlrev_b64 v[44:45], 2, v[44:45]
	v_add_co_u32_e32 v52, vcc, s0, v44
	v_add_u32_e32 v44, s92, v112
	v_addc_co_u32_e32 v53, vcc, v115, v45, vcc
	v_ashrrev_i32_e32 v45, 31, v44
	;; [unrolled: 5-line block ×3, first 2 shown]
	v_lshlrev_b64 v[44:45], 2, v[44:45]
	v_add_co_u32_e32 v56, vcc, s0, v44
	v_addc_co_u32_e32 v57, vcc, v115, v45, vcc
	global_load_dword v44, v[26:27], off
	global_load_dword v45, v[28:29], off
	;; [unrolled: 1-line block ×6, first 2 shown]
	s_nop 0
	global_load_dword v48, v[54:55], off
	global_load_dword v49, v[56:57], off
	v_add_u32_e32 v26, s94, v112
	v_ashrrev_i32_e32 v27, 31, v26
	v_lshlrev_b64 v[26:27], 2, v[26:27]
	v_add_u32_e32 v28, s95, v112
	v_add_co_u32_e32 v26, vcc, s0, v26
	v_ashrrev_i32_e32 v29, 31, v28
	v_addc_co_u32_e32 v27, vcc, v115, v27, vcc
	v_lshlrev_b64 v[28:29], 2, v[28:29]
	v_add_u32_e32 v30, s24, v112
	v_add_co_u32_e32 v28, vcc, s0, v28
	v_ashrrev_i32_e32 v31, 31, v30
	v_addc_co_u32_e32 v29, vcc, v115, v29, vcc
	;; [unrolled: 5-line block ×6, first 2 shown]
	v_lshlrev_b64 v[56:57], 2, v[56:57]
	v_add_co_u32_e32 v56, vcc, s0, v56
	v_addc_co_u32_e32 v57, vcc, v115, v57, vcc
	v_add_co_u32_e32 v58, vcc, s0, v58
	v_addc_co_u32_e32 v59, vcc, v115, v59, vcc
	global_load_dword v60, v[26:27], off
	global_load_dword v61, v[28:29], off
	;; [unrolled: 1-line block ×8, first 2 shown]
	v_add_u32_e32 v26, s3, v112
	v_ashrrev_i32_e32 v27, 31, v26
	v_lshlrev_b64 v[26:27], 2, v[26:27]
	v_add_u32_e32 v28, s30, v112
	v_add_co_u32_e32 v26, vcc, s0, v26
	v_ashrrev_i32_e32 v29, 31, v28
	v_addc_co_u32_e32 v27, vcc, v115, v27, vcc
	v_lshlrev_b64 v[28:29], 2, v[28:29]
	v_add_u32_e32 v30, s31, v112
	v_add_co_u32_e32 v28, vcc, s0, v28
	v_ashrrev_i32_e32 v31, 31, v30
	v_addc_co_u32_e32 v29, vcc, v115, v29, vcc
	v_lshlrev_b64 v[30:31], 2, v[30:31]
	v_add_u32_e32 v34, s26, v112
	v_add_co_u32_e32 v30, vcc, s0, v30
	v_ashrrev_i32_e32 v35, 31, v34
	v_addc_co_u32_e32 v31, vcc, v115, v31, vcc
	v_lshlrev_b64 v[34:35], 2, v[34:35]
	v_add_u32_e32 v52, s27, v112
	v_add_co_u32_e32 v34, vcc, s0, v34
	v_ashrrev_i32_e32 v53, 31, v52
	v_addc_co_u32_e32 v35, vcc, v115, v35, vcc
	v_lshlrev_b64 v[52:53], 2, v[52:53]
	v_add_u32_e32 v54, s64, v112
	v_add_co_u32_e32 v52, vcc, s0, v52
	v_ashrrev_i32_e32 v55, 31, v54
	v_addc_co_u32_e32 v53, vcc, v115, v53, vcc
	v_lshlrev_b64 v[54:55], 2, v[54:55]
	v_add_u32_e32 v56, s66, v112
	v_add_co_u32_e32 v54, vcc, s0, v54
	v_ashrrev_i32_e32 v57, 31, v56
	v_addc_co_u32_e32 v55, vcc, v115, v55, vcc
	v_lshlrev_b64 v[56:57], 2, v[56:57]
	v_add_u32_e32 v58, s67, v112
	v_add_co_u32_e32 v56, vcc, s0, v56
	v_ashrrev_i32_e32 v59, 31, v58
	v_addc_co_u32_e32 v57, vcc, v115, v57, vcc
	v_lshlrev_b64 v[58:59], 2, v[58:59]
	v_add_co_u32_e32 v58, vcc, s0, v58
	v_addc_co_u32_e32 v59, vcc, v115, v59, vcc
	global_load_dword v68, v[26:27], off
	global_load_dword v69, v[28:29], off
	global_load_dword v70, v[30:31], off
	global_load_dword v71, v[34:35], off
	global_load_dword v72, v[52:53], off
	global_load_dword v73, v[54:55], off
	global_load_dword v74, v[56:57], off
	global_load_dword v75, v[58:59], off
	v_add_u32_e32 v26, s68, v112
	v_ashrrev_i32_e32 v27, 31, v26
	v_lshlrev_b64 v[26:27], 2, v[26:27]
	v_add_u32_e32 v28, s70, v112
	v_add_co_u32_e32 v26, vcc, s0, v26
	v_ashrrev_i32_e32 v29, 31, v28
	v_addc_co_u32_e32 v27, vcc, v115, v27, vcc
	v_lshlrev_b64 v[28:29], 2, v[28:29]
	v_add_u32_e32 v30, s71, v112
	v_add_co_u32_e32 v28, vcc, s0, v28
	v_ashrrev_i32_e32 v31, 31, v30
	v_addc_co_u32_e32 v29, vcc, v115, v29, vcc
	;; [unrolled: 5-line block ×7, first 2 shown]
	v_lshlrev_b64 v[58:59], 2, v[58:59]
	v_add_co_u32_e32 v58, vcc, s0, v58
	v_addc_co_u32_e32 v59, vcc, v115, v59, vcc
	global_load_dword v76, v[26:27], off
	global_load_dword v77, v[28:29], off
	;; [unrolled: 1-line block ×8, first 2 shown]
	v_add_u32_e32 v26, s78, v112
	v_ashrrev_i32_e32 v27, 31, v26
	v_lshlrev_b64 v[26:27], 2, v[26:27]
	v_add_u32_e32 v28, s79, v112
	v_add_co_u32_e32 v26, vcc, s0, v26
	v_ashrrev_i32_e32 v29, 31, v28
	v_addc_co_u32_e32 v27, vcc, v115, v27, vcc
	v_lshlrev_b64 v[28:29], 2, v[28:29]
	v_add_u32_e32 v30, s80, v112
	v_add_co_u32_e32 v28, vcc, s0, v28
	v_ashrrev_i32_e32 v31, 31, v30
	v_addc_co_u32_e32 v29, vcc, v115, v29, vcc
	;; [unrolled: 5-line block ×5, first 2 shown]
	v_lshlrev_b64 v[54:55], 2, v[54:55]
	v_add_co_u32_e32 v54, vcc, s0, v54
	v_addc_co_u32_e32 v55, vcc, v115, v55, vcc
	global_load_dword v84, v[26:27], off
	global_load_dword v85, v[28:29], off
	;; [unrolled: 1-line block ×6, first 2 shown]
	s_waitcnt vmcnt(55)
	ds_write_b32 v113, v18 offset:2112
	s_waitcnt vmcnt(54)
	ds_write_b32 v113, v19 offset:2376
	s_waitcnt vmcnt(53)
	ds_write_b32 v113, v20 offset:2640
	s_waitcnt vmcnt(52)
	ds_write_b32 v113, v21 offset:2904
	s_waitcnt vmcnt(51)
	ds_write_b32 v113, v22 offset:3168
	s_waitcnt vmcnt(50)
	ds_write_b32 v113, v23 offset:3432
	s_waitcnt vmcnt(49)
	ds_write_b32 v113, v24 offset:3696
	s_waitcnt vmcnt(48)
	ds_write_b32 v113, v25 offset:3960
	ds_read_b64 v[34:35], v114
	ds_read_b64 v[30:31], v114 offset:32
	ds_read_b64 v[28:29], v114 offset:64
	ds_read_b64 v[26:27], v114 offset:96
	ds_read_b64 v[24:25], v114 offset:128
	ds_read_b64 v[22:23], v114 offset:160
	ds_read_b64 v[20:21], v114 offset:192
	ds_read_b64 v[18:19], v114 offset:224
	s_waitcnt vmcnt(47)
	ds_write_b32 v113, v32
	s_waitcnt vmcnt(46)
	ds_write_b32 v113, v33 offset:264
	s_waitcnt vmcnt(45)
	ds_write_b32 v113, v36 offset:528
	s_waitcnt vmcnt(44)
	ds_write_b32 v113, v37 offset:792
	s_waitcnt vmcnt(43)
	ds_write_b32 v113, v38 offset:1056
	s_waitcnt vmcnt(42)
	ds_write_b32 v113, v39 offset:1320
	s_waitcnt vmcnt(41)
	ds_write_b32 v113, v40 offset:1584
	s_waitcnt vmcnt(40)
	ds_write_b32 v113, v41 offset:1848
	s_waitcnt vmcnt(39)
	ds_write_b32 v113, v42 offset:2112
	s_waitcnt vmcnt(38)
	ds_write_b32 v113, v43 offset:2376
	s_waitcnt vmcnt(37)
	ds_write_b32 v113, v44 offset:2640
	s_waitcnt vmcnt(36)
	ds_write_b32 v113, v45 offset:2904
	s_waitcnt vmcnt(35)
	ds_write_b32 v113, v46 offset:3168
	s_waitcnt vmcnt(34)
	ds_write_b32 v113, v47 offset:3432
	s_waitcnt vmcnt(33)
	ds_write_b32 v113, v50 offset:3696
	s_waitcnt vmcnt(32)
	ds_write_b32 v113, v51 offset:3960
	ds_read_b64 v[50:51], v114
	ds_read_b64 v[46:47], v114 offset:32
	ds_read_b64 v[44:45], v114 offset:64
	ds_read_b64 v[42:43], v114 offset:96
	ds_read_b64 v[40:41], v114 offset:128
	ds_read_b64 v[38:39], v114 offset:160
	ds_read_b64 v[36:37], v114 offset:192
	ds_read_b64 v[32:33], v114 offset:224
	s_waitcnt vmcnt(31)
	ds_write_b32 v113, v48
	s_waitcnt vmcnt(30)
	ds_write_b32 v113, v49 offset:264
	s_waitcnt vmcnt(29)
	ds_write_b32 v113, v60 offset:528
	s_waitcnt vmcnt(28)
	ds_write_b32 v113, v61 offset:792
	s_waitcnt vmcnt(27)
	ds_write_b32 v113, v62 offset:1056
	s_waitcnt vmcnt(26)
	ds_write_b32 v113, v63 offset:1320
	s_waitcnt vmcnt(25)
	ds_write_b32 v113, v64 offset:1584
	s_waitcnt vmcnt(24)
	ds_write_b32 v113, v65 offset:1848
	;; [unrolled: 40-line block ×3, first 2 shown]
	s_waitcnt vmcnt(7)
	ds_write_b32 v113, v82 offset:2112
	s_waitcnt vmcnt(6)
	ds_write_b32 v113, v83 offset:2376
	;; [unrolled: 2-line block ×8, first 2 shown]
	ds_read_b64 v[80:81], v114
	ds_read_b64 v[78:79], v114 offset:32
	ds_read_b64 v[76:77], v114 offset:64
	ds_read_b64 v[74:75], v114 offset:96
	ds_read_b64 v[72:73], v114 offset:128
	ds_read_b64 v[70:71], v114 offset:160
	ds_read_b64 v[68:69], v114 offset:192
	ds_read_b64 v[66:67], v114 offset:224
	s_andn2_b64 vcc, exec, s[4:5]
	s_cbranch_vccnz .LBB135_9
; %bb.7:                                ;   in Loop: Header=BB135_6 Depth=1
	s_load_dword s62, s[34:35], 0x0
	v_mov_b32_e32 v107, 0
	v_mov_b32_e32 v106, 0
	s_waitcnt lgkmcnt(0)
	s_mul_hi_u32 s63, s62, s16
	s_add_i32 s63, s62, s63
	s_lshr_b32 s63, s63, s17
	s_cmp_ge_i32 s63, s13
	s_cbranch_scc1 .LBB135_9
; %bb.8:                                ;   in Loop: Header=BB135_6 Depth=1
	s_mul_i32 vcc_lo, s63, s18
	s_sub_i32 s62, s62, vcc_lo
	s_mul_i32 s63, s63, s20
	s_mul_i32 s62, s62, s1
	v_add_u32_e32 v82, s63, v112
	v_lshl_add_u32 v82, v82, 1, s62
	v_ashrrev_i32_e32 v83, 31, v82
	v_lshlrev_b64 v[82:83], 2, v[82:83]
	v_mov_b32_e32 v84, s11
	v_add_co_u32_e32 v82, vcc, s10, v82
	v_addc_co_u32_e32 v83, vcc, v84, v83, vcc
	global_load_dwordx2 v[106:107], v[82:83], off
.LBB135_9:                              ;   in Loop: Header=BB135_6 Depth=1
	s_andn2_b64 vcc, exec, s[36:37]
	v_mov_b32_e32 v100, 0
	v_mov_b32_e32 v104, 0
	v_mov_b32_e32 v105, 0
	s_cbranch_vccnz .LBB135_12
; %bb.10:                               ;   in Loop: Header=BB135_6 Depth=1
	s_load_dword s62, s[34:35], 0x4
	v_mov_b32_e32 v105, 0
	v_mov_b32_e32 v104, 0
	s_waitcnt lgkmcnt(0)
	s_mul_hi_u32 s63, s62, s16
	s_add_i32 s63, s62, s63
	s_lshr_b32 s63, s63, s17
	s_cmp_ge_i32 s63, s13
	s_cbranch_scc1 .LBB135_12
; %bb.11:                               ;   in Loop: Header=BB135_6 Depth=1
	s_mul_i32 vcc_lo, s63, s18
	s_sub_i32 s62, s62, vcc_lo
	s_mul_i32 s63, s63, s20
	s_mul_i32 s62, s62, s1
	v_add_u32_e32 v82, s63, v112
	v_lshl_add_u32 v82, v82, 1, s62
	v_ashrrev_i32_e32 v83, 31, v82
	v_lshlrev_b64 v[82:83], 2, v[82:83]
	v_mov_b32_e32 v84, s11
	v_add_co_u32_e32 v82, vcc, s10, v82
	v_addc_co_u32_e32 v83, vcc, v84, v83, vcc
	global_load_dwordx2 v[104:105], v[82:83], off
.LBB135_12:                             ;   in Loop: Header=BB135_6 Depth=1
	s_andn2_b64 vcc, exec, s[38:39]
	v_mov_b32_e32 v101, 0
	s_cbranch_vccnz .LBB135_15
; %bb.13:                               ;   in Loop: Header=BB135_6 Depth=1
	s_load_dword s62, s[34:35], 0x8
	v_mov_b32_e32 v101, 0
	v_mov_b32_e32 v100, 0
	s_waitcnt lgkmcnt(0)
	s_mul_hi_u32 s63, s62, s16
	s_add_i32 s63, s62, s63
	s_lshr_b32 s63, s63, s17
	s_cmp_ge_i32 s63, s13
	s_cbranch_scc1 .LBB135_15
; %bb.14:                               ;   in Loop: Header=BB135_6 Depth=1
	s_mul_i32 vcc_lo, s63, s18
	s_sub_i32 s62, s62, vcc_lo
	s_mul_i32 s63, s63, s20
	s_mul_i32 s62, s62, s1
	v_add_u32_e32 v82, s63, v112
	v_lshl_add_u32 v82, v82, 1, s62
	v_ashrrev_i32_e32 v83, 31, v82
	v_lshlrev_b64 v[82:83], 2, v[82:83]
	v_mov_b32_e32 v84, s11
	v_add_co_u32_e32 v82, vcc, s10, v82
	v_addc_co_u32_e32 v83, vcc, v84, v83, vcc
	global_load_dwordx2 v[100:101], v[82:83], off
.LBB135_15:                             ;   in Loop: Header=BB135_6 Depth=1
	s_andn2_b64 vcc, exec, s[40:41]
	v_mov_b32_e32 v96, 0
	v_mov_b32_e32 v102, 0
	v_mov_b32_e32 v103, 0
	s_cbranch_vccnz .LBB135_18
; %bb.16:                               ;   in Loop: Header=BB135_6 Depth=1
	s_load_dword s62, s[34:35], 0xc
	v_mov_b32_e32 v103, 0
	v_mov_b32_e32 v102, 0
	s_waitcnt lgkmcnt(0)
	s_mul_hi_u32 s63, s62, s16
	s_add_i32 s63, s62, s63
	s_lshr_b32 s63, s63, s17
	s_cmp_ge_i32 s63, s13
	s_cbranch_scc1 .LBB135_18
; %bb.17:                               ;   in Loop: Header=BB135_6 Depth=1
	s_mul_i32 vcc_lo, s63, s18
	s_sub_i32 s62, s62, vcc_lo
	s_mul_i32 s63, s63, s20
	s_mul_i32 s62, s62, s1
	v_add_u32_e32 v82, s63, v112
	v_lshl_add_u32 v82, v82, 1, s62
	v_ashrrev_i32_e32 v83, 31, v82
	v_lshlrev_b64 v[82:83], 2, v[82:83]
	v_mov_b32_e32 v84, s11
	v_add_co_u32_e32 v82, vcc, s10, v82
	v_addc_co_u32_e32 v83, vcc, v84, v83, vcc
	global_load_dwordx2 v[102:103], v[82:83], off
.LBB135_18:                             ;   in Loop: Header=BB135_6 Depth=1
	s_andn2_b64 vcc, exec, s[42:43]
	v_mov_b32_e32 v97, 0
	s_cbranch_vccnz .LBB135_21
; %bb.19:                               ;   in Loop: Header=BB135_6 Depth=1
	s_load_dword s62, s[34:35], 0x10
	v_mov_b32_e32 v97, 0
	v_mov_b32_e32 v96, 0
	s_waitcnt lgkmcnt(0)
	s_mul_hi_u32 s63, s62, s16
	s_add_i32 s63, s62, s63
	s_lshr_b32 s63, s63, s17
	s_cmp_ge_i32 s63, s13
	s_cbranch_scc1 .LBB135_21
; %bb.20:                               ;   in Loop: Header=BB135_6 Depth=1
	s_mul_i32 vcc_lo, s63, s18
	s_sub_i32 s62, s62, vcc_lo
	s_mul_i32 s63, s63, s20
	s_mul_i32 s62, s62, s1
	v_add_u32_e32 v82, s63, v112
	v_lshl_add_u32 v82, v82, 1, s62
	v_ashrrev_i32_e32 v83, 31, v82
	v_lshlrev_b64 v[82:83], 2, v[82:83]
	v_mov_b32_e32 v84, s11
	v_add_co_u32_e32 v82, vcc, s10, v82
	v_addc_co_u32_e32 v83, vcc, v84, v83, vcc
	global_load_dwordx2 v[96:97], v[82:83], off
.LBB135_21:                             ;   in Loop: Header=BB135_6 Depth=1
	;; [unrolled: 56-line block ×6, first 2 shown]
	s_waitcnt vmcnt(0)
	v_and_b32_e32 v118, 0x7f800000, v106
	v_cmp_ne_u32_e32 vcc, s83, v118
                                        ; implicit-def: $vgpr118
	s_and_saveexec_b64 s[62:63], vcc
	s_xor_b64 s[62:63], exec, s[62:63]
; %bb.46:                               ;   in Loop: Header=BB135_6 Depth=1
	v_bfe_u32 v118, v106, 16, 1
	v_add3_u32 v118, v106, v118, s84
; %bb.47:                               ;   in Loop: Header=BB135_6 Depth=1
	s_andn2_saveexec_b64 s[62:63], s[62:63]
; %bb.48:                               ;   in Loop: Header=BB135_6 Depth=1
	v_or_b32_e32 v118, 0x10000, v106
	v_cmp_eq_u32_sdwa vcc, v106, v116 src0_sel:WORD_0 src1_sel:DWORD
	v_cndmask_b32_e32 v118, v118, v106, vcc
; %bb.49:                               ;   in Loop: Header=BB135_6 Depth=1
	s_or_b64 exec, exec, s[62:63]
	v_and_b32_e32 v106, 0x7f800000, v107
	v_cmp_ne_u32_e32 vcc, s83, v106
                                        ; implicit-def: $vgpr106
	s_and_saveexec_b64 s[62:63], vcc
	s_xor_b64 s[62:63], exec, s[62:63]
; %bb.50:                               ;   in Loop: Header=BB135_6 Depth=1
	v_bfe_u32 v106, v107, 16, 1
	v_add3_u32 v106, v107, v106, s84
                                        ; implicit-def: $vgpr107
; %bb.51:                               ;   in Loop: Header=BB135_6 Depth=1
	s_andn2_saveexec_b64 s[62:63], s[62:63]
; %bb.52:                               ;   in Loop: Header=BB135_6 Depth=1
	v_or_b32_e32 v106, 0x10000, v107
	v_cmp_eq_u32_sdwa vcc, v107, v116 src0_sel:WORD_0 src1_sel:DWORD
	v_cndmask_b32_e32 v106, v106, v107, vcc
; %bb.53:                               ;   in Loop: Header=BB135_6 Depth=1
	s_or_b64 exec, exec, s[62:63]
	v_perm_b32 v106, v106, v118, s85
	ds_write_b32 v113, v106
	v_and_b32_e32 v106, 0x7f800000, v104
	v_cmp_ne_u32_e32 vcc, s83, v106
                                        ; implicit-def: $vgpr106
	s_and_saveexec_b64 s[62:63], vcc
	s_xor_b64 s[62:63], exec, s[62:63]
; %bb.54:                               ;   in Loop: Header=BB135_6 Depth=1
	v_bfe_u32 v106, v104, 16, 1
	v_add3_u32 v106, v104, v106, s84
; %bb.55:                               ;   in Loop: Header=BB135_6 Depth=1
	s_andn2_saveexec_b64 s[62:63], s[62:63]
; %bb.56:                               ;   in Loop: Header=BB135_6 Depth=1
	v_or_b32_e32 v106, 0x10000, v104
	v_cmp_eq_u32_sdwa vcc, v104, v116 src0_sel:WORD_0 src1_sel:DWORD
	v_cndmask_b32_e32 v106, v106, v104, vcc
; %bb.57:                               ;   in Loop: Header=BB135_6 Depth=1
	s_or_b64 exec, exec, s[62:63]
	v_and_b32_e32 v104, 0x7f800000, v105
	v_cmp_ne_u32_e32 vcc, s83, v104
                                        ; implicit-def: $vgpr104
	s_and_saveexec_b64 s[62:63], vcc
	s_xor_b64 s[62:63], exec, s[62:63]
; %bb.58:                               ;   in Loop: Header=BB135_6 Depth=1
	v_bfe_u32 v104, v105, 16, 1
	v_add3_u32 v104, v105, v104, s84
                                        ; implicit-def: $vgpr105
; %bb.59:                               ;   in Loop: Header=BB135_6 Depth=1
	s_andn2_saveexec_b64 s[62:63], s[62:63]
; %bb.60:                               ;   in Loop: Header=BB135_6 Depth=1
	v_or_b32_e32 v104, 0x10000, v105
	v_cmp_eq_u32_sdwa vcc, v105, v116 src0_sel:WORD_0 src1_sel:DWORD
	v_cndmask_b32_e32 v104, v104, v105, vcc
; %bb.61:                               ;   in Loop: Header=BB135_6 Depth=1
	s_or_b64 exec, exec, s[62:63]
	v_perm_b32 v104, v104, v106, s85
	ds_write_b32 v113, v104 offset:264
	v_and_b32_e32 v104, 0x7f800000, v100
	v_cmp_ne_u32_e32 vcc, s83, v104
                                        ; implicit-def: $vgpr104
	s_and_saveexec_b64 s[62:63], vcc
	s_xor_b64 s[62:63], exec, s[62:63]
; %bb.62:                               ;   in Loop: Header=BB135_6 Depth=1
	v_bfe_u32 v104, v100, 16, 1
	v_add3_u32 v104, v100, v104, s84
; %bb.63:                               ;   in Loop: Header=BB135_6 Depth=1
	s_andn2_saveexec_b64 s[62:63], s[62:63]
; %bb.64:                               ;   in Loop: Header=BB135_6 Depth=1
	v_or_b32_e32 v104, 0x10000, v100
	v_cmp_eq_u32_sdwa vcc, v100, v116 src0_sel:WORD_0 src1_sel:DWORD
	v_cndmask_b32_e32 v104, v104, v100, vcc
; %bb.65:                               ;   in Loop: Header=BB135_6 Depth=1
	s_or_b64 exec, exec, s[62:63]
	v_and_b32_e32 v100, 0x7f800000, v101
	v_cmp_ne_u32_e32 vcc, s83, v100
                                        ; implicit-def: $vgpr100
	s_and_saveexec_b64 s[62:63], vcc
	s_xor_b64 s[62:63], exec, s[62:63]
; %bb.66:                               ;   in Loop: Header=BB135_6 Depth=1
	v_bfe_u32 v100, v101, 16, 1
	v_add3_u32 v100, v101, v100, s84
                                        ; implicit-def: $vgpr101
; %bb.67:                               ;   in Loop: Header=BB135_6 Depth=1
	s_andn2_saveexec_b64 s[62:63], s[62:63]
; %bb.68:                               ;   in Loop: Header=BB135_6 Depth=1
	v_or_b32_e32 v100, 0x10000, v101
	v_cmp_eq_u32_sdwa vcc, v101, v116 src0_sel:WORD_0 src1_sel:DWORD
	v_cndmask_b32_e32 v100, v100, v101, vcc
; %bb.69:                               ;   in Loop: Header=BB135_6 Depth=1
	s_or_b64 exec, exec, s[62:63]
	v_perm_b32 v100, v100, v104, s85
	ds_write_b32 v113, v100 offset:528
	v_and_b32_e32 v100, 0x7f800000, v102
	v_cmp_ne_u32_e32 vcc, s83, v100
                                        ; implicit-def: $vgpr100
	s_and_saveexec_b64 s[62:63], vcc
	s_xor_b64 s[62:63], exec, s[62:63]
; %bb.70:                               ;   in Loop: Header=BB135_6 Depth=1
	v_bfe_u32 v100, v102, 16, 1
	v_add3_u32 v100, v102, v100, s84
; %bb.71:                               ;   in Loop: Header=BB135_6 Depth=1
	s_andn2_saveexec_b64 s[62:63], s[62:63]
; %bb.72:                               ;   in Loop: Header=BB135_6 Depth=1
	v_or_b32_e32 v100, 0x10000, v102
	v_cmp_eq_u32_sdwa vcc, v102, v116 src0_sel:WORD_0 src1_sel:DWORD
	v_cndmask_b32_e32 v100, v100, v102, vcc
; %bb.73:                               ;   in Loop: Header=BB135_6 Depth=1
	s_or_b64 exec, exec, s[62:63]
	v_and_b32_e32 v101, 0x7f800000, v103
	v_cmp_ne_u32_e32 vcc, s83, v101
                                        ; implicit-def: $vgpr101
	s_and_saveexec_b64 s[62:63], vcc
	s_xor_b64 s[62:63], exec, s[62:63]
; %bb.74:                               ;   in Loop: Header=BB135_6 Depth=1
	v_bfe_u32 v101, v103, 16, 1
	v_add3_u32 v101, v103, v101, s84
                                        ; implicit-def: $vgpr103
; %bb.75:                               ;   in Loop: Header=BB135_6 Depth=1
	s_andn2_saveexec_b64 s[62:63], s[62:63]
; %bb.76:                               ;   in Loop: Header=BB135_6 Depth=1
	v_or_b32_e32 v101, 0x10000, v103
	v_cmp_eq_u32_sdwa vcc, v103, v116 src0_sel:WORD_0 src1_sel:DWORD
	v_cndmask_b32_e32 v101, v101, v103, vcc
; %bb.77:                               ;   in Loop: Header=BB135_6 Depth=1
	s_or_b64 exec, exec, s[62:63]
	v_perm_b32 v100, v101, v100, s85
	ds_write_b32 v113, v100 offset:792
	v_and_b32_e32 v100, 0x7f800000, v96
	v_cmp_ne_u32_e32 vcc, s83, v100
                                        ; implicit-def: $vgpr100
	s_and_saveexec_b64 s[62:63], vcc
	s_xor_b64 s[62:63], exec, s[62:63]
; %bb.78:                               ;   in Loop: Header=BB135_6 Depth=1
	v_bfe_u32 v100, v96, 16, 1
	v_add3_u32 v100, v96, v100, s84
; %bb.79:                               ;   in Loop: Header=BB135_6 Depth=1
	s_andn2_saveexec_b64 s[62:63], s[62:63]
; %bb.80:                               ;   in Loop: Header=BB135_6 Depth=1
	v_or_b32_e32 v100, 0x10000, v96
	v_cmp_eq_u32_sdwa vcc, v96, v116 src0_sel:WORD_0 src1_sel:DWORD
	v_cndmask_b32_e32 v100, v100, v96, vcc
; %bb.81:                               ;   in Loop: Header=BB135_6 Depth=1
	s_or_b64 exec, exec, s[62:63]
	v_and_b32_e32 v96, 0x7f800000, v97
	v_cmp_ne_u32_e32 vcc, s83, v96
                                        ; implicit-def: $vgpr96
	s_and_saveexec_b64 s[62:63], vcc
	s_xor_b64 s[62:63], exec, s[62:63]
; %bb.82:                               ;   in Loop: Header=BB135_6 Depth=1
	v_bfe_u32 v96, v97, 16, 1
	v_add3_u32 v96, v97, v96, s84
                                        ; implicit-def: $vgpr97
; %bb.83:                               ;   in Loop: Header=BB135_6 Depth=1
	s_andn2_saveexec_b64 s[62:63], s[62:63]
; %bb.84:                               ;   in Loop: Header=BB135_6 Depth=1
	v_or_b32_e32 v96, 0x10000, v97
	v_cmp_eq_u32_sdwa vcc, v97, v116 src0_sel:WORD_0 src1_sel:DWORD
	v_cndmask_b32_e32 v96, v96, v97, vcc
; %bb.85:                               ;   in Loop: Header=BB135_6 Depth=1
	s_or_b64 exec, exec, s[62:63]
	v_perm_b32 v96, v96, v100, s85
	ds_write_b32 v113, v96 offset:1056
	v_and_b32_e32 v96, 0x7f800000, v98
	v_cmp_ne_u32_e32 vcc, s83, v96
                                        ; implicit-def: $vgpr96
	s_and_saveexec_b64 s[62:63], vcc
	s_xor_b64 s[62:63], exec, s[62:63]
; %bb.86:                               ;   in Loop: Header=BB135_6 Depth=1
	v_bfe_u32 v96, v98, 16, 1
	v_add3_u32 v96, v98, v96, s84
; %bb.87:                               ;   in Loop: Header=BB135_6 Depth=1
	s_andn2_saveexec_b64 s[62:63], s[62:63]
; %bb.88:                               ;   in Loop: Header=BB135_6 Depth=1
	v_or_b32_e32 v96, 0x10000, v98
	v_cmp_eq_u32_sdwa vcc, v98, v116 src0_sel:WORD_0 src1_sel:DWORD
	v_cndmask_b32_e32 v96, v96, v98, vcc
; %bb.89:                               ;   in Loop: Header=BB135_6 Depth=1
	s_or_b64 exec, exec, s[62:63]
	v_and_b32_e32 v97, 0x7f800000, v99
	v_cmp_ne_u32_e32 vcc, s83, v97
                                        ; implicit-def: $vgpr97
	s_and_saveexec_b64 s[62:63], vcc
	s_xor_b64 s[62:63], exec, s[62:63]
; %bb.90:                               ;   in Loop: Header=BB135_6 Depth=1
	v_bfe_u32 v97, v99, 16, 1
	v_add3_u32 v97, v99, v97, s84
                                        ; implicit-def: $vgpr99
; %bb.91:                               ;   in Loop: Header=BB135_6 Depth=1
	s_andn2_saveexec_b64 s[62:63], s[62:63]
; %bb.92:                               ;   in Loop: Header=BB135_6 Depth=1
	v_or_b32_e32 v97, 0x10000, v99
	v_cmp_eq_u32_sdwa vcc, v99, v116 src0_sel:WORD_0 src1_sel:DWORD
	v_cndmask_b32_e32 v97, v97, v99, vcc
; %bb.93:                               ;   in Loop: Header=BB135_6 Depth=1
	s_or_b64 exec, exec, s[62:63]
	v_perm_b32 v96, v97, v96, s85
	ds_write_b32 v113, v96 offset:1320
	v_and_b32_e32 v96, 0x7f800000, v92
	v_cmp_ne_u32_e32 vcc, s83, v96
                                        ; implicit-def: $vgpr96
	s_and_saveexec_b64 s[62:63], vcc
	s_xor_b64 s[62:63], exec, s[62:63]
; %bb.94:                               ;   in Loop: Header=BB135_6 Depth=1
	v_bfe_u32 v96, v92, 16, 1
	v_add3_u32 v96, v92, v96, s84
; %bb.95:                               ;   in Loop: Header=BB135_6 Depth=1
	s_andn2_saveexec_b64 s[62:63], s[62:63]
; %bb.96:                               ;   in Loop: Header=BB135_6 Depth=1
	v_or_b32_e32 v96, 0x10000, v92
	v_cmp_eq_u32_sdwa vcc, v92, v116 src0_sel:WORD_0 src1_sel:DWORD
	v_cndmask_b32_e32 v96, v96, v92, vcc
; %bb.97:                               ;   in Loop: Header=BB135_6 Depth=1
	s_or_b64 exec, exec, s[62:63]
	v_and_b32_e32 v92, 0x7f800000, v93
	v_cmp_ne_u32_e32 vcc, s83, v92
                                        ; implicit-def: $vgpr92
	s_and_saveexec_b64 s[62:63], vcc
	s_xor_b64 s[62:63], exec, s[62:63]
; %bb.98:                               ;   in Loop: Header=BB135_6 Depth=1
	v_bfe_u32 v92, v93, 16, 1
	v_add3_u32 v92, v93, v92, s84
                                        ; implicit-def: $vgpr93
; %bb.99:                               ;   in Loop: Header=BB135_6 Depth=1
	s_andn2_saveexec_b64 s[62:63], s[62:63]
; %bb.100:                              ;   in Loop: Header=BB135_6 Depth=1
	v_or_b32_e32 v92, 0x10000, v93
	v_cmp_eq_u32_sdwa vcc, v93, v116 src0_sel:WORD_0 src1_sel:DWORD
	v_cndmask_b32_e32 v92, v92, v93, vcc
; %bb.101:                              ;   in Loop: Header=BB135_6 Depth=1
	s_or_b64 exec, exec, s[62:63]
	v_perm_b32 v92, v92, v96, s85
	ds_write_b32 v113, v92 offset:1584
	v_and_b32_e32 v92, 0x7f800000, v94
	v_cmp_ne_u32_e32 vcc, s83, v92
                                        ; implicit-def: $vgpr92
	s_and_saveexec_b64 s[62:63], vcc
	s_xor_b64 s[62:63], exec, s[62:63]
; %bb.102:                              ;   in Loop: Header=BB135_6 Depth=1
	v_bfe_u32 v92, v94, 16, 1
	v_add3_u32 v92, v94, v92, s84
; %bb.103:                              ;   in Loop: Header=BB135_6 Depth=1
	s_andn2_saveexec_b64 s[62:63], s[62:63]
; %bb.104:                              ;   in Loop: Header=BB135_6 Depth=1
	v_or_b32_e32 v92, 0x10000, v94
	v_cmp_eq_u32_sdwa vcc, v94, v116 src0_sel:WORD_0 src1_sel:DWORD
	v_cndmask_b32_e32 v92, v92, v94, vcc
; %bb.105:                              ;   in Loop: Header=BB135_6 Depth=1
	s_or_b64 exec, exec, s[62:63]
	v_and_b32_e32 v93, 0x7f800000, v95
	v_cmp_ne_u32_e32 vcc, s83, v93
                                        ; implicit-def: $vgpr93
	s_and_saveexec_b64 s[62:63], vcc
	s_xor_b64 s[62:63], exec, s[62:63]
; %bb.106:                              ;   in Loop: Header=BB135_6 Depth=1
	v_bfe_u32 v93, v95, 16, 1
	v_add3_u32 v93, v95, v93, s84
                                        ; implicit-def: $vgpr95
; %bb.107:                              ;   in Loop: Header=BB135_6 Depth=1
	s_andn2_saveexec_b64 s[62:63], s[62:63]
; %bb.108:                              ;   in Loop: Header=BB135_6 Depth=1
	v_or_b32_e32 v93, 0x10000, v95
	v_cmp_eq_u32_sdwa vcc, v95, v116 src0_sel:WORD_0 src1_sel:DWORD
	v_cndmask_b32_e32 v93, v93, v95, vcc
; %bb.109:                              ;   in Loop: Header=BB135_6 Depth=1
	s_or_b64 exec, exec, s[62:63]
	v_perm_b32 v92, v93, v92, s85
	ds_write_b32 v113, v92 offset:1848
	v_and_b32_e32 v92, 0x7f800000, v88
	v_cmp_ne_u32_e32 vcc, s83, v92
                                        ; implicit-def: $vgpr92
	s_and_saveexec_b64 s[62:63], vcc
	s_xor_b64 s[62:63], exec, s[62:63]
; %bb.110:                              ;   in Loop: Header=BB135_6 Depth=1
	v_bfe_u32 v92, v88, 16, 1
	v_add3_u32 v92, v88, v92, s84
; %bb.111:                              ;   in Loop: Header=BB135_6 Depth=1
	s_andn2_saveexec_b64 s[62:63], s[62:63]
; %bb.112:                              ;   in Loop: Header=BB135_6 Depth=1
	v_or_b32_e32 v92, 0x10000, v88
	v_cmp_eq_u32_sdwa vcc, v88, v116 src0_sel:WORD_0 src1_sel:DWORD
	v_cndmask_b32_e32 v92, v92, v88, vcc
; %bb.113:                              ;   in Loop: Header=BB135_6 Depth=1
	s_or_b64 exec, exec, s[62:63]
	v_and_b32_e32 v88, 0x7f800000, v89
	v_cmp_ne_u32_e32 vcc, s83, v88
                                        ; implicit-def: $vgpr88
	s_and_saveexec_b64 s[62:63], vcc
	s_xor_b64 s[62:63], exec, s[62:63]
; %bb.114:                              ;   in Loop: Header=BB135_6 Depth=1
	v_bfe_u32 v88, v89, 16, 1
	v_add3_u32 v88, v89, v88, s84
                                        ; implicit-def: $vgpr89
; %bb.115:                              ;   in Loop: Header=BB135_6 Depth=1
	s_andn2_saveexec_b64 s[62:63], s[62:63]
; %bb.116:                              ;   in Loop: Header=BB135_6 Depth=1
	v_or_b32_e32 v88, 0x10000, v89
	v_cmp_eq_u32_sdwa vcc, v89, v116 src0_sel:WORD_0 src1_sel:DWORD
	v_cndmask_b32_e32 v88, v88, v89, vcc
; %bb.117:                              ;   in Loop: Header=BB135_6 Depth=1
	s_or_b64 exec, exec, s[62:63]
	v_perm_b32 v88, v88, v92, s85
	ds_write_b32 v113, v88 offset:2112
	v_and_b32_e32 v88, 0x7f800000, v90
	v_cmp_ne_u32_e32 vcc, s83, v88
                                        ; implicit-def: $vgpr88
	s_and_saveexec_b64 s[62:63], vcc
	s_xor_b64 s[62:63], exec, s[62:63]
; %bb.118:                              ;   in Loop: Header=BB135_6 Depth=1
	v_bfe_u32 v88, v90, 16, 1
	v_add3_u32 v88, v90, v88, s84
; %bb.119:                              ;   in Loop: Header=BB135_6 Depth=1
	s_andn2_saveexec_b64 s[62:63], s[62:63]
; %bb.120:                              ;   in Loop: Header=BB135_6 Depth=1
	v_or_b32_e32 v88, 0x10000, v90
	v_cmp_eq_u32_sdwa vcc, v90, v116 src0_sel:WORD_0 src1_sel:DWORD
	v_cndmask_b32_e32 v88, v88, v90, vcc
; %bb.121:                              ;   in Loop: Header=BB135_6 Depth=1
	s_or_b64 exec, exec, s[62:63]
	v_and_b32_e32 v89, 0x7f800000, v91
	v_cmp_ne_u32_e32 vcc, s83, v89
                                        ; implicit-def: $vgpr89
	s_and_saveexec_b64 s[62:63], vcc
	s_xor_b64 s[62:63], exec, s[62:63]
; %bb.122:                              ;   in Loop: Header=BB135_6 Depth=1
	v_bfe_u32 v89, v91, 16, 1
	v_add3_u32 v89, v91, v89, s84
                                        ; implicit-def: $vgpr91
; %bb.123:                              ;   in Loop: Header=BB135_6 Depth=1
	s_andn2_saveexec_b64 s[62:63], s[62:63]
; %bb.124:                              ;   in Loop: Header=BB135_6 Depth=1
	v_or_b32_e32 v89, 0x10000, v91
	v_cmp_eq_u32_sdwa vcc, v91, v116 src0_sel:WORD_0 src1_sel:DWORD
	v_cndmask_b32_e32 v89, v89, v91, vcc
; %bb.125:                              ;   in Loop: Header=BB135_6 Depth=1
	s_or_b64 exec, exec, s[62:63]
	v_perm_b32 v88, v89, v88, s85
	ds_write_b32 v113, v88 offset:2376
	v_and_b32_e32 v88, 0x7f800000, v84
	v_cmp_ne_u32_e32 vcc, s83, v88
                                        ; implicit-def: $vgpr88
	s_and_saveexec_b64 s[62:63], vcc
	s_xor_b64 s[62:63], exec, s[62:63]
; %bb.126:                              ;   in Loop: Header=BB135_6 Depth=1
	v_bfe_u32 v88, v84, 16, 1
	v_add3_u32 v88, v84, v88, s84
; %bb.127:                              ;   in Loop: Header=BB135_6 Depth=1
	s_andn2_saveexec_b64 s[62:63], s[62:63]
; %bb.128:                              ;   in Loop: Header=BB135_6 Depth=1
	v_or_b32_e32 v88, 0x10000, v84
	v_cmp_eq_u32_sdwa vcc, v84, v116 src0_sel:WORD_0 src1_sel:DWORD
	v_cndmask_b32_e32 v88, v88, v84, vcc
; %bb.129:                              ;   in Loop: Header=BB135_6 Depth=1
	s_or_b64 exec, exec, s[62:63]
	v_and_b32_e32 v84, 0x7f800000, v85
	v_cmp_ne_u32_e32 vcc, s83, v84
                                        ; implicit-def: $vgpr84
	s_and_saveexec_b64 s[62:63], vcc
	s_xor_b64 s[62:63], exec, s[62:63]
; %bb.130:                              ;   in Loop: Header=BB135_6 Depth=1
	v_bfe_u32 v84, v85, 16, 1
	v_add3_u32 v84, v85, v84, s84
                                        ; implicit-def: $vgpr85
; %bb.131:                              ;   in Loop: Header=BB135_6 Depth=1
	s_andn2_saveexec_b64 s[62:63], s[62:63]
; %bb.132:                              ;   in Loop: Header=BB135_6 Depth=1
	v_or_b32_e32 v84, 0x10000, v85
	v_cmp_eq_u32_sdwa vcc, v85, v116 src0_sel:WORD_0 src1_sel:DWORD
	v_cndmask_b32_e32 v84, v84, v85, vcc
; %bb.133:                              ;   in Loop: Header=BB135_6 Depth=1
	s_or_b64 exec, exec, s[62:63]
	v_perm_b32 v84, v84, v88, s85
	ds_write_b32 v113, v84 offset:2640
	v_and_b32_e32 v84, 0x7f800000, v86
	v_cmp_ne_u32_e32 vcc, s83, v84
                                        ; implicit-def: $vgpr84
	s_and_saveexec_b64 s[62:63], vcc
	s_xor_b64 s[62:63], exec, s[62:63]
; %bb.134:                              ;   in Loop: Header=BB135_6 Depth=1
	v_bfe_u32 v84, v86, 16, 1
	v_add3_u32 v84, v86, v84, s84
; %bb.135:                              ;   in Loop: Header=BB135_6 Depth=1
	s_andn2_saveexec_b64 s[62:63], s[62:63]
; %bb.136:                              ;   in Loop: Header=BB135_6 Depth=1
	v_or_b32_e32 v84, 0x10000, v86
	v_cmp_eq_u32_sdwa vcc, v86, v116 src0_sel:WORD_0 src1_sel:DWORD
	v_cndmask_b32_e32 v84, v84, v86, vcc
; %bb.137:                              ;   in Loop: Header=BB135_6 Depth=1
	s_or_b64 exec, exec, s[62:63]
	v_and_b32_e32 v85, 0x7f800000, v87
	v_cmp_ne_u32_e32 vcc, s83, v85
                                        ; implicit-def: $vgpr85
	s_and_saveexec_b64 s[62:63], vcc
	s_xor_b64 s[62:63], exec, s[62:63]
; %bb.138:                              ;   in Loop: Header=BB135_6 Depth=1
	v_bfe_u32 v85, v87, 16, 1
	v_add3_u32 v85, v87, v85, s84
                                        ; implicit-def: $vgpr87
; %bb.139:                              ;   in Loop: Header=BB135_6 Depth=1
	s_andn2_saveexec_b64 s[62:63], s[62:63]
; %bb.140:                              ;   in Loop: Header=BB135_6 Depth=1
	v_or_b32_e32 v85, 0x10000, v87
	v_cmp_eq_u32_sdwa vcc, v87, v116 src0_sel:WORD_0 src1_sel:DWORD
	v_cndmask_b32_e32 v85, v85, v87, vcc
; %bb.141:                              ;   in Loop: Header=BB135_6 Depth=1
	s_or_b64 exec, exec, s[62:63]
	v_perm_b32 v84, v85, v84, s85
	ds_write_b32 v113, v84 offset:2904
	v_and_b32_e32 v84, 0x7f800000, v82
	v_cmp_ne_u32_e32 vcc, s83, v84
                                        ; implicit-def: $vgpr84
	s_and_saveexec_b64 s[62:63], vcc
	s_xor_b64 s[62:63], exec, s[62:63]
; %bb.142:                              ;   in Loop: Header=BB135_6 Depth=1
	v_bfe_u32 v84, v82, 16, 1
	v_add3_u32 v84, v82, v84, s84
; %bb.143:                              ;   in Loop: Header=BB135_6 Depth=1
	s_andn2_saveexec_b64 s[62:63], s[62:63]
; %bb.144:                              ;   in Loop: Header=BB135_6 Depth=1
	v_or_b32_e32 v84, 0x10000, v82
	v_cmp_eq_u32_sdwa vcc, v82, v116 src0_sel:WORD_0 src1_sel:DWORD
	v_cndmask_b32_e32 v84, v84, v82, vcc
; %bb.145:                              ;   in Loop: Header=BB135_6 Depth=1
	s_or_b64 exec, exec, s[62:63]
	v_and_b32_e32 v82, 0x7f800000, v83
	v_cmp_ne_u32_e32 vcc, s83, v82
                                        ; implicit-def: $vgpr82
	s_and_saveexec_b64 s[62:63], vcc
	s_xor_b64 s[62:63], exec, s[62:63]
; %bb.146:                              ;   in Loop: Header=BB135_6 Depth=1
	v_bfe_u32 v82, v83, 16, 1
	v_add3_u32 v82, v83, v82, s84
                                        ; implicit-def: $vgpr83
; %bb.147:                              ;   in Loop: Header=BB135_6 Depth=1
	s_andn2_saveexec_b64 s[62:63], s[62:63]
	s_cbranch_execz .LBB135_5
; %bb.148:                              ;   in Loop: Header=BB135_6 Depth=1
	v_or_b32_e32 v82, 0x10000, v83
	v_cmp_eq_u32_sdwa vcc, v83, v116 src0_sel:WORD_0 src1_sel:DWORD
	v_cndmask_b32_e32 v82, v82, v83, vcc
	s_branch .LBB135_5
.LBB135_149:
	s_or_b64 exec, exec, s[8:9]
	v_readlane_b32 s24, v119, 6
	v_readlane_b32 s26, v119, 9
	;; [unrolled: 1-line block ×5, first 2 shown]
.LBB135_150:
	v_readlane_b32 s0, v119, 4
	v_readlane_b32 s1, v119, 5
	s_or_b64 exec, exec, s[0:1]
	v_mul_u32_u24_e32 v16, 0x508, v111
	v_lshlrev_b32_e32 v17, 2, v110
	v_add3_u32 v16, 0, v16, v17
	v_and_b32_e32 v17, 0x3f0, v109
	v_add_u32_e32 v17, v16, v17
	s_lshl_b64 s[0:1], s[26:27], 2
	v_readlane_b32 s4, v119, 0
	s_barrier
	ds_write2_b32 v17, v8, v9 offset1:1
	ds_write_b32 v17, v10 offset:8
	v_or_b32_e32 v8, 12, v109
	v_readlane_b32 s5, v119, 1
	s_add_u32 s3, s4, s0
	v_and_b32_e32 v8, 0x3fc, v8
	s_addc_u32 s7, s5, s1
	v_add_u32_e32 v8, v16, v8
	ds_write_b32 v8, v11
	ds_write2_b32 v17, v4, v5 offset0:16 offset1:17
	ds_write_b32 v17, v6 offset:72
	ds_write_b32 v8, v7 offset:64
	ds_write2_b32 v17, v0, v1 offset0:32 offset1:33
	ds_write_b32 v17, v2 offset:136
	ds_write_b32 v8, v3 offset:128
	;; [unrolled: 3-line block ×3, first 2 shown]
	s_cmp_gt_i32 s14, 0
	v_add_u32_e32 v0, s6, v108
	s_cselect_b64 s[4:5], -1, 0
	v_cmp_gt_i32_e64 s[0:1], s33, v0
	v_cmp_gt_u32_e32 vcc, 13, v108
	s_and_b64 s[0:1], s[4:5], s[0:1]
	v_lshl_add_u32 v5, v109, 2, 0
	v_add_u32_e32 v4, s28, v109
	v_mul_u32_u24_e32 v6, 0x508, v108
	s_and_b64 s[8:9], vcc, s[0:1]
	s_waitcnt lgkmcnt(0)
	s_barrier
	s_and_saveexec_b64 s[0:1], s[8:9]
	s_cbranch_execz .LBB135_153
; %bb.151:
	v_ashrrev_i32_e32 v1, 31, v0
	v_lshlrev_b64 v[2:3], 2, v[0:1]
	v_mov_b32_e32 v1, s7
	v_add_co_u32_e32 v2, vcc, s3, v2
	v_addc_co_u32_e32 v3, vcc, v1, v3, vcc
	global_load_dword v2, v[2:3], off
	s_waitcnt vmcnt(0)
	v_mul_hi_u32 v1, v2, s19
	v_add_u32_e32 v1, v2, v1
	v_lshrrev_b32_e32 v1, s24, v1
	v_cmp_gt_i32_e32 vcc, s13, v1
	s_and_b64 exec, exec, vcc
	s_cbranch_execz .LBB135_153
; %bb.152:
	v_add_u32_e32 v3, v5, v6
	ds_read2st64_b32 v[8:9], v3 offset1:1
	ds_read2st64_b32 v[10:11], v3 offset0:2 offset1:3
	ds_read_b32 v3, v3 offset:1024
	v_mul_lo_u32 v7, v1, s25
	v_sub_u32_e32 v2, v2, v7
	v_mul_lo_u32 v2, v2, s2
	s_waitcnt lgkmcnt(2)
	v_add_f32_e32 v7, 0, v8
	v_add_f32_e32 v7, v7, v9
	s_waitcnt lgkmcnt(1)
	v_add_f32_e32 v7, v7, v10
	v_add_f32_e32 v7, v7, v11
	v_mul_lo_u32 v1, v1, s21
	s_waitcnt lgkmcnt(0)
	v_add_f32_e32 v7, v7, v3
	v_add3_u32 v2, v4, v1, v2
	v_mov_b32_e32 v3, 0
	v_readlane_b32 s8, v119, 2
	v_lshlrev_b64 v[2:3], 2, v[2:3]
	v_readlane_b32 s9, v119, 3
	v_mov_b32_e32 v1, s9
	v_add_co_u32_e32 v2, vcc, s8, v2
	v_addc_co_u32_e32 v3, vcc, v1, v3, vcc
	global_store_dword v[2:3], v7, off
.LBB135_153:
	s_or_b64 exec, exec, s[0:1]
	v_add_u32_e32 v1, 5, v0
	v_cmp_gt_i32_e64 s[0:1], s33, v1
	v_cmp_gt_u32_e32 vcc, 8, v108
	s_and_b64 s[0:1], s[4:5], s[0:1]
	s_and_b64 s[8:9], vcc, s[0:1]
	s_and_saveexec_b64 s[0:1], s[8:9]
	s_cbranch_execz .LBB135_156
; %bb.154:
	s_ashr_i32 s8, s6, 31
	v_mov_b32_e32 v1, s8
	v_add_co_u32_e32 v2, vcc, s6, v108
	v_addc_co_u32_e32 v3, vcc, 0, v1, vcc
	v_lshlrev_b64 v[2:3], 2, v[2:3]
	v_mov_b32_e32 v1, s7
	v_add_co_u32_e32 v2, vcc, s3, v2
	v_addc_co_u32_e32 v3, vcc, v1, v3, vcc
	global_load_dword v2, v[2:3], off offset:20
	v_mov_b32_e32 v3, 0
	s_waitcnt vmcnt(0)
	v_mul_hi_u32 v1, v2, s19
	v_add_u32_e32 v1, v2, v1
	v_lshrrev_b32_e32 v1, s24, v1
	v_cmp_gt_i32_e32 vcc, s13, v1
	s_and_b64 exec, exec, vcc
	s_cbranch_execz .LBB135_156
; %bb.155:
	v_add_u32_e32 v7, v6, v5
	v_add_u32_e32 v10, 40, v7
	ds_read2st64_b32 v[8:9], v10 offset0:25 offset1:26
	v_mul_lo_u32 v12, v1, s25
	ds_read2st64_b32 v[10:11], v10 offset0:27 offset1:28
	ds_read_b32 v7, v7 offset:7464
	v_sub_u32_e32 v2, v2, v12
	v_mul_lo_u32 v2, v2, s2
	s_waitcnt lgkmcnt(2)
	v_add_f32_e32 v8, 0, v8
	v_mul_lo_u32 v1, v1, s21
	v_add_f32_e32 v8, v8, v9
	v_add3_u32 v2, v4, v1, v2
	v_readlane_b32 s8, v119, 2
	s_waitcnt lgkmcnt(1)
	v_add_f32_e32 v8, v8, v10
	v_lshlrev_b64 v[2:3], 2, v[2:3]
	v_readlane_b32 s9, v119, 3
	v_add_f32_e32 v8, v8, v11
	v_mov_b32_e32 v1, s9
	v_add_co_u32_e32 v2, vcc, s8, v2
	s_waitcnt lgkmcnt(0)
	v_add_f32_e32 v7, v8, v7
	v_addc_co_u32_e32 v3, vcc, v1, v3, vcc
	global_store_dword v[2:3], v7, off
.LBB135_156:
	s_or_b64 exec, exec, s[0:1]
	v_cmp_gt_u32_e32 vcc, 3, v108
	s_and_saveexec_b64 s[0:1], vcc
	s_cbranch_execz .LBB135_160
; %bb.157:
	v_add_u32_e32 v0, 10, v0
	v_cmp_gt_i32_e32 vcc, s33, v0
	s_and_b64 s[0:1], s[4:5], vcc
	s_and_b64 exec, exec, s[0:1]
	s_cbranch_execz .LBB135_160
; %bb.158:
	s_ashr_i32 s0, s6, 31
	v_mov_b32_e32 v1, s0
	v_add_co_u32_e32 v0, vcc, s6, v108
	v_addc_co_u32_e32 v1, vcc, 0, v1, vcc
	v_lshlrev_b64 v[0:1], 2, v[0:1]
	v_mov_b32_e32 v2, s7
	v_add_co_u32_e32 v0, vcc, s3, v0
	v_addc_co_u32_e32 v1, vcc, v2, v1, vcc
	global_load_dword v2, v[0:1], off offset:40
	v_mov_b32_e32 v1, 0
	s_waitcnt vmcnt(0)
	v_mul_hi_u32 v0, v2, s19
	v_add_u32_e32 v0, v2, v0
	v_lshrrev_b32_e32 v0, s24, v0
	v_cmp_gt_i32_e32 vcc, s13, v0
	s_and_b64 exec, exec, vcc
	s_cbranch_execz .LBB135_160
; %bb.159:
	v_add_u32_e32 v3, v5, v6
	v_add_u32_e32 v5, 0x50, v3
	ds_read2st64_b32 v[6:7], v5 offset0:50 offset1:51
	v_mul_lo_u32 v10, v0, s25
	ds_read2st64_b32 v[8:9], v5 offset0:52 offset1:53
	ds_read_b32 v3, v3 offset:13904
	v_sub_u32_e32 v2, v2, v10
	v_mul_lo_u32 v2, v2, s2
	s_waitcnt lgkmcnt(2)
	v_add_f32_e32 v5, 0, v6
	v_mul_lo_u32 v0, v0, s21
	v_add_f32_e32 v5, v5, v7
	v_add3_u32 v0, v4, v0, v2
	v_readlane_b32 s0, v119, 2
	s_waitcnt lgkmcnt(1)
	v_add_f32_e32 v5, v5, v8
	v_lshlrev_b64 v[0:1], 2, v[0:1]
	v_readlane_b32 s1, v119, 3
	v_add_f32_e32 v5, v5, v9
	v_mov_b32_e32 v2, s1
	v_add_co_u32_e32 v0, vcc, s0, v0
	s_waitcnt lgkmcnt(0)
	v_add_f32_e32 v3, v5, v3
	v_addc_co_u32_e32 v1, vcc, v2, v1, vcc
	global_store_dword v[0:1], v3, off
.LBB135_160:
	s_endpgm
	.section	.rodata,"a",@progbits
	.p2align	6, 0x0
	.amdhsa_kernel _ZL13mul_mat_f_idsI15__hip_bfloat162Li64ELi13ELi5EEvPKT_PKfPKiS7_S7_Pfiiiiiiiiiiiiii15HIP_vector_typeIjLj3EESA_
		.amdhsa_group_segment_fixed_size 0
		.amdhsa_private_segment_fixed_size 0
		.amdhsa_kernarg_size 128
		.amdhsa_user_sgpr_count 6
		.amdhsa_user_sgpr_private_segment_buffer 1
		.amdhsa_user_sgpr_dispatch_ptr 0
		.amdhsa_user_sgpr_queue_ptr 0
		.amdhsa_user_sgpr_kernarg_segment_ptr 1
		.amdhsa_user_sgpr_dispatch_id 0
		.amdhsa_user_sgpr_flat_scratch_init 0
		.amdhsa_user_sgpr_kernarg_preload_length 0
		.amdhsa_user_sgpr_kernarg_preload_offset 0
		.amdhsa_user_sgpr_private_segment_size 0
		.amdhsa_uses_dynamic_stack 0
		.amdhsa_system_sgpr_private_segment_wavefront_offset 0
		.amdhsa_system_sgpr_workgroup_id_x 1
		.amdhsa_system_sgpr_workgroup_id_y 1
		.amdhsa_system_sgpr_workgroup_id_z 1
		.amdhsa_system_sgpr_workgroup_info 0
		.amdhsa_system_vgpr_workitem_id 1
		.amdhsa_next_free_vgpr 120
		.amdhsa_next_free_sgpr 96
		.amdhsa_accum_offset 120
		.amdhsa_reserve_vcc 1
		.amdhsa_reserve_flat_scratch 0
		.amdhsa_float_round_mode_32 0
		.amdhsa_float_round_mode_16_64 0
		.amdhsa_float_denorm_mode_32 3
		.amdhsa_float_denorm_mode_16_64 3
		.amdhsa_dx10_clamp 1
		.amdhsa_ieee_mode 1
		.amdhsa_fp16_overflow 0
		.amdhsa_tg_split 0
		.amdhsa_exception_fp_ieee_invalid_op 0
		.amdhsa_exception_fp_denorm_src 0
		.amdhsa_exception_fp_ieee_div_zero 0
		.amdhsa_exception_fp_ieee_overflow 0
		.amdhsa_exception_fp_ieee_underflow 0
		.amdhsa_exception_fp_ieee_inexact 0
		.amdhsa_exception_int_div_zero 0
	.end_amdhsa_kernel
	.section	.text._ZL13mul_mat_f_idsI15__hip_bfloat162Li64ELi13ELi5EEvPKT_PKfPKiS7_S7_Pfiiiiiiiiiiiiii15HIP_vector_typeIjLj3EESA_,"axG",@progbits,_ZL13mul_mat_f_idsI15__hip_bfloat162Li64ELi13ELi5EEvPKT_PKfPKiS7_S7_Pfiiiiiiiiiiiiii15HIP_vector_typeIjLj3EESA_,comdat
.Lfunc_end135:
	.size	_ZL13mul_mat_f_idsI15__hip_bfloat162Li64ELi13ELi5EEvPKT_PKfPKiS7_S7_Pfiiiiiiiiiiiiii15HIP_vector_typeIjLj3EESA_, .Lfunc_end135-_ZL13mul_mat_f_idsI15__hip_bfloat162Li64ELi13ELi5EEvPKT_PKfPKiS7_S7_Pfiiiiiiiiiiiiii15HIP_vector_typeIjLj3EESA_
                                        ; -- End function
	.section	.AMDGPU.csdata,"",@progbits
; Kernel info:
; codeLenInByte = 9228
; NumSgprs: 100
; NumVgprs: 120
; NumAgprs: 0
; TotalNumVgprs: 120
; ScratchSize: 0
; MemoryBound: 0
; FloatMode: 240
; IeeeMode: 1
; LDSByteSize: 0 bytes/workgroup (compile time only)
; SGPRBlocks: 12
; VGPRBlocks: 14
; NumSGPRsForWavesPerEU: 100
; NumVGPRsForWavesPerEU: 120
; AccumOffset: 120
; Occupancy: 4
; WaveLimiterHint : 1
; COMPUTE_PGM_RSRC2:SCRATCH_EN: 0
; COMPUTE_PGM_RSRC2:USER_SGPR: 6
; COMPUTE_PGM_RSRC2:TRAP_HANDLER: 0
; COMPUTE_PGM_RSRC2:TGID_X_EN: 1
; COMPUTE_PGM_RSRC2:TGID_Y_EN: 1
; COMPUTE_PGM_RSRC2:TGID_Z_EN: 1
; COMPUTE_PGM_RSRC2:TIDIG_COMP_CNT: 1
; COMPUTE_PGM_RSRC3_GFX90A:ACCUM_OFFSET: 29
; COMPUTE_PGM_RSRC3_GFX90A:TG_SPLIT: 0
	.section	.text._ZL9mul_mat_fI15__hip_bfloat162Li64ELi13ELi5ELb1EEvPKT_PKfPKiPfiiiiiiiiiiiiiiii,"axG",@progbits,_ZL9mul_mat_fI15__hip_bfloat162Li64ELi13ELi5ELb1EEvPKT_PKfPKiPfiiiiiiiiiiiiiiii,comdat
	.globl	_ZL9mul_mat_fI15__hip_bfloat162Li64ELi13ELi5ELb1EEvPKT_PKfPKiPfiiiiiiiiiiiiiiii ; -- Begin function _ZL9mul_mat_fI15__hip_bfloat162Li64ELi13ELi5ELb1EEvPKT_PKfPKiPfiiiiiiiiiiiiiiii
	.p2align	8
	.type	_ZL9mul_mat_fI15__hip_bfloat162Li64ELi13ELi5ELb1EEvPKT_PKfPKiPfiiiiiiiiiiiiiiii,@function
_ZL9mul_mat_fI15__hip_bfloat162Li64ELi13ELi5ELb1EEvPKT_PKfPKiPfiiiiiiiiiiiiiiii: ; @_ZL9mul_mat_fI15__hip_bfloat162Li64ELi13ELi5ELb1EEvPKT_PKfPKiPfiiiiiiiiiiiiiiii
; %bb.0:
	s_load_dwordx8 s[16:23], s[4:5], 0x20
	v_and_b32_e32 v16, 0x3ff, v0
	v_bfe_u32 v17, v0, 10, 10
	v_cmp_eq_u32_e32 vcc, 0, v16
	s_waitcnt lgkmcnt(0)
	s_add_i32 s0, s17, 12
	s_mul_hi_i32 s0, s0, 0x4ec4ec4f
	s_lshr_b32 s1, s0, 31
	s_ashr_i32 s0, s0, 2
	s_add_i32 s0, s0, s1
	v_cvt_f32_u32_e32 v1, s0
	s_load_dwordx4 s[24:27], s[4:5], 0x44
	s_load_dword s1, s[4:5], 0x64
	s_add_u32 s34, s4, 0x60
	s_addc_u32 s35, s5, 0
	v_rcp_iflag_f32_e32 v1, v1
	s_sub_i32 s2, 0, s0
	v_mul_f32_e32 v1, 0x4f7ffffe, v1
	v_cvt_u32_f32_e32 v1, v1
	v_readfirstlane_b32 s3, v1
	s_mul_i32 s2, s2, s3
	s_mul_hi_u32 s2, s3, s2
	s_add_i32 s3, s3, s2
	s_waitcnt lgkmcnt(0)
	s_mul_hi_u32 s2, s1, s3
	s_mul_i32 s3, s2, s0
	s_sub_i32 s1, s1, s3
	s_add_i32 s9, s2, 1
	s_sub_i32 s3, s1, s0
	s_cmp_ge_u32 s1, s0
	s_cselect_b32 s2, s9, s2
	s_cselect_b32 s1, s3, s1
	s_add_i32 s3, s2, 1
	s_cmp_ge_u32 s1, s0
	s_cselect_b32 s10, s3, s2
	v_cvt_f32_u32_e32 v1, s10
	s_abs_i32 s40, s27
	v_cvt_f32_u32_e32 v2, s40
	s_load_dwordx2 s[0:1], s[4:5], 0x10
	v_rcp_iflag_f32_e32 v1, v1
	s_sub_i32 s2, 0, s10
	v_rcp_iflag_f32_e32 v2, v2
	v_mul_f32_e32 v1, 0x4f7ffffe, v1
	v_cvt_u32_f32_e32 v1, v1
	v_mul_f32_e32 v2, 0x4f7ffffe, v2
	v_cvt_u32_f32_e32 v2, v2
	v_readfirstlane_b32 s3, v1
	s_mul_i32 s2, s2, s3
	s_mul_hi_u32 s2, s3, s2
	s_add_i32 s3, s3, s2
	v_readfirstlane_b32 s9, v2
	s_mul_hi_u32 s11, s7, s3
	s_and_saveexec_b64 s[2:3], vcc
	s_cbranch_execz .LBB136_2
; %bb.1:
	v_mov_b32_e32 v1, 0x100
	v_lshl_add_u32 v1, v17, 2, v1
	v_mov_b32_e32 v2, -1
	ds_write_b32 v1, v2
.LBB136_2:
	s_or_b64 exec, exec, s[2:3]
	s_mul_i32 s2, s11, s10
	s_sub_i32 s2, s7, s2
	s_add_i32 s3, s11, 1
	s_sub_i32 s12, s2, s10
	s_cmp_ge_u32 s2, s10
	s_cselect_b32 s3, s3, s11
	s_cselect_b32 s2, s12, s2
	s_add_i32 s11, s3, 1
	s_cmp_ge_u32 s2, s10
	s_cselect_b32 s2, s11, s3
	s_mul_i32 s3, s2, s10
	s_mul_i32 s52, s2, 13
	s_sub_i32 s7, s7, s3
	s_mul_hi_i32 s3, s52, s23
	s_mul_i32 s2, s52, s23
	s_lshl_b64 s[2:3], s[2:3], 2
	s_waitcnt lgkmcnt(0)
	s_add_u32 s33, s0, s2
	v_add_u32_e32 v1, s52, v17
	s_addc_u32 s1, s1, s3
	v_cmp_gt_i32_e64 s[10:11], s18, v16
	v_cmp_gt_i32_e64 s[42:43], s17, v1
	v_mov_b32_e32 v1, 0
	s_and_saveexec_b64 s[14:15], s[42:43]
	s_cbranch_execz .LBB136_10
; %bb.3:
	v_mov_b32_e32 v1, 0
	s_and_saveexec_b64 s[28:29], s[10:11]
	s_cbranch_execz .LBB136_9
; %bb.4:
	v_mul_lo_u32 v2, v17, s23
	v_ashrrev_i32_e32 v3, 31, v2
	v_lshlrev_b64 v[2:3], 2, v[2:3]
	v_mov_b32_e32 v1, s1
	v_add_co_u32_e64 v4, s[2:3], s33, v2
	v_addc_co_u32_e64 v5, s[2:3], v1, v3, s[2:3]
	v_mov_b32_e32 v1, 0x100
	v_lshl_add_u32 v6, v17, 2, v1
	v_mul_lo_u32 v2, v16, s22
	s_lshl_b32 s0, s22, 6
	s_mov_b64 s[30:31], 0
	v_mov_b32_e32 v1, 0
	v_mov_b32_e32 v7, v16
	s_branch .LBB136_6
.LBB136_5:                              ;   in Loop: Header=BB136_6 Depth=1
	s_or_b64 exec, exec, s[36:37]
	v_add_u32_e32 v7, 64, v7
	v_cmp_le_i32_e64 s[12:13], s18, v7
	s_xor_b64 s[2:3], s[2:3], -1
	s_or_b64 s[2:3], s[2:3], s[12:13]
	s_and_b64 s[2:3], exec, s[2:3]
	s_or_b64 s[30:31], s[2:3], s[30:31]
	v_add_u32_e32 v2, s0, v2
	s_andn2_b64 exec, exec, s[30:31]
	s_cbranch_execz .LBB136_8
.LBB136_6:                              ; =>This Inner Loop Header: Depth=1
	v_ashrrev_i32_e32 v3, 31, v2
	v_lshlrev_b64 v[8:9], 2, v[2:3]
	v_add_co_u32_e64 v8, s[2:3], v4, v8
	v_addc_co_u32_e64 v9, s[2:3], v5, v9, s[2:3]
	global_load_dword v3, v[8:9], off
	s_waitcnt vmcnt(0)
	v_cmp_ne_u32_e64 s[2:3], s7, v3
	v_cmp_eq_u32_e64 s[12:13], s7, v3
	s_and_saveexec_b64 s[36:37], s[12:13]
	s_cbranch_execz .LBB136_5
; %bb.7:                                ;   in Loop: Header=BB136_6 Depth=1
	v_mov_b32_e32 v1, 1
	ds_write_b32 v6, v7
	s_branch .LBB136_5
.LBB136_8:
	s_or_b64 exec, exec, s[30:31]
.LBB136_9:
	s_or_b64 exec, exec, s[28:29]
.LBB136_10:
	s_or_b64 exec, exec, s[14:15]
	s_sub_i32 s0, 0, s40
	s_and_saveexec_b64 s[2:3], vcc
	s_cbranch_execz .LBB136_12
; %bb.11:
	v_mov_b32_e32 v2, 0x100
	v_lshl_add_u32 v2, v17, 2, v2
	v_mov_b32_e32 v3, -1
	ds_write_b32 v2, v3 offset:20
.LBB136_12:
	s_or_b64 exec, exec, s[2:3]
	v_add_u32_e32 v86, 5, v17
	s_mul_i32 s0, s0, s9
	v_add_u32_e32 v2, s52, v86
	v_cmp_gt_i32_e64 s[2:3], s17, v2
	s_mov_b64 s[28:29], exec
                                        ; implicit-def: $vgpr104 : SGPR spill to VGPR lane
	v_writelane_b32 v104, s2, 0
	v_writelane_b32 v104, s3, 1
	s_and_b64 s[2:3], s[28:29], s[2:3]
	s_mov_b64 exec, s[2:3]
	s_cbranch_execz .LBB136_20
; %bb.13:
	s_and_saveexec_b64 s[30:31], s[10:11]
	s_cbranch_execz .LBB136_19
; %bb.14:
	v_mul_lo_u32 v2, v86, s23
	v_ashrrev_i32_e32 v3, 31, v2
	v_lshlrev_b64 v[2:3], 2, v[2:3]
	v_mov_b32_e32 v5, s1
	v_add_co_u32_e64 v4, s[12:13], s33, v2
	v_mov_b32_e32 v2, 0x100
	v_addc_co_u32_e64 v5, s[12:13], v5, v3, s[12:13]
	v_lshl_add_u32 v6, v17, 2, v2
	v_mul_lo_u32 v2, v16, s22
	s_lshl_b32 s2, s22, 6
	s_mov_b64 s[36:37], 0
	v_mov_b32_e32 v7, v16
	s_branch .LBB136_16
.LBB136_15:                             ;   in Loop: Header=BB136_16 Depth=1
	s_or_b64 exec, exec, s[38:39]
	v_add_u32_e32 v7, 64, v7
	v_cmp_le_i32_e64 s[14:15], s18, v7
	s_xor_b64 s[12:13], s[12:13], -1
	s_or_b64 s[12:13], s[12:13], s[14:15]
	s_and_b64 s[12:13], exec, s[12:13]
	s_or_b64 s[36:37], s[12:13], s[36:37]
	v_add_u32_e32 v2, s2, v2
	s_andn2_b64 exec, exec, s[36:37]
	s_cbranch_execz .LBB136_18
.LBB136_16:                             ; =>This Inner Loop Header: Depth=1
	v_ashrrev_i32_e32 v3, 31, v2
	v_lshlrev_b64 v[8:9], 2, v[2:3]
	v_add_co_u32_e64 v8, s[12:13], v4, v8
	v_addc_co_u32_e64 v9, s[12:13], v5, v9, s[12:13]
	global_load_dword v3, v[8:9], off
	s_waitcnt vmcnt(0)
	v_cmp_ne_u32_e64 s[12:13], s7, v3
	v_cmp_eq_u32_e64 s[14:15], s7, v3
	s_and_saveexec_b64 s[38:39], s[14:15]
	s_cbranch_execz .LBB136_15
; %bb.17:                               ;   in Loop: Header=BB136_16 Depth=1
	v_mov_b32_e32 v1, 1
	ds_write_b32 v6, v7 offset:20
	s_branch .LBB136_15
.LBB136_18:
	s_or_b64 exec, exec, s[36:37]
.LBB136_19:
	s_or_b64 exec, exec, s[30:31]
.LBB136_20:
	s_or_b64 exec, exec, s[28:29]
	s_mul_hi_u32 s2, s9, s0
	s_and_saveexec_b64 s[12:13], vcc
	s_cbranch_execz .LBB136_22
; %bb.21:
	v_mov_b32_e32 v2, 0x100
	v_lshl_add_u32 v2, v17, 2, v2
	v_mov_b32_e32 v3, -1
	ds_write_b32 v2, v3 offset:40
.LBB136_22:
	s_or_b64 exec, exec, s[12:13]
	s_load_dwordx4 s[28:31], s[4:5], 0x54
	v_add_u32_e32 v87, 10, v17
	s_abs_i32 s0, s8
	s_add_i32 s9, s9, s2
	v_add_u32_e32 v2, s52, v87
	v_cmp_gt_i32_e64 s[2:3], s17, v2
	s_mov_b64 s[14:15], exec
	v_writelane_b32 v104, s2, 2
	v_writelane_b32 v104, s3, 3
	s_and_b64 s[2:3], s[14:15], s[2:3]
	s_mov_b64 exec, s[2:3]
	s_cbranch_execz .LBB136_30
; %bb.23:
	s_and_saveexec_b64 s[36:37], s[10:11]
	s_cbranch_execz .LBB136_29
; %bb.24:
	v_mul_lo_u32 v2, v87, s23
	v_ashrrev_i32_e32 v3, 31, v2
	v_lshlrev_b64 v[2:3], 2, v[2:3]
	v_mov_b32_e32 v5, s1
	v_add_co_u32_e32 v4, vcc, s33, v2
	v_mov_b32_e32 v2, 0x100
	v_addc_co_u32_e32 v5, vcc, v5, v3, vcc
	v_lshl_add_u32 v6, v17, 2, v2
	v_mul_lo_u32 v2, v16, s22
	s_lshl_b32 s1, s22, 6
	s_mov_b64 s[22:23], 0
	v_mov_b32_e32 v7, v16
	s_branch .LBB136_26
.LBB136_25:                             ;   in Loop: Header=BB136_26 Depth=1
	s_or_b64 exec, exec, s[38:39]
	v_add_u32_e32 v7, 64, v7
	v_cmp_le_i32_e64 s[10:11], s18, v7
	s_xor_b64 s[2:3], vcc, -1
	s_or_b64 s[2:3], s[2:3], s[10:11]
	s_and_b64 s[2:3], exec, s[2:3]
	s_or_b64 s[22:23], s[2:3], s[22:23]
	v_add_u32_e32 v2, s1, v2
	s_andn2_b64 exec, exec, s[22:23]
	s_cbranch_execz .LBB136_28
.LBB136_26:                             ; =>This Inner Loop Header: Depth=1
	v_ashrrev_i32_e32 v3, 31, v2
	v_lshlrev_b64 v[8:9], 2, v[2:3]
	v_add_co_u32_e32 v8, vcc, v4, v8
	v_addc_co_u32_e32 v9, vcc, v5, v9, vcc
	global_load_dword v3, v[8:9], off
	s_waitcnt vmcnt(0)
	v_cmp_ne_u32_e32 vcc, s7, v3
	v_cmp_eq_u32_e64 s[10:11], s7, v3
	s_and_saveexec_b64 s[38:39], s[10:11]
	s_cbranch_execz .LBB136_25
; %bb.27:                               ;   in Loop: Header=BB136_26 Depth=1
	v_mov_b32_e32 v1, 1
	ds_write_b32 v6, v7 offset:40
	s_branch .LBB136_25
.LBB136_28:
	s_or_b64 exec, exec, s[22:23]
.LBB136_29:
	s_or_b64 exec, exec, s[36:37]
.LBB136_30:
	s_or_b64 exec, exec, s[14:15]
	s_load_dwordx2 s[2:3], s[34:35], 0xc
	s_load_dwordx4 s[36:39], s[4:5], 0x0
	s_load_dwordx2 s[10:11], s[4:5], 0x18
	v_cmp_ne_u32_e32 vcc, 0, v1
	v_cndmask_b32_e64 v1, 0, 1, vcc
                                        ; kill: killed $sgpr4 killed $sgpr5
	s_waitcnt lgkmcnt(0)
	s_and_b32 s5, s3, 0xffff
	s_lshr_b32 s4, s2, 16
	v_or_b32_dpp v1, v1, v1 row_shl:1 row_mask:0xf bank_mask:0xf bound_ctrl:1
	s_and_b32 s3, s2, 0xffff
	s_mul_i32 s2, s4, s3
	v_or_b32_dpp v1, v1, v1 row_shl:2 row_mask:0xf bank_mask:0xf bound_ctrl:1
	s_bfe_i32 s2, s2, 0x180000
	s_mul_i32 s2, s2, s5
	v_or_b32_dpp v1, v1, v1 row_shl:4 row_mask:0xf bank_mask:0xf bound_ctrl:1
	s_add_i32 s5, s2, 63
	s_bitcmp1_b32 exec_hi, 0
	v_or_b32_dpp v1, v1, v1 row_shl:8 row_mask:0xf bank_mask:0xf bound_ctrl:1
	s_mul_hi_u32 s1, s0, s9
	v_writelane_b32 v104, s10, 4
	v_mov_b32_dpp v2, v1 wave_shl:1 row_mask:0xf bank_mask:0xf bound_ctrl:1
	v_writelane_b32 v104, s11, 5
                                        ; kill: killed $sgpr34 killed $sgpr35
	s_nop 0
	v_or_b32_dpp v1, v2, v1 row_mirror row_mask:0xf bank_mask:0xf bound_ctrl:1
	v_readlane_b32 s2, v1, 32
	s_cselect_b32 s2, s2, 0
	v_readlane_b32 s9, v1, 0
	s_or_b32 s2, s2, s9
	s_andn2_b32 s5, s5, 63
	s_cmp_lg_u32 s5, 64
	v_mov_b32_e32 v1, s2
	s_cbranch_scc0 .LBB136_37
; %bb.31:
	v_bfe_u32 v0, v0, 20, 10
	v_mbcnt_lo_u32_b32 v1, -1, 0
	v_mad_u32_u24 v0, v0, s4, v17
	v_mbcnt_hi_u32_b32 v2, -1, v1
	v_mad_u64_u32 v[0:1], s[4:5], v0, s3, v[16:17]
	v_lshrrev_b32_e32 v1, 6, v0
	v_or_b32_e32 v1, v2, v1
	v_cmp_eq_u32_e32 vcc, 0, v1
	s_and_saveexec_b64 s[4:5], vcc
	s_cbranch_execz .LBB136_33
; %bb.32:
	v_mov_b32_e32 v1, 0
	v_mov_b32_e32 v3, s2
	ds_write_b32 v1, v3
.LBB136_33:
	s_or_b64 exec, exec, s[4:5]
	v_cmp_eq_u32_e32 vcc, 0, v2
	v_cmp_lt_u32_e64 s[4:5], 63, v0
	s_and_b64 s[10:11], s[4:5], vcc
	s_waitcnt lgkmcnt(0)
	s_barrier
	s_and_saveexec_b64 s[4:5], s[10:11]
	s_cbranch_execz .LBB136_36
; %bb.34:
	v_mbcnt_lo_u32_b32 v0, exec_lo, 0
	v_mbcnt_hi_u32_b32 v0, exec_hi, v0
	v_cmp_eq_u32_e32 vcc, 0, v0
	s_and_b64 exec, exec, vcc
	s_cbranch_execz .LBB136_36
; %bb.35:
	v_mov_b32_e32 v0, 0
	v_mov_b32_e32 v1, s2
	ds_or_b32 v0, v1
.LBB136_36:
	s_or_b64 exec, exec, s[4:5]
	v_mov_b32_e32 v0, 0
	s_waitcnt lgkmcnt(0)
	s_barrier
	ds_read_b32 v1, v0
	s_waitcnt lgkmcnt(0)
	s_barrier
.LBB136_37:
	v_cmp_ne_u32_e32 vcc, 0, v1
	s_ashr_i32 s2, s8, 31
	s_ashr_i32 s3, s27, 31
	s_cbranch_vccz .LBB136_198
; %bb.38:
	v_lshlrev_b32_e32 v88, 6, v17
	v_add_u32_e32 v90, v88, v16
	v_cmp_le_i32_e32 vcc, s16, v90
	v_and_b32_e32 v89, 15, v16
                                        ; implicit-def: $sgpr9
	s_and_saveexec_b64 s[4:5], vcc
	s_xor_b64 s[4:5], exec, s[4:5]
; %bb.39:
	v_and_b32_e32 v89, 15, v16
	s_mov_b32 s9, 0
                                        ; implicit-def: $vgpr90
; %bb.40:
	s_or_saveexec_b64 s[4:5], s[4:5]
	s_lshl_b32 s6, s6, 6
	v_mov_b32_e32 v11, s9
	v_mov_b32_e32 v10, s9
	;; [unrolled: 1-line block ×16, first 2 shown]
	v_writelane_b32 v104, s4, 6
	v_writelane_b32 v104, s5, 7
	s_xor_b64 exec, exec, s[4:5]
	s_cbranch_execz .LBB136_187
; %bb.41:
	s_xor_b32 s2, s2, s3
	s_mul_i32 s3, s1, s40
	s_sub_i32 s0, s0, s3
	s_add_i32 s3, s1, 1
	s_sub_i32 s4, s0, s40
	s_cmp_ge_u32 s0, s40
	s_cselect_b32 s1, s3, s1
	s_cselect_b32 s0, s4, s0
	s_add_i32 s3, s1, 1
	s_cmp_ge_u32 s0, s40
	s_cselect_b32 s0, s3, s1
	s_xor_b32 s0, s0, s2
	s_sub_i32 s0, s0, s2
	s_mul_hi_i32 s1, s0, s28
	s_mul_i32 s0, s0, s28
	s_mul_i32 s2, s7, s24
	v_writelane_b32 v104, s42, 8
	s_ashr_i32 s3, s2, 31
	s_lshl_b64 s[0:1], s[0:1], 2
	v_writelane_b32 v104, s43, 9
	s_add_u32 s5, s36, s0
	v_writelane_b32 v104, s6, 10
	s_mul_i32 s4, s6, s19
	s_addc_u32 s6, s37, s1
	s_lshl_b64 s[2:3], s[2:3], 2
	s_add_u32 s7, s5, s2
	s_addc_u32 s6, s6, s3
	s_ashr_i32 s5, s4, 31
	s_lshl_b64 s[4:5], s[4:5], 2
	s_add_u32 s24, s7, s4
	s_addc_u32 s10, s6, s5
	s_movk_i32 s6, 0x1080
	v_mov_b32_e32 v91, 0x100
	v_writelane_b32 v104, s8, 11
	v_mad_u32_u24 v0, v17, s6, v91
	s_mul_hi_i32 s7, s29, s8
	v_writelane_b32 v104, s28, 12
	s_mul_i32 s6, s29, s8
	s_mul_hi_i32 s9, s20, s52
	s_mul_i32 s8, s20, s52
	s_lshl_b64 s[8:9], s[8:9], 3
	s_lshl_b64 s[6:7], s[6:7], 2
	v_writelane_b32 v104, s29, 13
	s_add_u32 s6, s38, s6
	v_writelane_b32 v104, s30, 14
	s_addc_u32 s7, s39, s7
	v_writelane_b32 v104, s31, 15
	s_add_u32 s31, s6, s8
	s_addc_u32 s33, s7, s9
	s_cmp_lt_i32 s52, s17
	s_cselect_b64 s[6:7], -1, 0
	s_add_i32 s8, s52, 1
	s_cmp_lt_i32 s8, s17
	s_cselect_b64 s[14:15], -1, 0
	s_add_i32 s8, s52, 2
	s_cmp_lt_i32 s8, s17
	s_cselect_b64 s[22:23], -1, 0
	s_lshl_b32 s8, s20, 2
	v_writelane_b32 v104, s8, 16
	s_add_i32 s8, s52, 3
	s_cmp_lt_i32 s8, s17
	s_cselect_b64 s[28:29], -1, 0
	s_add_i32 s8, s52, 4
	s_cmp_lt_i32 s8, s17
	s_cselect_b64 s[34:35], -1, 0
	s_lshl_b32 s8, s20, 3
	v_writelane_b32 v104, s8, 17
	s_add_i32 s8, s52, 5
	s_cmp_lt_i32 s8, s17
	s_cselect_b64 s[38:39], -1, 0
	s_add_i32 s8, s52, 6
	s_cmp_lt_i32 s8, s17
	s_mul_i32 s8, s20, 6
	s_cselect_b64 s[40:41], -1, 0
	v_writelane_b32 v104, s8, 18
	s_add_i32 s8, s52, 7
	s_cmp_lt_i32 s8, s17
	s_cselect_b64 s[42:43], -1, 0
	s_add_i32 s8, s52, 8
	s_cmp_lt_i32 s8, s17
	s_cselect_b64 s[44:45], -1, 0
	s_lshl_b32 s8, s20, 4
	v_writelane_b32 v104, s8, 19
	s_add_i32 s8, s52, 9
	s_cmp_lt_i32 s8, s17
	s_cselect_b64 s[46:47], -1, 0
	s_add_i32 s8, s52, 10
	s_cmp_lt_i32 s8, s17
	s_mul_i32 s8, s20, 10
	s_cselect_b64 s[48:49], -1, 0
	v_writelane_b32 v104, s8, 20
	s_add_i32 s8, s52, 11
	s_cmp_lt_i32 s8, s17
	s_cselect_b64 s[50:51], -1, 0
	s_add_i32 s8, s52, 12
	v_writelane_b32 v104, s52, 21
	s_cmp_lt_i32 s8, s17
	s_mul_i32 s8, s20, 12
	s_cselect_b64 s[52:53], -1, 0
	v_writelane_b32 v104, s8, 22
	s_ashr_i32 s9, s19, 31
	s_mov_b32 s8, s19
	s_lshl_b64 s[54:55], s[8:9], 2
	s_add_u32 s0, s0, s4
	v_lshrrev_b32_e32 v2, 1, v16
	s_addc_u32 s1, s1, s5
	v_mul_u32_u24_e32 v1, 0x108, v89
	v_and_b32_e32 v2, 0x1f8, v2
	s_add_u32 s0, s0, s2
	v_lshl_add_u32 v92, v16, 2, v0
	v_add3_u32 v93, v0, v1, v2
	v_lshlrev_b32_e32 v0, 1, v16
	s_addc_u32 s1, s1, s3
	v_lshl_add_u32 v94, v17, 7, v0
	v_lshlrev_b32_e32 v0, 2, v90
	s_add_u32 s0, s36, s0
	v_add_co_u32_e32 v18, vcc, s0, v0
	s_mul_i32 s0, s20, 24
	v_writelane_b32 v104, s0, 23
	s_mul_i32 s0, s20, 22
	v_writelane_b32 v104, s0, 24
	;; [unrolled: 2-line block ×4, first 2 shown]
	s_mul_i32 s0, s20, 14
	s_addc_u32 s1, s37, s1
	v_writelane_b32 v104, s0, 27
	s_lshl_b32 s0, s20, 1
	v_writelane_b32 v104, s0, 28
	s_mul_i32 s0, s19, 3
	v_writelane_b32 v104, s0, 29
	s_mul_i32 s0, s19, 5
	;; [unrolled: 2-line block ×7, first 2 shown]
	v_mov_b32_e32 v1, s1
	v_writelane_b32 v104, s0, 35
	s_mul_i32 s0, s19, 12
	v_mov_b32_e32 v96, 0
	v_addc_co_u32_e32 v19, vcc, 0, v1, vcc
	s_lshl_b32 s66, s19, 1
	s_lshl_b32 s68, s19, 2
	;; [unrolled: 1-line block ×3, first 2 shown]
	v_writelane_b32 v104, s0, 36
	s_mul_i32 s77, s19, 13
	s_mul_i32 s78, s19, 14
	;; [unrolled: 1-line block ×3, first 2 shown]
	s_lshl_b32 s80, s19, 4
	v_mov_b32_e32 v95, s10
	s_mul_i32 s81, s19, 17
	v_mov_b32_e32 v97, s55
	v_mov_b32_e32 v12, 0
	;; [unrolled: 1-line block ×17, first 2 shown]
	s_mul_i32 s55, s19, 18
	s_mul_i32 s82, s19, 19
	s_mul_i32 s83, s19, 20
	s_mul_i32 s84, s19, 21
	s_mul_i32 s85, s19, 22
	s_mul_i32 s86, s19, 23
	s_mul_i32 s87, s19, 24
	s_mul_i32 s88, s19, 25
	s_mul_i32 s89, s19, 26
	s_mul_i32 s90, s19, 27
	s_mul_i32 s91, s19, 28
	s_mul_i32 s92, s19, 29
	s_mul_i32 s93, s19, 30
	s_mul_i32 s94, s19, 31
	s_lshl_b32 s95, s19, 5
	s_mul_i32 s10, s19, 33
	s_mul_i32 s11, s19, 34
	;; [unrolled: 1-line block ×31, first 2 shown]
	s_mov_b32 s74, 0x7f800000
	s_movk_i32 s75, 0x7fff
	s_mov_b32 s76, 0x7060302
	s_mov_b64 s[18:19], 0
	s_branch .LBB136_43
.LBB136_42:                             ;   in Loop: Header=BB136_43 Depth=1
	s_or_b64 exec, exec, s[36:37]
	v_perm_b32 v84, v84, v98, s76
	v_add_u32_e32 v85, 0xc00, v92
	ds_write2_b32 v85, v84, v96 offset0:40 offset1:106
	ds_write2_b32 v85, v96, v96 offset0:172 offset1:238
	ds_read2_b64 v[98:101], v93 offset0:8 offset1:12
	v_add_co_u32_e32 v18, vcc, 0x500, v18
	v_add_u32_e32 v90, 0x140, v90
	s_waitcnt lgkmcnt(0)
	v_mfma_f32_16x16x16bf16_1k v[8:11], v[36:37], v[98:99], v[8:11]
	v_addc_co_u32_e32 v19, vcc, 0, v19, vcc
	v_cmp_le_i32_e32 vcc, s16, v90
	v_add_u32_e32 v94, 0x280, v94
	s_or_b64 s[18:19], vcc, s[18:19]
	v_mfma_f32_16x16x16bf16_1k v[4:7], v[52:53], v[98:99], v[4:7]
	v_mfma_f32_16x16x16bf16_1k v[0:3], v[66:67], v[98:99], v[0:3]
	;; [unrolled: 1-line block ×5, first 2 shown]
	ds_read2_b64 v[50:53], v93 offset0:16 offset1:20
	v_mfma_f32_16x16x16bf16_1k v[0:3], v[64:65], v[100:101], v[0:3]
	v_mfma_f32_16x16x16bf16_1k v[12:15], v[80:81], v[100:101], v[12:15]
	s_waitcnt lgkmcnt(0)
	v_mfma_f32_16x16x16bf16_1k v[8:11], v[30:31], v[50:51], v[8:11]
	v_mfma_f32_16x16x16bf16_1k v[4:7], v[46:47], v[50:51], v[4:7]
	;; [unrolled: 1-line block ×5, first 2 shown]
	ds_read2_b64 v[28:31], v93 offset0:24 offset1:28
	v_mfma_f32_16x16x16bf16_1k v[4:7], v[44:45], v[52:53], v[4:7]
	v_mfma_f32_16x16x16bf16_1k v[0:3], v[60:61], v[52:53], v[0:3]
	;; [unrolled: 1-line block ×3, first 2 shown]
	s_waitcnt lgkmcnt(0)
	v_mfma_f32_16x16x16bf16_1k v[8:11], v[26:27], v[28:29], v[8:11]
	v_mfma_f32_16x16x16bf16_1k v[4:7], v[42:43], v[28:29], v[4:7]
	;; [unrolled: 1-line block ×5, first 2 shown]
	ds_read2_b64 v[24:27], v93 offset0:32 offset1:36
	v_mfma_f32_16x16x16bf16_1k v[4:7], v[40:41], v[30:31], v[4:7]
	v_mfma_f32_16x16x16bf16_1k v[0:3], v[56:57], v[30:31], v[0:3]
	;; [unrolled: 1-line block ×3, first 2 shown]
	s_waitcnt lgkmcnt(0)
	v_mfma_f32_16x16x16bf16_1k v[8:11], v[22:23], v[24:25], v[8:11]
	v_mfma_f32_16x16x16bf16_1k v[4:7], v[38:39], v[24:25], v[4:7]
	;; [unrolled: 1-line block ×8, first 2 shown]
	s_andn2_b64 exec, exec, s[18:19]
	s_cbranch_execz .LBB136_186
.LBB136_43:                             ; =>This Inner Loop Header: Depth=1
	v_add_co_u32_e32 v20, vcc, s54, v18
	v_addc_co_u32_e32 v21, vcc, v19, v97, vcc
	global_load_dword v32, v[18:19], off
	global_load_dword v33, v[20:21], off
	v_add_u32_e32 v20, s66, v90
	v_ashrrev_i32_e32 v21, 31, v20
	v_readlane_b32 s36, v104, 29
	v_lshlrev_b64 v[20:21], 2, v[20:21]
	v_add_u32_e32 v22, s36, v90
	v_add_co_u32_e32 v20, vcc, s24, v20
	v_ashrrev_i32_e32 v23, 31, v22
	v_addc_co_u32_e32 v21, vcc, v95, v21, vcc
	v_lshlrev_b64 v[22:23], 2, v[22:23]
	v_add_u32_e32 v24, s68, v90
	v_add_co_u32_e32 v22, vcc, s24, v22
	v_ashrrev_i32_e32 v25, 31, v24
	v_readlane_b32 s36, v104, 30
	v_addc_co_u32_e32 v23, vcc, v95, v23, vcc
	v_lshlrev_b64 v[24:25], 2, v[24:25]
	v_add_u32_e32 v26, s36, v90
	v_add_co_u32_e32 v24, vcc, s24, v24
	v_ashrrev_i32_e32 v27, 31, v26
	v_readlane_b32 s36, v104, 31
	;; [unrolled: 6-line block ×3, first 2 shown]
	v_addc_co_u32_e32 v27, vcc, v95, v27, vcc
	v_lshlrev_b64 v[28:29], 2, v[28:29]
	v_add_u32_e32 v30, s36, v90
	v_add_co_u32_e32 v28, vcc, s24, v28
	v_ashrrev_i32_e32 v31, 31, v30
	v_addc_co_u32_e32 v29, vcc, v95, v29, vcc
	v_lshlrev_b64 v[30:31], 2, v[30:31]
	v_add_co_u32_e32 v30, vcc, s24, v30
	v_addc_co_u32_e32 v31, vcc, v95, v31, vcc
	global_load_dword v34, v[20:21], off
	global_load_dword v35, v[22:23], off
	;; [unrolled: 1-line block ×3, first 2 shown]
	s_nop 0
	global_load_dword v26, v[26:27], off
	s_nop 0
	global_load_dword v27, v[28:29], off
	;; [unrolled: 2-line block ×3, first 2 shown]
	v_add_u32_e32 v20, s72, v90
	v_readlane_b32 s36, v104, 33
	v_ashrrev_i32_e32 v21, 31, v20
	v_add_u32_e32 v22, s36, v90
	v_lshlrev_b64 v[20:21], 2, v[20:21]
	v_readlane_b32 s36, v104, 34
	v_ashrrev_i32_e32 v23, 31, v22
	v_add_co_u32_e32 v20, vcc, s24, v20
	v_add_u32_e32 v24, s36, v90
	v_lshlrev_b64 v[22:23], 2, v[22:23]
	v_addc_co_u32_e32 v21, vcc, v95, v21, vcc
	v_ashrrev_i32_e32 v25, 31, v24
	v_add_co_u32_e32 v22, vcc, s24, v22
	v_readlane_b32 s36, v104, 35
	v_lshlrev_b64 v[24:25], 2, v[24:25]
	v_addc_co_u32_e32 v23, vcc, v95, v23, vcc
	global_load_dword v20, v[20:21], off
	s_nop 0
	global_load_dword v21, v[22:23], off
	v_add_u32_e32 v22, s36, v90
	v_add_co_u32_e32 v24, vcc, s24, v24
	v_ashrrev_i32_e32 v23, 31, v22
	v_addc_co_u32_e32 v25, vcc, v95, v25, vcc
	v_lshlrev_b64 v[22:23], 2, v[22:23]
	v_readlane_b32 s36, v104, 36
	v_add_u32_e32 v60, s62, v90
	v_ashrrev_i32_e32 v61, 31, v60
	v_lshlrev_b64 v[60:61], 2, v[60:61]
	s_waitcnt vmcnt(9)
	ds_write_b32 v92, v32 offset:64
	s_waitcnt vmcnt(8)
	ds_write_b32 v92, v33 offset:328
	;; [unrolled: 2-line block ×8, first 2 shown]
	v_add_co_u32_e32 v26, vcc, s24, v22
	v_add_u32_e32 v22, s36, v90
	v_addc_co_u32_e32 v27, vcc, v95, v23, vcc
	v_ashrrev_i32_e32 v23, 31, v22
	v_lshlrev_b64 v[22:23], 2, v[22:23]
	v_add_co_u32_e32 v28, vcc, s24, v22
	v_add_u32_e32 v22, s77, v90
	v_addc_co_u32_e32 v29, vcc, v95, v23, vcc
	v_ashrrev_i32_e32 v23, 31, v22
	v_lshlrev_b64 v[22:23], 2, v[22:23]
	;; [unrolled: 5-line block ×6, first 2 shown]
	v_add_co_u32_e32 v38, vcc, s24, v22
	v_addc_co_u32_e32 v39, vcc, v95, v23, vcc
	global_load_dword v22, v[24:25], off
	global_load_dword v23, v[26:27], off
	s_nop 0
	global_load_dword v24, v[28:29], off
	global_load_dword v25, v[30:31], off
	;; [unrolled: 1-line block ×4, first 2 shown]
	s_nop 0
	global_load_dword v34, v[36:37], off
	global_load_dword v35, v[38:39], off
	v_add_u32_e32 v28, s55, v90
	v_ashrrev_i32_e32 v29, 31, v28
	v_lshlrev_b64 v[28:29], 2, v[28:29]
	v_add_u32_e32 v30, s82, v90
	v_add_co_u32_e32 v28, vcc, s24, v28
	v_ashrrev_i32_e32 v31, 31, v30
	v_addc_co_u32_e32 v29, vcc, v95, v29, vcc
	v_lshlrev_b64 v[30:31], 2, v[30:31]
	v_add_u32_e32 v32, s83, v90
	v_add_co_u32_e32 v30, vcc, s24, v30
	v_ashrrev_i32_e32 v33, 31, v32
	v_addc_co_u32_e32 v31, vcc, v95, v31, vcc
	v_lshlrev_b64 v[32:33], 2, v[32:33]
	v_add_u32_e32 v36, s84, v90
	v_add_co_u32_e32 v32, vcc, s24, v32
	v_ashrrev_i32_e32 v37, 31, v36
	v_addc_co_u32_e32 v33, vcc, v95, v33, vcc
	v_lshlrev_b64 v[36:37], 2, v[36:37]
	v_add_u32_e32 v38, s85, v90
	v_add_co_u32_e32 v36, vcc, s24, v36
	v_ashrrev_i32_e32 v39, 31, v38
	v_addc_co_u32_e32 v37, vcc, v95, v37, vcc
	v_lshlrev_b64 v[38:39], 2, v[38:39]
	v_add_co_u32_e32 v42, vcc, s24, v38
	v_add_u32_e32 v38, s86, v90
	v_addc_co_u32_e32 v43, vcc, v95, v39, vcc
	v_ashrrev_i32_e32 v39, 31, v38
	v_lshlrev_b64 v[38:39], 2, v[38:39]
	v_add_co_u32_e32 v44, vcc, s24, v38
	v_add_u32_e32 v38, s87, v90
	v_addc_co_u32_e32 v45, vcc, v95, v39, vcc
	v_ashrrev_i32_e32 v39, 31, v38
	;; [unrolled: 5-line block ×3, first 2 shown]
	v_lshlrev_b64 v[38:39], 2, v[38:39]
	v_add_co_u32_e32 v48, vcc, s24, v38
	v_addc_co_u32_e32 v49, vcc, v95, v39, vcc
	global_load_dword v38, v[28:29], off
	global_load_dword v39, v[30:31], off
	;; [unrolled: 1-line block ×4, first 2 shown]
	s_nop 0
	global_load_dword v42, v[42:43], off
	s_nop 0
	global_load_dword v43, v[44:45], off
	;; [unrolled: 2-line block ×3, first 2 shown]
	global_load_dword v45, v[48:49], off
	v_add_u32_e32 v28, s89, v90
	v_ashrrev_i32_e32 v29, 31, v28
	v_lshlrev_b64 v[28:29], 2, v[28:29]
	v_add_u32_e32 v30, s90, v90
	v_add_co_u32_e32 v28, vcc, s24, v28
	v_ashrrev_i32_e32 v31, 31, v30
	v_addc_co_u32_e32 v29, vcc, v95, v29, vcc
	v_lshlrev_b64 v[30:31], 2, v[30:31]
	v_add_u32_e32 v32, s91, v90
	v_add_co_u32_e32 v30, vcc, s24, v30
	v_ashrrev_i32_e32 v33, 31, v32
	v_addc_co_u32_e32 v31, vcc, v95, v31, vcc
	;; [unrolled: 5-line block ×4, first 2 shown]
	v_lshlrev_b64 v[46:47], 2, v[46:47]
	v_add_co_u32_e32 v48, vcc, s24, v46
	v_add_u32_e32 v46, s94, v90
	v_addc_co_u32_e32 v49, vcc, v95, v47, vcc
	v_ashrrev_i32_e32 v47, 31, v46
	v_lshlrev_b64 v[46:47], 2, v[46:47]
	v_add_co_u32_e32 v54, vcc, s24, v46
	v_add_u32_e32 v46, s95, v90
	v_addc_co_u32_e32 v55, vcc, v95, v47, vcc
	v_ashrrev_i32_e32 v47, 31, v46
	;; [unrolled: 5-line block ×3, first 2 shown]
	v_lshlrev_b64 v[46:47], 2, v[46:47]
	v_add_co_u32_e32 v58, vcc, s24, v46
	v_addc_co_u32_e32 v59, vcc, v95, v47, vcc
	global_load_dword v46, v[28:29], off
	global_load_dword v47, v[30:31], off
	;; [unrolled: 1-line block ×6, first 2 shown]
	s_nop 0
	global_load_dword v48, v[56:57], off
	global_load_dword v49, v[58:59], off
	v_add_u32_e32 v28, s11, v90
	v_ashrrev_i32_e32 v29, 31, v28
	v_lshlrev_b64 v[28:29], 2, v[28:29]
	v_add_u32_e32 v30, s27, v90
	v_add_co_u32_e32 v28, vcc, s24, v28
	v_ashrrev_i32_e32 v31, 31, v30
	v_addc_co_u32_e32 v29, vcc, v95, v29, vcc
	v_lshlrev_b64 v[30:31], 2, v[30:31]
	v_add_u32_e32 v32, s30, v90
	v_add_co_u32_e32 v30, vcc, s24, v30
	v_ashrrev_i32_e32 v33, 31, v32
	v_addc_co_u32_e32 v31, vcc, v95, v31, vcc
	v_lshlrev_b64 v[32:33], 2, v[32:33]
	v_add_u32_e32 v36, s58, v90
	v_add_co_u32_e32 v32, vcc, s24, v32
	v_ashrrev_i32_e32 v37, 31, v36
	v_addc_co_u32_e32 v33, vcc, v95, v33, vcc
	v_lshlrev_b64 v[36:37], 2, v[36:37]
	v_add_u32_e32 v54, s60, v90
	v_add_co_u32_e32 v36, vcc, s24, v36
	v_ashrrev_i32_e32 v55, 31, v54
	v_addc_co_u32_e32 v37, vcc, v95, v37, vcc
	v_lshlrev_b64 v[54:55], 2, v[54:55]
	v_add_u32_e32 v56, s17, v90
	v_add_co_u32_e32 v54, vcc, s24, v54
	v_ashrrev_i32_e32 v57, 31, v56
	v_addc_co_u32_e32 v55, vcc, v95, v55, vcc
	v_lshlrev_b64 v[56:57], 2, v[56:57]
	v_add_u32_e32 v58, s61, v90
	v_add_co_u32_e32 v56, vcc, s24, v56
	v_ashrrev_i32_e32 v59, 31, v58
	v_addc_co_u32_e32 v57, vcc, v95, v57, vcc
	v_lshlrev_b64 v[58:59], 2, v[58:59]
	v_add_co_u32_e32 v58, vcc, s24, v58
	v_addc_co_u32_e32 v59, vcc, v95, v59, vcc
	v_add_co_u32_e32 v60, vcc, s24, v60
	v_addc_co_u32_e32 v61, vcc, v95, v61, vcc
	global_load_dword v62, v[28:29], off
	global_load_dword v63, v[30:31], off
	;; [unrolled: 1-line block ×8, first 2 shown]
	v_add_u32_e32 v28, s63, v90
	v_ashrrev_i32_e32 v29, 31, v28
	v_lshlrev_b64 v[28:29], 2, v[28:29]
	v_add_u32_e32 v30, s64, v90
	v_add_co_u32_e32 v28, vcc, s24, v28
	v_ashrrev_i32_e32 v31, 31, v30
	v_addc_co_u32_e32 v29, vcc, v95, v29, vcc
	v_lshlrev_b64 v[30:31], 2, v[30:31]
	v_add_u32_e32 v32, s65, v90
	v_add_co_u32_e32 v30, vcc, s24, v30
	v_ashrrev_i32_e32 v33, 31, v32
	v_addc_co_u32_e32 v31, vcc, v95, v31, vcc
	;; [unrolled: 5-line block ×7, first 2 shown]
	v_lshlrev_b64 v[60:61], 2, v[60:61]
	v_add_co_u32_e32 v60, vcc, s24, v60
	v_addc_co_u32_e32 v61, vcc, v95, v61, vcc
	global_load_dword v70, v[28:29], off
	global_load_dword v71, v[30:31], off
	;; [unrolled: 1-line block ×8, first 2 shown]
	v_add_u32_e32 v28, s1, v90
	v_ashrrev_i32_e32 v29, 31, v28
	v_lshlrev_b64 v[28:29], 2, v[28:29]
	v_add_u32_e32 v30, s2, v90
	v_add_co_u32_e32 v28, vcc, s24, v28
	v_ashrrev_i32_e32 v31, 31, v30
	v_addc_co_u32_e32 v29, vcc, v95, v29, vcc
	v_lshlrev_b64 v[30:31], 2, v[30:31]
	v_add_u32_e32 v32, s3, v90
	v_add_co_u32_e32 v30, vcc, s24, v30
	v_ashrrev_i32_e32 v33, 31, v32
	v_addc_co_u32_e32 v31, vcc, v95, v31, vcc
	;; [unrolled: 5-line block ×7, first 2 shown]
	v_lshlrev_b64 v[60:61], 2, v[60:61]
	v_add_co_u32_e32 v60, vcc, s24, v60
	v_addc_co_u32_e32 v61, vcc, v95, v61, vcc
	global_load_dword v78, v[28:29], off
	global_load_dword v79, v[30:31], off
	;; [unrolled: 1-line block ×8, first 2 shown]
	v_add_u32_e32 v28, s8, v90
	v_ashrrev_i32_e32 v29, 31, v28
	v_lshlrev_b64 v[28:29], 2, v[28:29]
	v_add_u32_e32 v30, s67, v90
	v_add_co_u32_e32 v28, vcc, s24, v28
	v_ashrrev_i32_e32 v31, 31, v30
	v_addc_co_u32_e32 v29, vcc, v95, v29, vcc
	v_lshlrev_b64 v[30:31], 2, v[30:31]
	v_add_u32_e32 v32, s69, v90
	v_add_co_u32_e32 v30, vcc, s24, v30
	v_ashrrev_i32_e32 v33, 31, v32
	v_addc_co_u32_e32 v31, vcc, v95, v31, vcc
	;; [unrolled: 5-line block ×5, first 2 shown]
	v_lshlrev_b64 v[56:57], 2, v[56:57]
	v_add_co_u32_e32 v56, vcc, s24, v56
	v_addc_co_u32_e32 v57, vcc, v95, v57, vcc
	global_load_dword v98, v[28:29], off
	global_load_dword v99, v[30:31], off
	;; [unrolled: 1-line block ×6, first 2 shown]
	s_waitcnt vmcnt(55)
	ds_write_b32 v92, v20 offset:2176
	s_waitcnt vmcnt(54)
	ds_write_b32 v92, v21 offset:2440
	s_waitcnt vmcnt(53)
	ds_write_b32 v92, v22 offset:2704
	s_waitcnt vmcnt(52)
	ds_write_b32 v92, v23 offset:2968
	s_waitcnt vmcnt(51)
	ds_write_b32 v92, v24 offset:3232
	s_waitcnt vmcnt(50)
	ds_write_b32 v92, v25 offset:3496
	s_waitcnt vmcnt(49)
	ds_write_b32 v92, v26 offset:3760
	s_waitcnt vmcnt(48)
	ds_write_b32 v92, v27 offset:4024
	ds_read_b64 v[36:37], v93 offset:64
	ds_read_b64 v[32:33], v93 offset:96
	ds_read_b64 v[30:31], v93 offset:128
	ds_read_b64 v[28:29], v93 offset:160
	ds_read_b64 v[26:27], v93 offset:192
	ds_read_b64 v[24:25], v93 offset:224
	ds_read_b64 v[22:23], v93 offset:256
	ds_read_b64 v[20:21], v93 offset:288
	s_waitcnt vmcnt(47)
	ds_write_b32 v92, v34 offset:64
	s_waitcnt vmcnt(46)
	ds_write_b32 v92, v35 offset:328
	s_waitcnt vmcnt(45)
	ds_write_b32 v92, v38 offset:592
	s_waitcnt vmcnt(44)
	ds_write_b32 v92, v39 offset:856
	s_waitcnt vmcnt(43)
	ds_write_b32 v92, v40 offset:1120
	s_waitcnt vmcnt(42)
	ds_write_b32 v92, v41 offset:1384
	s_waitcnt vmcnt(41)
	ds_write_b32 v92, v42 offset:1648
	s_waitcnt vmcnt(40)
	ds_write_b32 v92, v43 offset:1912
	s_waitcnt vmcnt(39)
	ds_write_b32 v92, v44 offset:2176
	s_waitcnt vmcnt(38)
	ds_write_b32 v92, v45 offset:2440
	s_waitcnt vmcnt(37)
	ds_write_b32 v92, v46 offset:2704
	s_waitcnt vmcnt(36)
	ds_write_b32 v92, v47 offset:2968
	s_waitcnt vmcnt(35)
	ds_write_b32 v92, v50 offset:3232
	s_waitcnt vmcnt(34)
	ds_write_b32 v92, v51 offset:3496
	s_waitcnt vmcnt(33)
	ds_write_b32 v92, v52 offset:3760
	s_waitcnt vmcnt(32)
	ds_write_b32 v92, v53 offset:4024
	ds_read_b64 v[52:53], v93 offset:64
	ds_read_b64 v[50:51], v93 offset:96
	ds_read_b64 v[46:47], v93 offset:128
	ds_read_b64 v[44:45], v93 offset:160
	ds_read_b64 v[42:43], v93 offset:192
	ds_read_b64 v[40:41], v93 offset:224
	ds_read_b64 v[38:39], v93 offset:256
	ds_read_b64 v[34:35], v93 offset:288
	s_waitcnt vmcnt(31)
	ds_write_b32 v92, v48 offset:64
	s_waitcnt vmcnt(30)
	ds_write_b32 v92, v49 offset:328
	s_waitcnt vmcnt(29)
	ds_write_b32 v92, v62 offset:592
	s_waitcnt vmcnt(28)
	ds_write_b32 v92, v63 offset:856
	s_waitcnt vmcnt(27)
	ds_write_b32 v92, v64 offset:1120
	s_waitcnt vmcnt(26)
	ds_write_b32 v92, v65 offset:1384
	s_waitcnt vmcnt(25)
	ds_write_b32 v92, v66 offset:1648
	s_waitcnt vmcnt(24)
	ds_write_b32 v92, v67 offset:1912
	;; [unrolled: 40-line block ×3, first 2 shown]
	s_waitcnt vmcnt(7)
	ds_write_b32 v92, v84 offset:2176
	s_waitcnt vmcnt(6)
	ds_write_b32 v92, v85 offset:2440
	;; [unrolled: 2-line block ×8, first 2 shown]
	ds_read_b64 v[82:83], v93 offset:64
	ds_read_b64 v[80:81], v93 offset:96
	;; [unrolled: 1-line block ×8, first 2 shown]
	s_andn2_b64 vcc, exec, s[6:7]
	v_mov_b32_e32 v84, 0
	v_mov_b32_e32 v85, 0
	s_cbranch_vccnz .LBB136_46
; %bb.44:                               ;   in Loop: Header=BB136_43 Depth=1
	ds_read_b32 v98, v91
	v_mov_b32_e32 v85, 0
	v_mov_b32_e32 v84, 0
	s_waitcnt lgkmcnt(0)
	v_cmp_gt_i32_e32 vcc, 0, v98
	s_cbranch_vccnz .LBB136_46
; %bb.45:                               ;   in Loop: Header=BB136_43 Depth=1
	v_mul_lo_u32 v84, v98, s25
	v_add_u32_e32 v84, v94, v84
	v_ashrrev_i32_e32 v85, 31, v84
	v_lshlrev_b64 v[84:85], 2, v[84:85]
	v_mov_b32_e32 v98, s33
	v_add_co_u32_e32 v84, vcc, s31, v84
	v_addc_co_u32_e32 v85, vcc, v98, v85, vcc
	global_load_dwordx2 v[84:85], v[84:85], off
.LBB136_46:                             ;   in Loop: Header=BB136_43 Depth=1
	s_waitcnt vmcnt(0)
	v_and_b32_e32 v98, 0x7f800000, v84
	v_cmp_ne_u32_e32 vcc, s74, v98
                                        ; implicit-def: $vgpr98
	s_and_saveexec_b64 s[36:37], vcc
	s_xor_b64 s[36:37], exec, s[36:37]
; %bb.47:                               ;   in Loop: Header=BB136_43 Depth=1
	v_bfe_u32 v98, v84, 16, 1
	v_add3_u32 v98, v84, v98, s75
; %bb.48:                               ;   in Loop: Header=BB136_43 Depth=1
	s_andn2_saveexec_b64 s[36:37], s[36:37]
; %bb.49:                               ;   in Loop: Header=BB136_43 Depth=1
	v_or_b32_e32 v98, 0x10000, v84
	v_cmp_eq_u32_sdwa vcc, v84, v96 src0_sel:WORD_0 src1_sel:DWORD
	v_cndmask_b32_e32 v98, v98, v84, vcc
; %bb.50:                               ;   in Loop: Header=BB136_43 Depth=1
	s_or_b64 exec, exec, s[36:37]
	v_and_b32_e32 v84, 0x7f800000, v85
	v_cmp_ne_u32_e32 vcc, s74, v84
                                        ; implicit-def: $vgpr84
	s_and_saveexec_b64 s[36:37], vcc
	s_xor_b64 s[36:37], exec, s[36:37]
; %bb.51:                               ;   in Loop: Header=BB136_43 Depth=1
	v_bfe_u32 v84, v85, 16, 1
	v_add3_u32 v84, v85, v84, s75
                                        ; implicit-def: $vgpr85
; %bb.52:                               ;   in Loop: Header=BB136_43 Depth=1
	s_andn2_saveexec_b64 s[36:37], s[36:37]
; %bb.53:                               ;   in Loop: Header=BB136_43 Depth=1
	v_or_b32_e32 v84, 0x10000, v85
	v_cmp_eq_u32_sdwa vcc, v85, v96 src0_sel:WORD_0 src1_sel:DWORD
	v_cndmask_b32_e32 v84, v84, v85, vcc
; %bb.54:                               ;   in Loop: Header=BB136_43 Depth=1
	s_or_b64 exec, exec, s[36:37]
	v_perm_b32 v84, v84, v98, s76
	ds_write_b32 v92, v84 offset:64
	s_andn2_b64 vcc, exec, s[14:15]
	v_mov_b32_e32 v84, 0
	v_mov_b32_e32 v85, 0
	s_cbranch_vccnz .LBB136_57
; %bb.55:                               ;   in Loop: Header=BB136_43 Depth=1
	ds_read_b32 v98, v91 offset:4
	v_mov_b32_e32 v85, 0
	v_mov_b32_e32 v84, 0
	s_waitcnt lgkmcnt(0)
	v_cmp_gt_i32_e32 vcc, 0, v98
	s_cbranch_vccnz .LBB136_57
; %bb.56:                               ;   in Loop: Header=BB136_43 Depth=1
	v_mul_lo_u32 v84, v98, s25
	v_readlane_b32 s36, v104, 28
	v_add_u32_e32 v84, s36, v84
	v_add_u32_e32 v84, v84, v94
	v_ashrrev_i32_e32 v85, 31, v84
	v_lshlrev_b64 v[84:85], 2, v[84:85]
	v_mov_b32_e32 v98, s33
	v_add_co_u32_e32 v84, vcc, s31, v84
	v_addc_co_u32_e32 v85, vcc, v98, v85, vcc
	global_load_dwordx2 v[84:85], v[84:85], off
.LBB136_57:                             ;   in Loop: Header=BB136_43 Depth=1
	s_waitcnt vmcnt(0)
	v_and_b32_e32 v98, 0x7f800000, v84
	v_cmp_ne_u32_e32 vcc, s74, v98
                                        ; implicit-def: $vgpr98
	s_and_saveexec_b64 s[36:37], vcc
	s_xor_b64 s[36:37], exec, s[36:37]
; %bb.58:                               ;   in Loop: Header=BB136_43 Depth=1
	v_bfe_u32 v98, v84, 16, 1
	v_add3_u32 v98, v84, v98, s75
; %bb.59:                               ;   in Loop: Header=BB136_43 Depth=1
	s_andn2_saveexec_b64 s[36:37], s[36:37]
; %bb.60:                               ;   in Loop: Header=BB136_43 Depth=1
	v_or_b32_e32 v98, 0x10000, v84
	v_cmp_eq_u32_sdwa vcc, v84, v96 src0_sel:WORD_0 src1_sel:DWORD
	v_cndmask_b32_e32 v98, v98, v84, vcc
; %bb.61:                               ;   in Loop: Header=BB136_43 Depth=1
	s_or_b64 exec, exec, s[36:37]
	v_and_b32_e32 v84, 0x7f800000, v85
	v_cmp_ne_u32_e32 vcc, s74, v84
                                        ; implicit-def: $vgpr84
	s_and_saveexec_b64 s[36:37], vcc
	s_xor_b64 s[36:37], exec, s[36:37]
; %bb.62:                               ;   in Loop: Header=BB136_43 Depth=1
	v_bfe_u32 v84, v85, 16, 1
	v_add3_u32 v84, v85, v84, s75
                                        ; implicit-def: $vgpr85
; %bb.63:                               ;   in Loop: Header=BB136_43 Depth=1
	s_andn2_saveexec_b64 s[36:37], s[36:37]
; %bb.64:                               ;   in Loop: Header=BB136_43 Depth=1
	v_or_b32_e32 v84, 0x10000, v85
	v_cmp_eq_u32_sdwa vcc, v85, v96 src0_sel:WORD_0 src1_sel:DWORD
	v_cndmask_b32_e32 v84, v84, v85, vcc
; %bb.65:                               ;   in Loop: Header=BB136_43 Depth=1
	s_or_b64 exec, exec, s[36:37]
	v_perm_b32 v84, v84, v98, s76
	ds_write_b32 v92, v84 offset:328
	s_andn2_b64 vcc, exec, s[22:23]
	v_mov_b32_e32 v84, 0
	v_mov_b32_e32 v85, 0
	s_cbranch_vccnz .LBB136_68
; %bb.66:                               ;   in Loop: Header=BB136_43 Depth=1
	ds_read_b32 v98, v91 offset:8
	v_mov_b32_e32 v85, 0
	v_mov_b32_e32 v84, 0
	s_waitcnt lgkmcnt(0)
	v_cmp_gt_i32_e32 vcc, 0, v98
	s_cbranch_vccnz .LBB136_68
; %bb.67:                               ;   in Loop: Header=BB136_43 Depth=1
	v_mul_lo_u32 v84, v98, s25
	v_readlane_b32 s36, v104, 16
	v_add_u32_e32 v84, s36, v84
	v_add_u32_e32 v84, v84, v94
	v_ashrrev_i32_e32 v85, 31, v84
	v_lshlrev_b64 v[84:85], 2, v[84:85]
	v_mov_b32_e32 v98, s33
	v_add_co_u32_e32 v84, vcc, s31, v84
	v_addc_co_u32_e32 v85, vcc, v98, v85, vcc
	global_load_dwordx2 v[84:85], v[84:85], off
.LBB136_68:                             ;   in Loop: Header=BB136_43 Depth=1
	;; [unrolled: 59-line block ×4, first 2 shown]
	s_waitcnt vmcnt(0)
	v_and_b32_e32 v98, 0x7f800000, v84
	v_cmp_ne_u32_e32 vcc, s74, v98
                                        ; implicit-def: $vgpr98
	s_and_saveexec_b64 s[36:37], vcc
	s_xor_b64 s[36:37], exec, s[36:37]
; %bb.91:                               ;   in Loop: Header=BB136_43 Depth=1
	v_bfe_u32 v98, v84, 16, 1
	v_add3_u32 v98, v84, v98, s75
; %bb.92:                               ;   in Loop: Header=BB136_43 Depth=1
	s_andn2_saveexec_b64 s[36:37], s[36:37]
; %bb.93:                               ;   in Loop: Header=BB136_43 Depth=1
	v_or_b32_e32 v98, 0x10000, v84
	v_cmp_eq_u32_sdwa vcc, v84, v96 src0_sel:WORD_0 src1_sel:DWORD
	v_cndmask_b32_e32 v98, v98, v84, vcc
; %bb.94:                               ;   in Loop: Header=BB136_43 Depth=1
	s_or_b64 exec, exec, s[36:37]
	v_and_b32_e32 v84, 0x7f800000, v85
	v_cmp_ne_u32_e32 vcc, s74, v84
                                        ; implicit-def: $vgpr84
	s_and_saveexec_b64 s[36:37], vcc
	s_xor_b64 s[36:37], exec, s[36:37]
; %bb.95:                               ;   in Loop: Header=BB136_43 Depth=1
	v_bfe_u32 v84, v85, 16, 1
	v_add3_u32 v84, v85, v84, s75
                                        ; implicit-def: $vgpr85
; %bb.96:                               ;   in Loop: Header=BB136_43 Depth=1
	s_andn2_saveexec_b64 s[36:37], s[36:37]
; %bb.97:                               ;   in Loop: Header=BB136_43 Depth=1
	v_or_b32_e32 v84, 0x10000, v85
	v_cmp_eq_u32_sdwa vcc, v85, v96 src0_sel:WORD_0 src1_sel:DWORD
	v_cndmask_b32_e32 v84, v84, v85, vcc
; %bb.98:                               ;   in Loop: Header=BB136_43 Depth=1
	s_or_b64 exec, exec, s[36:37]
	v_perm_b32 v84, v84, v98, s76
	ds_write_b32 v92, v84 offset:1120
	s_andn2_b64 vcc, exec, s[38:39]
	v_mov_b32_e32 v84, 0
	v_mov_b32_e32 v85, 0
	s_cbranch_vccnz .LBB136_101
; %bb.99:                               ;   in Loop: Header=BB136_43 Depth=1
	ds_read_b32 v98, v91 offset:20
	v_mov_b32_e32 v85, 0
	v_mov_b32_e32 v84, 0
	s_waitcnt lgkmcnt(0)
	v_cmp_gt_i32_e32 vcc, 0, v98
	s_cbranch_vccnz .LBB136_101
; %bb.100:                              ;   in Loop: Header=BB136_43 Depth=1
	v_mul_lo_u32 v84, v98, s25
	v_readlane_b32 s36, v104, 20
	v_add_u32_e32 v84, s36, v84
	v_add_u32_e32 v84, v84, v94
	v_ashrrev_i32_e32 v85, 31, v84
	v_lshlrev_b64 v[84:85], 2, v[84:85]
	v_mov_b32_e32 v98, s33
	v_add_co_u32_e32 v84, vcc, s31, v84
	v_addc_co_u32_e32 v85, vcc, v98, v85, vcc
	global_load_dwordx2 v[84:85], v[84:85], off
.LBB136_101:                            ;   in Loop: Header=BB136_43 Depth=1
	s_waitcnt vmcnt(0)
	v_and_b32_e32 v98, 0x7f800000, v84
	v_cmp_ne_u32_e32 vcc, s74, v98
                                        ; implicit-def: $vgpr98
	s_and_saveexec_b64 s[36:37], vcc
	s_xor_b64 s[36:37], exec, s[36:37]
; %bb.102:                              ;   in Loop: Header=BB136_43 Depth=1
	v_bfe_u32 v98, v84, 16, 1
	v_add3_u32 v98, v84, v98, s75
; %bb.103:                              ;   in Loop: Header=BB136_43 Depth=1
	s_andn2_saveexec_b64 s[36:37], s[36:37]
; %bb.104:                              ;   in Loop: Header=BB136_43 Depth=1
	v_or_b32_e32 v98, 0x10000, v84
	v_cmp_eq_u32_sdwa vcc, v84, v96 src0_sel:WORD_0 src1_sel:DWORD
	v_cndmask_b32_e32 v98, v98, v84, vcc
; %bb.105:                              ;   in Loop: Header=BB136_43 Depth=1
	s_or_b64 exec, exec, s[36:37]
	v_and_b32_e32 v84, 0x7f800000, v85
	v_cmp_ne_u32_e32 vcc, s74, v84
                                        ; implicit-def: $vgpr84
	s_and_saveexec_b64 s[36:37], vcc
	s_xor_b64 s[36:37], exec, s[36:37]
; %bb.106:                              ;   in Loop: Header=BB136_43 Depth=1
	v_bfe_u32 v84, v85, 16, 1
	v_add3_u32 v84, v85, v84, s75
                                        ; implicit-def: $vgpr85
; %bb.107:                              ;   in Loop: Header=BB136_43 Depth=1
	s_andn2_saveexec_b64 s[36:37], s[36:37]
; %bb.108:                              ;   in Loop: Header=BB136_43 Depth=1
	v_or_b32_e32 v84, 0x10000, v85
	v_cmp_eq_u32_sdwa vcc, v85, v96 src0_sel:WORD_0 src1_sel:DWORD
	v_cndmask_b32_e32 v84, v84, v85, vcc
; %bb.109:                              ;   in Loop: Header=BB136_43 Depth=1
	s_or_b64 exec, exec, s[36:37]
	v_perm_b32 v84, v84, v98, s76
	ds_write_b32 v92, v84 offset:1384
	s_andn2_b64 vcc, exec, s[40:41]
	v_mov_b32_e32 v84, 0
	v_mov_b32_e32 v85, 0
	s_cbranch_vccnz .LBB136_112
; %bb.110:                              ;   in Loop: Header=BB136_43 Depth=1
	ds_read_b32 v98, v91 offset:24
	v_mov_b32_e32 v85, 0
	v_mov_b32_e32 v84, 0
	s_waitcnt lgkmcnt(0)
	v_cmp_gt_i32_e32 vcc, 0, v98
	s_cbranch_vccnz .LBB136_112
; %bb.111:                              ;   in Loop: Header=BB136_43 Depth=1
	v_mul_lo_u32 v84, v98, s25
	v_readlane_b32 s36, v104, 22
	v_add_u32_e32 v84, s36, v84
	v_add_u32_e32 v84, v84, v94
	v_ashrrev_i32_e32 v85, 31, v84
	v_lshlrev_b64 v[84:85], 2, v[84:85]
	v_mov_b32_e32 v98, s33
	v_add_co_u32_e32 v84, vcc, s31, v84
	v_addc_co_u32_e32 v85, vcc, v98, v85, vcc
	global_load_dwordx2 v[84:85], v[84:85], off
.LBB136_112:                            ;   in Loop: Header=BB136_43 Depth=1
	s_waitcnt vmcnt(0)
	v_and_b32_e32 v98, 0x7f800000, v84
	v_cmp_ne_u32_e32 vcc, s74, v98
                                        ; implicit-def: $vgpr98
	s_and_saveexec_b64 s[36:37], vcc
	s_xor_b64 s[36:37], exec, s[36:37]
; %bb.113:                              ;   in Loop: Header=BB136_43 Depth=1
	v_bfe_u32 v98, v84, 16, 1
	v_add3_u32 v98, v84, v98, s75
; %bb.114:                              ;   in Loop: Header=BB136_43 Depth=1
	s_andn2_saveexec_b64 s[36:37], s[36:37]
; %bb.115:                              ;   in Loop: Header=BB136_43 Depth=1
	v_or_b32_e32 v98, 0x10000, v84
	v_cmp_eq_u32_sdwa vcc, v84, v96 src0_sel:WORD_0 src1_sel:DWORD
	v_cndmask_b32_e32 v98, v98, v84, vcc
; %bb.116:                              ;   in Loop: Header=BB136_43 Depth=1
	s_or_b64 exec, exec, s[36:37]
	v_and_b32_e32 v84, 0x7f800000, v85
	v_cmp_ne_u32_e32 vcc, s74, v84
                                        ; implicit-def: $vgpr84
	s_and_saveexec_b64 s[36:37], vcc
	s_xor_b64 s[36:37], exec, s[36:37]
; %bb.117:                              ;   in Loop: Header=BB136_43 Depth=1
	v_bfe_u32 v84, v85, 16, 1
	v_add3_u32 v84, v85, v84, s75
                                        ; implicit-def: $vgpr85
; %bb.118:                              ;   in Loop: Header=BB136_43 Depth=1
	s_andn2_saveexec_b64 s[36:37], s[36:37]
; %bb.119:                              ;   in Loop: Header=BB136_43 Depth=1
	v_or_b32_e32 v84, 0x10000, v85
	v_cmp_eq_u32_sdwa vcc, v85, v96 src0_sel:WORD_0 src1_sel:DWORD
	v_cndmask_b32_e32 v84, v84, v85, vcc
; %bb.120:                              ;   in Loop: Header=BB136_43 Depth=1
	s_or_b64 exec, exec, s[36:37]
	v_perm_b32 v84, v84, v98, s76
	ds_write_b32 v92, v84 offset:1648
	s_andn2_b64 vcc, exec, s[42:43]
	v_mov_b32_e32 v84, 0
	v_mov_b32_e32 v85, 0
	s_cbranch_vccnz .LBB136_123
; %bb.121:                              ;   in Loop: Header=BB136_43 Depth=1
	ds_read_b32 v98, v91 offset:28
	v_mov_b32_e32 v85, 0
	v_mov_b32_e32 v84, 0
	s_waitcnt lgkmcnt(0)
	v_cmp_gt_i32_e32 vcc, 0, v98
	s_cbranch_vccnz .LBB136_123
; %bb.122:                              ;   in Loop: Header=BB136_43 Depth=1
	v_mul_lo_u32 v84, v98, s25
	v_readlane_b32 s36, v104, 27
	v_add_u32_e32 v84, s36, v84
	v_add_u32_e32 v84, v84, v94
	v_ashrrev_i32_e32 v85, 31, v84
	v_lshlrev_b64 v[84:85], 2, v[84:85]
	v_mov_b32_e32 v98, s33
	v_add_co_u32_e32 v84, vcc, s31, v84
	v_addc_co_u32_e32 v85, vcc, v98, v85, vcc
	global_load_dwordx2 v[84:85], v[84:85], off
.LBB136_123:                            ;   in Loop: Header=BB136_43 Depth=1
	;; [unrolled: 59-line block ×7, first 2 shown]
	s_waitcnt vmcnt(0)
	v_and_b32_e32 v98, 0x7f800000, v84
	v_cmp_ne_u32_e32 vcc, s74, v98
                                        ; implicit-def: $vgpr98
	s_and_saveexec_b64 s[36:37], vcc
	s_xor_b64 s[36:37], exec, s[36:37]
; %bb.179:                              ;   in Loop: Header=BB136_43 Depth=1
	v_bfe_u32 v98, v84, 16, 1
	v_add3_u32 v98, v84, v98, s75
; %bb.180:                              ;   in Loop: Header=BB136_43 Depth=1
	s_andn2_saveexec_b64 s[36:37], s[36:37]
; %bb.181:                              ;   in Loop: Header=BB136_43 Depth=1
	v_or_b32_e32 v98, 0x10000, v84
	v_cmp_eq_u32_sdwa vcc, v84, v96 src0_sel:WORD_0 src1_sel:DWORD
	v_cndmask_b32_e32 v98, v98, v84, vcc
; %bb.182:                              ;   in Loop: Header=BB136_43 Depth=1
	s_or_b64 exec, exec, s[36:37]
	v_and_b32_e32 v84, 0x7f800000, v85
	v_cmp_ne_u32_e32 vcc, s74, v84
                                        ; implicit-def: $vgpr84
	s_and_saveexec_b64 s[36:37], vcc
	s_xor_b64 s[36:37], exec, s[36:37]
; %bb.183:                              ;   in Loop: Header=BB136_43 Depth=1
	v_bfe_u32 v84, v85, 16, 1
	v_add3_u32 v84, v85, v84, s75
                                        ; implicit-def: $vgpr85
; %bb.184:                              ;   in Loop: Header=BB136_43 Depth=1
	s_andn2_saveexec_b64 s[36:37], s[36:37]
	s_cbranch_execz .LBB136_42
; %bb.185:                              ;   in Loop: Header=BB136_43 Depth=1
	v_or_b32_e32 v84, 0x10000, v85
	v_cmp_eq_u32_sdwa vcc, v85, v96 src0_sel:WORD_0 src1_sel:DWORD
	v_cndmask_b32_e32 v84, v84, v85, vcc
	s_branch .LBB136_42
.LBB136_186:
	s_or_b64 exec, exec, s[18:19]
	v_readlane_b32 s42, v104, 8
	v_readlane_b32 s28, v104, 12
	;; [unrolled: 1-line block ×9, first 2 shown]
.LBB136_187:
	v_readlane_b32 s0, v104, 6
	v_readlane_b32 s1, v104, 7
	s_or_b64 exec, exec, s[0:1]
	v_mul_u32_u24_e32 v18, 0x508, v89
	s_movk_i32 s1, 0x100
	v_lshlrev_b32_e32 v19, 2, v88
	v_add3_u32 v18, s1, v18, v19
	v_and_b32_e32 v20, 0x3f0, v16
	v_add_u32_e32 v21, v18, v20
	s_barrier
	v_add_u32_e32 v19, 64, v18
	ds_write2_b32 v21, v8, v9 offset0:16 offset1:17
	v_or_b32_e32 v9, 12, v16
	v_add_u32_e32 v8, v19, v20
	v_and_b32_e32 v9, 0x3fc, v9
	ds_write_b32 v8, v10 offset:8
	v_add_u32_e32 v10, v18, v9
	ds_write_b32 v10, v11 offset:64
	ds_write2_b32 v8, v4, v5 offset0:16 offset1:17
	ds_write_b32 v8, v6 offset:72
	v_add_u32_e32 v4, v19, v9
	ds_write_b32 v4, v7 offset:64
	ds_write2_b32 v8, v0, v1 offset0:32 offset1:33
	ds_write_b32 v8, v2 offset:136
	ds_write_b32 v4, v3 offset:128
	ds_write2_b32 v8, v12, v13 offset0:48 offset1:49
	ds_write_b32 v8, v14 offset:200
	ds_write_b32 v4, v15 offset:192
	v_mov_b32_e32 v4, 0x100
	s_movk_i32 s0, 0x508
	v_lshl_add_u32 v5, v16, 2, v4
	v_mad_u32_u24 v6, v17, s0, v5
	s_waitcnt lgkmcnt(0)
	s_barrier
	ds_read2_b32 v[2:3], v6 offset0:16 offset1:80
	ds_read2_b32 v[0:1], v6 offset0:144 offset1:208
	ds_read_b32 v7, v6 offset:1088
	v_cmp_gt_u32_e32 vcc, 13, v17
	v_mov_b32_e32 v8, -1
	s_and_saveexec_b64 s[4:5], vcc
	s_cbranch_execz .LBB136_189
; %bb.188:
	v_lshl_add_u32 v4, v17, 2, v4
	ds_read_b32 v8, v4
.LBB136_189:
	s_or_b64 exec, exec, s[4:5]
	s_mul_hi_i32 s1, s30, s8
	s_mul_i32 s0, s30, s8
	s_lshl_b64 s[0:1], s[0:1], 2
	v_readlane_b32 s4, v104, 4
	s_mul_hi_i32 s3, s52, s21
	s_mul_i32 s2, s52, s21
	v_readlane_b32 s5, v104, 5
	s_add_u32 s4, s4, s0
	s_addc_u32 s5, s5, s1
	s_lshl_b64 s[0:1], s[2:3], 2
	s_add_u32 s2, s4, s0
	s_waitcnt lgkmcnt(0)
	v_cmp_lt_i32_e32 vcc, -1, v8
	v_mul_u32_u24_e32 v6, 0x508, v17
	v_add_u32_e32 v4, s6, v16
	s_addc_u32 s3, s5, s1
	s_and_b64 s[4:5], vcc, s[42:43]
	s_and_saveexec_b64 s[0:1], s[4:5]
	s_cbranch_execz .LBB136_191
; %bb.190:
	v_add_f32_e32 v2, 0, v2
	v_add_f32_e32 v2, v2, v3
	;; [unrolled: 1-line block ×5, first 2 shown]
	v_mul_lo_u32 v0, v8, s26
	v_mul_lo_u32 v1, v17, s21
	v_add3_u32 v0, v4, v1, v0
	v_mov_b32_e32 v1, 0
	v_lshlrev_b64 v[0:1], 2, v[0:1]
	v_mov_b32_e32 v3, s3
	v_add_co_u32_e32 v0, vcc, s2, v0
	v_addc_co_u32_e32 v1, vcc, v3, v1, vcc
	global_store_dword v[0:1], v2, off
.LBB136_191:
	s_or_b64 exec, exec, s[0:1]
	v_add_u32_e32 v5, v6, v5
	v_add_u32_e32 v0, 0x68, v5
	ds_read2st64_b32 v[2:3], v0 offset0:25 offset1:26
	ds_read2st64_b32 v[0:1], v0 offset0:27 offset1:28
	ds_read_b32 v6, v5 offset:7528
	v_cmp_gt_u32_e32 vcc, 8, v17
	v_mov_b32_e32 v7, -1
	s_and_saveexec_b64 s[0:1], vcc
	s_cbranch_execz .LBB136_193
; %bb.192:
	v_mov_b32_e32 v7, 0x100
	v_lshl_add_u32 v7, v17, 2, v7
	ds_read_b32 v7, v7 offset:20
.LBB136_193:
	s_or_b64 exec, exec, s[0:1]
	v_readlane_b32 s0, v104, 0
	s_waitcnt lgkmcnt(0)
	v_cmp_lt_i32_e32 vcc, -1, v7
	v_readlane_b32 s1, v104, 1
	s_and_b64 s[4:5], vcc, s[0:1]
	s_and_saveexec_b64 s[0:1], s[4:5]
	s_cbranch_execz .LBB136_195
; %bb.194:
	v_add_f32_e32 v2, 0, v2
	v_add_f32_e32 v2, v2, v3
	v_add_f32_e32 v0, v2, v0
	v_add_f32_e32 v0, v0, v1
	v_add_f32_e32 v2, v0, v6
	v_mul_lo_u32 v0, v7, s26
	v_mul_lo_u32 v1, v86, s21
	v_add3_u32 v0, v4, v1, v0
	v_mov_b32_e32 v1, 0
	v_lshlrev_b64 v[0:1], 2, v[0:1]
	v_mov_b32_e32 v3, s3
	v_add_co_u32_e32 v0, vcc, s2, v0
	v_addc_co_u32_e32 v1, vcc, v3, v1, vcc
	global_store_dword v[0:1], v2, off
.LBB136_195:
	s_or_b64 exec, exec, s[0:1]
	v_cmp_gt_u32_e32 vcc, 3, v17
	s_and_saveexec_b64 s[0:1], vcc
	s_cbranch_execz .LBB136_198
; %bb.196:
	v_mov_b32_e32 v0, 0x100
	v_lshl_add_u32 v0, v17, 2, v0
	ds_read_b32 v0, v0 offset:40
	v_readlane_b32 s0, v104, 2
	v_readlane_b32 s1, v104, 3
	s_waitcnt lgkmcnt(0)
	v_cmp_lt_i32_e32 vcc, -1, v0
	s_and_b64 s[0:1], vcc, s[0:1]
	s_and_b64 exec, exec, s[0:1]
	s_cbranch_execz .LBB136_198
; %bb.197:
	v_add_u32_e32 v1, 0x90, v5
	ds_read2st64_b32 v[2:3], v1 offset0:50 offset1:51
	ds_read_b32 v5, v5 offset:13968
	ds_read2st64_b32 v[6:7], v1 offset0:52 offset1:53
	v_mul_lo_u32 v0, v0, s26
	v_mul_lo_u32 v1, v87, s21
	s_waitcnt lgkmcnt(2)
	v_add_f32_e32 v2, 0, v2
	v_add_f32_e32 v2, v2, v3
	v_add3_u32 v0, v4, v1, v0
	v_mov_b32_e32 v1, 0
	s_waitcnt lgkmcnt(0)
	v_add_f32_e32 v2, v2, v6
	v_lshlrev_b64 v[0:1], 2, v[0:1]
	v_add_f32_e32 v2, v2, v7
	v_mov_b32_e32 v3, s3
	v_add_co_u32_e32 v0, vcc, s2, v0
	v_add_f32_e32 v2, v2, v5
	v_addc_co_u32_e32 v1, vcc, v3, v1, vcc
	global_store_dword v[0:1], v2, off
.LBB136_198:
	s_endpgm
	.section	.rodata,"a",@progbits
	.p2align	6, 0x0
	.amdhsa_kernel _ZL9mul_mat_fI15__hip_bfloat162Li64ELi13ELi5ELb1EEvPKT_PKfPKiPfiiiiiiiiiiiiiiii
		.amdhsa_group_segment_fixed_size 256
		.amdhsa_private_segment_fixed_size 0
		.amdhsa_kernarg_size 352
		.amdhsa_user_sgpr_count 6
		.amdhsa_user_sgpr_private_segment_buffer 1
		.amdhsa_user_sgpr_dispatch_ptr 0
		.amdhsa_user_sgpr_queue_ptr 0
		.amdhsa_user_sgpr_kernarg_segment_ptr 1
		.amdhsa_user_sgpr_dispatch_id 0
		.amdhsa_user_sgpr_flat_scratch_init 0
		.amdhsa_user_sgpr_kernarg_preload_length 0
		.amdhsa_user_sgpr_kernarg_preload_offset 0
		.amdhsa_user_sgpr_private_segment_size 0
		.amdhsa_uses_dynamic_stack 0
		.amdhsa_system_sgpr_private_segment_wavefront_offset 0
		.amdhsa_system_sgpr_workgroup_id_x 1
		.amdhsa_system_sgpr_workgroup_id_y 1
		.amdhsa_system_sgpr_workgroup_id_z 1
		.amdhsa_system_sgpr_workgroup_info 0
		.amdhsa_system_vgpr_workitem_id 2
		.amdhsa_next_free_vgpr 105
		.amdhsa_next_free_sgpr 96
		.amdhsa_accum_offset 108
		.amdhsa_reserve_vcc 1
		.amdhsa_reserve_flat_scratch 0
		.amdhsa_float_round_mode_32 0
		.amdhsa_float_round_mode_16_64 0
		.amdhsa_float_denorm_mode_32 3
		.amdhsa_float_denorm_mode_16_64 3
		.amdhsa_dx10_clamp 1
		.amdhsa_ieee_mode 1
		.amdhsa_fp16_overflow 0
		.amdhsa_tg_split 0
		.amdhsa_exception_fp_ieee_invalid_op 0
		.amdhsa_exception_fp_denorm_src 0
		.amdhsa_exception_fp_ieee_div_zero 0
		.amdhsa_exception_fp_ieee_overflow 0
		.amdhsa_exception_fp_ieee_underflow 0
		.amdhsa_exception_fp_ieee_inexact 0
		.amdhsa_exception_int_div_zero 0
	.end_amdhsa_kernel
	.section	.text._ZL9mul_mat_fI15__hip_bfloat162Li64ELi13ELi5ELb1EEvPKT_PKfPKiPfiiiiiiiiiiiiiiii,"axG",@progbits,_ZL9mul_mat_fI15__hip_bfloat162Li64ELi13ELi5ELb1EEvPKT_PKfPKiPfiiiiiiiiiiiiiiii,comdat
.Lfunc_end136:
	.size	_ZL9mul_mat_fI15__hip_bfloat162Li64ELi13ELi5ELb1EEvPKT_PKfPKiPfiiiiiiiiiiiiiiii, .Lfunc_end136-_ZL9mul_mat_fI15__hip_bfloat162Li64ELi13ELi5ELb1EEvPKT_PKfPKiPfiiiiiiiiiiiiiiii
                                        ; -- End function
	.section	.AMDGPU.csdata,"",@progbits
; Kernel info:
; codeLenInByte = 10480
; NumSgprs: 100
; NumVgprs: 105
; NumAgprs: 0
; TotalNumVgprs: 105
; ScratchSize: 0
; MemoryBound: 0
; FloatMode: 240
; IeeeMode: 1
; LDSByteSize: 256 bytes/workgroup (compile time only)
; SGPRBlocks: 12
; VGPRBlocks: 13
; NumSGPRsForWavesPerEU: 100
; NumVGPRsForWavesPerEU: 105
; AccumOffset: 108
; Occupancy: 4
; WaveLimiterHint : 0
; COMPUTE_PGM_RSRC2:SCRATCH_EN: 0
; COMPUTE_PGM_RSRC2:USER_SGPR: 6
; COMPUTE_PGM_RSRC2:TRAP_HANDLER: 0
; COMPUTE_PGM_RSRC2:TGID_X_EN: 1
; COMPUTE_PGM_RSRC2:TGID_Y_EN: 1
; COMPUTE_PGM_RSRC2:TGID_Z_EN: 1
; COMPUTE_PGM_RSRC2:TIDIG_COMP_CNT: 2
; COMPUTE_PGM_RSRC3_GFX90A:ACCUM_OFFSET: 26
; COMPUTE_PGM_RSRC3_GFX90A:TG_SPLIT: 0
	.section	.text._ZL9mul_mat_fI15__hip_bfloat162Li64ELi13ELi5ELb0EEvPKT_PKfPKiPfiiiiiiiiiiiiiiii,"axG",@progbits,_ZL9mul_mat_fI15__hip_bfloat162Li64ELi13ELi5ELb0EEvPKT_PKfPKiPfiiiiiiiiiiiiiiii,comdat
	.globl	_ZL9mul_mat_fI15__hip_bfloat162Li64ELi13ELi5ELb0EEvPKT_PKfPKiPfiiiiiiiiiiiiiiii ; -- Begin function _ZL9mul_mat_fI15__hip_bfloat162Li64ELi13ELi5ELb0EEvPKT_PKfPKiPfiiiiiiiiiiiiiiii
	.p2align	8
	.type	_ZL9mul_mat_fI15__hip_bfloat162Li64ELi13ELi5ELb0EEvPKT_PKfPKiPfiiiiiiiiiiiiiiii,@function
_ZL9mul_mat_fI15__hip_bfloat162Li64ELi13ELi5ELb0EEvPKT_PKfPKiPfiiiiiiiiiiiiiiii: ; @_ZL9mul_mat_fI15__hip_bfloat162Li64ELi13ELi5ELb0EEvPKT_PKfPKiPfiiiiiiiiiiiiiiii
; %bb.0:
	s_load_dwordx8 s[12:19], s[4:5], 0x40
	s_load_dword s9, s[4:5], 0x20
	s_load_dwordx4 s[0:3], s[4:5], 0x2c
	v_bfe_u32 v86, v0, 10, 10
	v_lshlrev_b32_e32 v88, 6, v86
	v_and_b32_e32 v87, 0x3ff, v0
	s_waitcnt lgkmcnt(0)
	s_abs_i32 s27, s12
	s_abs_i32 s26, s16
	v_cvt_f32_u32_e32 v1, s27
	v_cvt_f32_u32_e32 v2, s26
	v_add_u32_e32 v90, v88, v87
	s_mov_b32 s22, 0
	v_rcp_iflag_f32_e32 v1, v1
	v_rcp_iflag_f32_e32 v2, v2
	s_ashr_i32 s28, s8, 31
	v_cmp_le_i32_e32 vcc, s9, v90
	v_mul_f32_e32 v1, 0x4f7ffffe, v1
	v_mul_f32_e32 v2, 0x4f7ffffe, v2
	v_cvt_u32_f32_e32 v1, v1
	v_cvt_u32_f32_e32 v2, v2
	v_and_b32_e32 v89, 15, v87
	v_readfirstlane_b32 s21, v1
	v_readfirstlane_b32 s20, v2
	s_and_saveexec_b64 s[10:11], vcc
	s_xor_b64 s[10:11], exec, s[10:11]
; %bb.1:
	v_and_b32_e32 v89, 15, v87
                                        ; implicit-def: $vgpr90
; %bb.2:
	s_or_saveexec_b64 s[24:25], s[10:11]
	s_load_dwordx2 s[10:11], s[4:5], 0x18
	s_lshl_b32 s3, s6, 6
	v_mov_b32_e32 v7, s22
	v_mov_b32_e32 v6, s22
	;; [unrolled: 1-line block ×16, first 2 shown]
	s_xor_b64 exec, exec, s[24:25]
	s_cbranch_execz .LBB137_110
; %bb.3:
                                        ; implicit-def: $vgpr104 : SGPR spill to VGPR lane
	s_sub_i32 s6, 0, s27
	s_waitcnt lgkmcnt(0)
	v_writelane_b32 v104, s10, 0
	v_writelane_b32 v104, s11, 1
	s_sub_i32 s10, 0, s26
	s_mul_i32 s6, s6, s21
	s_mul_i32 s10, s10, s20
	s_mul_hi_u32 s6, s21, s6
	s_mul_hi_u32 s10, s20, s10
	s_abs_i32 s11, s7
	s_add_i32 s6, s21, s6
	s_abs_i32 s29, s8
	s_add_i32 s10, s20, s10
	s_load_dwordx4 s[20:23], s[4:5], 0x0
	s_mul_hi_u32 s4, s11, s6
	s_mul_hi_u32 s5, s29, s10
	s_ashr_i32 s6, s7, 31
	s_ashr_i32 s10, s12, 31
	s_xor_b32 s6, s6, s10
	s_mul_i32 s10, s4, s27
	s_sub_i32 s10, s11, s10
	s_ashr_i32 s12, s16, 31
	s_add_i32 s11, s4, 1
	s_sub_i32 s16, s10, s27
	s_cmp_ge_u32 s10, s27
	s_cselect_b32 s4, s11, s4
	s_cselect_b32 s10, s16, s10
	s_add_i32 s11, s4, 1
	s_cmp_ge_u32 s10, s27
	s_cselect_b32 s4, s11, s4
	s_mul_i32 s10, s5, s26
	s_xor_b32 s4, s4, s6
	s_sub_i32 s10, s29, s10
	s_sub_i32 s6, s4, s6
	s_xor_b32 s4, s28, s12
	s_add_i32 s11, s5, 1
	s_sub_i32 s12, s10, s26
	s_cmp_ge_u32 s10, s26
	s_cselect_b32 s5, s11, s5
	s_cselect_b32 s10, s12, s10
	s_add_i32 s11, s5, 1
	s_cmp_ge_u32 s10, s26
	s_cselect_b32 s5, s11, s5
	s_xor_b32 s5, s5, s4
	s_sub_i32 s4, s5, s4
	s_mul_hi_i32 s5, s4, s17
	s_mul_i32 s4, s4, s17
	s_mul_i32 s10, s6, s13
	s_ashr_i32 s11, s10, 31
	s_lshl_b64 s[16:17], s[4:5], 2
	s_mul_i32 s12, s3, s0
	s_waitcnt lgkmcnt(0)
	s_add_u32 s6, s20, s16
	s_addc_u32 s27, s21, s17
	s_ashr_i32 s13, s12, 31
	s_lshl_b64 s[12:13], s[12:13], 2
	s_lshl_b64 s[10:11], s[10:11], 2
	s_add_u32 s28, s10, s12
	s_addc_u32 s29, s11, s13
	s_mul_i32 s26, s7, s14
	s_add_u32 s6, s28, s6
	s_mul_hi_i32 s5, s18, s8
	s_mul_i32 s4, s18, s8
	s_addc_u32 s76, s29, s27
	s_ashr_i32 s27, s26, 31
	s_lshl_b64 s[10:11], s[4:5], 2
	s_lshl_b64 s[4:5], s[26:27], 2
	s_add_u32 s22, s22, s4
	s_addc_u32 s23, s23, s5
	s_add_u32 s14, s22, s10
	s_movk_i32 s4, 0x1080
	s_addc_u32 s18, s23, s11
	v_mad_u32_u24 v0, v86, s4, 0
	s_ashr_i32 s5, s0, 31
	s_mov_b32 s4, s0
	v_lshrrev_b32_e32 v3, 1, v87
	s_ashr_i32 s13, s1, 31
	s_lshl_b64 s[4:5], s[4:5], 2
	v_lshlrev_b32_e32 v1, 2, v87
	v_mul_u32_u24_e32 v2, 0x108, v89
	v_and_b32_e32 v3, 0x1f8, v3
	s_add_u32 s16, s28, s16
	v_add_u32_e32 v91, v0, v1
	v_add3_u32 v92, v0, v2, v3
	v_lshlrev_b32_e32 v0, 8, v86
	s_addc_u32 s17, s29, s17
	v_mov_b32_e32 v2, s17
	v_add_co_u32_e32 v0, vcc, s16, v0
	v_addc_co_u32_e32 v2, vcc, 0, v2, vcc
	v_add_co_u32_e32 v0, vcc, v0, v1
	v_addc_co_u32_e32 v1, vcc, 0, v2, vcc
	v_mov_b32_e32 v2, s21
	v_add_co_u32_e32 v16, vcc, s20, v0
	v_addc_co_u32_e32 v17, vcc, v2, v1, vcc
	v_lshlrev_b32_e32 v0, 9, v86
	v_mov_b32_e32 v1, s11
	v_add_co_u32_e32 v0, vcc, s10, v0
	v_addc_co_u32_e32 v1, vcc, 0, v1, vcc
	v_lshlrev_b32_e32 v2, 3, v87
	v_add_co_u32_e32 v0, vcc, v0, v2
	v_addc_co_u32_e32 v1, vcc, 0, v1, vcc
	s_mov_b32 s12, s1
	v_mov_b32_e32 v2, s23
	v_add_co_u32_e32 v18, vcc, s22, v0
	v_mov_b32_e32 v94, 0
	s_lshl_b64 s[12:13], s[12:13], 3
	v_addc_co_u32_e32 v19, vcc, v2, v1, vcc
	s_mul_i32 s20, s0, 63
	s_lshl_b32 s21, s1, 1
	s_mul_i32 s22, s1, 3
	s_lshl_b32 s23, s1, 2
	s_mul_i32 s26, s1, 5
	s_mul_i32 s27, s1, 6
	;; [unrolled: 1-line block ×3, first 2 shown]
	s_lshl_b32 s29, s1, 3
	s_mul_i32 s30, s1, 9
	s_mul_i32 s31, s1, 10
	;; [unrolled: 1-line block ×4, first 2 shown]
	s_lshl_b32 s35, s0, 1
	s_mul_i32 s36, s0, 3
	s_lshl_b32 s37, s0, 2
	s_mul_i32 s38, s0, 5
	s_mul_i32 s39, s0, 6
	;; [unrolled: 1-line block ×3, first 2 shown]
	s_lshl_b32 s41, s0, 3
	s_mul_i32 s42, s0, 9
	s_mul_i32 s43, s0, 10
	;; [unrolled: 1-line block ×7, first 2 shown]
	s_lshl_b32 s49, s0, 4
	s_mul_i32 s50, s0, 17
	s_mul_i32 s51, s0, 18
	s_mul_i32 s52, s0, 19
	s_mul_i32 s53, s0, 20
	s_mul_i32 s54, s0, 21
	s_mul_i32 s55, s0, 22
	s_mul_i32 s56, s0, 23
	s_mul_i32 s57, s0, 24
	s_mul_i32 s58, s0, 25
	s_mul_i32 s59, s0, 26
	s_mul_i32 s60, s0, 27
	s_mul_i32 s61, s0, 28
	s_mul_i32 s62, s0, 29
	s_mul_i32 s63, s0, 30
	s_mul_i32 s64, s0, 31
	s_lshl_b32 s65, s0, 5
	s_mul_i32 s66, s0, 33
	s_mul_i32 s67, s0, 34
	;; [unrolled: 1-line block ×10, first 2 shown]
	v_mov_b32_e32 v93, s76
	s_mul_i32 s76, s0, 43
	v_mov_b32_e32 v95, s5
	v_mov_b32_e32 v12, 0
	;; [unrolled: 1-line block ×17, first 2 shown]
	s_mul_i32 s5, s0, 44
	s_mul_i32 s77, s0, 45
	;; [unrolled: 1-line block ×19, first 2 shown]
	s_mov_b32 s95, 0x7f800000
	s_movk_i32 s10, 0x7fff
	s_mov_b32 s11, 0x7060302
	s_mov_b64 s[0:1], 0
	s_branch .LBB137_5
.LBB137_4:                              ;   in Loop: Header=BB137_5 Depth=1
	s_or_b64 exec, exec, s[16:17]
	v_perm_b32 v84, v97, v96, s11
	v_add_u32_e32 v85, 0xc00, v91
	ds_write2_b32 v85, v84, v94 offset0:24 offset1:90
	ds_write2_b32 v85, v94, v94 offset0:156 offset1:222
	ds_read2_b64 v[96:99], v92 offset1:4
	v_add_co_u32_e32 v16, vcc, 0x500, v16
	v_addc_co_u32_e32 v17, vcc, 0, v17, vcc
	s_waitcnt lgkmcnt(0)
	v_mfma_f32_16x16x16bf16_1k v[4:7], v[36:37], v[96:97], v[4:7]
	v_add_co_u32_e32 v18, vcc, 0xa00, v18
	v_add_u32_e32 v90, 0x140, v90
	v_addc_co_u32_e32 v19, vcc, 0, v19, vcc
	v_cmp_le_i32_e32 vcc, s9, v90
	s_or_b64 s[0:1], vcc, s[0:1]
	v_mfma_f32_16x16x16bf16_1k v[0:3], v[54:55], v[96:97], v[0:3]
	v_mfma_f32_16x16x16bf16_1k v[8:11], v[68:69], v[96:97], v[8:11]
	;; [unrolled: 1-line block ×5, first 2 shown]
	ds_read2_b64 v[52:55], v92 offset0:8 offset1:12
	v_mfma_f32_16x16x16bf16_1k v[8:11], v[66:67], v[98:99], v[8:11]
	v_mfma_f32_16x16x16bf16_1k v[12:15], v[80:81], v[98:99], v[12:15]
	s_waitcnt lgkmcnt(0)
	v_mfma_f32_16x16x16bf16_1k v[4:7], v[30:31], v[52:53], v[4:7]
	v_mfma_f32_16x16x16bf16_1k v[0:3], v[50:51], v[52:53], v[0:3]
	;; [unrolled: 1-line block ×5, first 2 shown]
	ds_read2_b64 v[28:31], v92 offset0:16 offset1:20
	v_mfma_f32_16x16x16bf16_1k v[0:3], v[48:49], v[54:55], v[0:3]
	v_mfma_f32_16x16x16bf16_1k v[8:11], v[62:63], v[54:55], v[8:11]
	;; [unrolled: 1-line block ×3, first 2 shown]
	s_waitcnt lgkmcnt(0)
	v_mfma_f32_16x16x16bf16_1k v[4:7], v[26:27], v[28:29], v[4:7]
	v_mfma_f32_16x16x16bf16_1k v[0:3], v[44:45], v[28:29], v[0:3]
	;; [unrolled: 1-line block ×5, first 2 shown]
	ds_read2_b64 v[24:27], v92 offset0:24 offset1:28
	v_mfma_f32_16x16x16bf16_1k v[0:3], v[42:43], v[30:31], v[0:3]
	v_mfma_f32_16x16x16bf16_1k v[8:11], v[58:59], v[30:31], v[8:11]
	v_mfma_f32_16x16x16bf16_1k v[12:15], v[72:73], v[30:31], v[12:15]
	s_waitcnt lgkmcnt(0)
	v_mfma_f32_16x16x16bf16_1k v[4:7], v[22:23], v[24:25], v[4:7]
	v_mfma_f32_16x16x16bf16_1k v[0:3], v[40:41], v[24:25], v[0:3]
	v_mfma_f32_16x16x16bf16_1k v[8:11], v[56:57], v[24:25], v[8:11]
	v_mfma_f32_16x16x16bf16_1k v[12:15], v[70:71], v[24:25], v[12:15]
	v_mfma_f32_16x16x16bf16_1k v[4:7], v[20:21], v[26:27], v[4:7]
	v_mfma_f32_16x16x16bf16_1k v[0:3], v[34:35], v[26:27], v[0:3]
	v_mfma_f32_16x16x16bf16_1k v[8:11], v[38:39], v[26:27], v[8:11]
	v_mfma_f32_16x16x16bf16_1k v[12:15], v[46:47], v[26:27], v[12:15]
	s_andn2_b64 exec, exec, s[0:1]
	s_cbranch_execz .LBB137_109
.LBB137_5:                              ; =>This Inner Loop Header: Depth=1
	v_add_co_u32_e32 v20, vcc, s4, v16
	v_addc_co_u32_e32 v21, vcc, v17, v95, vcc
	global_load_dword v34, v[16:17], off
	global_load_dword v35, v[20:21], off
	v_add_u32_e32 v20, s35, v90
	v_ashrrev_i32_e32 v21, 31, v20
	v_lshlrev_b64 v[20:21], 2, v[20:21]
	v_add_u32_e32 v22, s36, v90
	v_add_co_u32_e32 v20, vcc, s6, v20
	v_ashrrev_i32_e32 v23, 31, v22
	v_addc_co_u32_e32 v21, vcc, v93, v21, vcc
	v_lshlrev_b64 v[22:23], 2, v[22:23]
	v_add_u32_e32 v24, s37, v90
	v_add_co_u32_e32 v22, vcc, s6, v22
	v_ashrrev_i32_e32 v25, 31, v24
	v_addc_co_u32_e32 v23, vcc, v93, v23, vcc
	;; [unrolled: 5-line block ×6, first 2 shown]
	v_lshlrev_b64 v[32:33], 2, v[32:33]
	v_add_co_u32_e32 v32, vcc, s6, v32
	v_addc_co_u32_e32 v33, vcc, v93, v33, vcc
	global_load_dword v36, v[20:21], off
	global_load_dword v37, v[22:23], off
	s_nop 0
	global_load_dword v24, v[24:25], off
	s_nop 0
	;; [unrolled: 2-line block ×3, first 2 shown]
	global_load_dword v26, v[28:29], off
	global_load_dword v27, v[30:31], off
	s_nop 0
	global_load_dword v28, v[32:33], off
	v_add_u32_e32 v20, s42, v90
	v_ashrrev_i32_e32 v21, 31, v20
	v_lshlrev_b64 v[20:21], 2, v[20:21]
	v_add_u32_e32 v22, s43, v90
	v_add_co_u32_e32 v20, vcc, s6, v20
	v_ashrrev_i32_e32 v23, 31, v22
	v_addc_co_u32_e32 v21, vcc, v93, v21, vcc
	v_lshlrev_b64 v[22:23], 2, v[22:23]
	global_load_dword v20, v[20:21], off
	v_add_co_u32_e32 v22, vcc, s6, v22
	v_addc_co_u32_e32 v23, vcc, v93, v23, vcc
	v_add_u32_e32 v30, s47, v90
	v_ashrrev_i32_e32 v31, 31, v30
	v_lshlrev_b64 v[30:31], 2, v[30:31]
	v_add_u32_e32 v32, s48, v90
	v_ashrrev_i32_e32 v33, 31, v32
	v_lshlrev_b64 v[32:33], 2, v[32:33]
	;; [unrolled: 3-line block ×6, first 2 shown]
	s_waitcnt vmcnt(9)
	ds_write_b32 v91, v34
	s_waitcnt vmcnt(8)
	ds_write_b32 v91, v35 offset:264
	s_waitcnt vmcnt(7)
	ds_write_b32 v91, v36 offset:528
	;; [unrolled: 2-line block ×8, first 2 shown]
	v_add_u32_e32 v24, s44, v90
	v_ashrrev_i32_e32 v25, 31, v24
	v_lshlrev_b64 v[24:25], 2, v[24:25]
	v_add_u32_e32 v26, s45, v90
	v_add_co_u32_e32 v24, vcc, s6, v24
	v_ashrrev_i32_e32 v27, 31, v26
	v_addc_co_u32_e32 v25, vcc, v93, v25, vcc
	v_lshlrev_b64 v[26:27], 2, v[26:27]
	v_add_u32_e32 v28, s46, v90
	v_add_co_u32_e32 v26, vcc, s6, v26
	v_ashrrev_i32_e32 v29, 31, v28
	v_addc_co_u32_e32 v27, vcc, v93, v27, vcc
	v_lshlrev_b64 v[28:29], 2, v[28:29]
	v_add_co_u32_e32 v28, vcc, s6, v28
	v_addc_co_u32_e32 v29, vcc, v93, v29, vcc
	v_add_co_u32_e32 v30, vcc, s6, v30
	v_addc_co_u32_e32 v31, vcc, v93, v31, vcc
	v_add_u32_e32 v34, s49, v90
	v_add_co_u32_e32 v32, vcc, s6, v32
	v_ashrrev_i32_e32 v35, 31, v34
	v_addc_co_u32_e32 v33, vcc, v93, v33, vcc
	v_lshlrev_b64 v[34:35], 2, v[34:35]
	v_add_u32_e32 v36, s50, v90
	v_add_co_u32_e32 v34, vcc, s6, v34
	v_ashrrev_i32_e32 v37, 31, v36
	v_addc_co_u32_e32 v35, vcc, v93, v35, vcc
	v_lshlrev_b64 v[36:37], 2, v[36:37]
	v_add_co_u32_e32 v36, vcc, s6, v36
	v_addc_co_u32_e32 v37, vcc, v93, v37, vcc
	global_load_dword v21, v[22:23], off
	s_nop 0
	global_load_dword v22, v[24:25], off
	global_load_dword v23, v[26:27], off
	s_nop 0
	global_load_dword v24, v[28:29], off
	global_load_dword v25, v[30:31], off
	;; [unrolled: 1-line block ×3, first 2 shown]
	s_nop 0
	global_load_dword v34, v[34:35], off
	s_nop 0
	global_load_dword v35, v[36:37], off
	v_add_u32_e32 v28, s51, v90
	v_ashrrev_i32_e32 v29, 31, v28
	v_lshlrev_b64 v[28:29], 2, v[28:29]
	v_add_u32_e32 v30, s52, v90
	v_add_co_u32_e32 v28, vcc, s6, v28
	v_ashrrev_i32_e32 v31, 31, v30
	v_addc_co_u32_e32 v29, vcc, v93, v29, vcc
	v_lshlrev_b64 v[30:31], 2, v[30:31]
	v_add_u32_e32 v32, s53, v90
	v_add_co_u32_e32 v30, vcc, s6, v30
	v_ashrrev_i32_e32 v33, 31, v32
	v_addc_co_u32_e32 v31, vcc, v93, v31, vcc
	;; [unrolled: 5-line block ×3, first 2 shown]
	v_lshlrev_b64 v[36:37], 2, v[36:37]
	v_add_co_u32_e32 v36, vcc, s6, v36
	v_addc_co_u32_e32 v37, vcc, v93, v37, vcc
	v_add_co_u32_e32 v38, vcc, s6, v38
	v_addc_co_u32_e32 v39, vcc, v93, v39, vcc
	;; [unrolled: 2-line block ×5, first 2 shown]
	global_load_dword v46, v[28:29], off
	global_load_dword v47, v[30:31], off
	global_load_dword v48, v[32:33], off
	global_load_dword v49, v[36:37], off
	global_load_dword v50, v[38:39], off
	global_load_dword v51, v[40:41], off
	global_load_dword v52, v[42:43], off
	global_load_dword v53, v[44:45], off
	v_add_u32_e32 v28, s59, v90
	v_ashrrev_i32_e32 v29, 31, v28
	v_lshlrev_b64 v[28:29], 2, v[28:29]
	v_add_u32_e32 v30, s60, v90
	v_add_co_u32_e32 v28, vcc, s6, v28
	v_ashrrev_i32_e32 v31, 31, v30
	v_addc_co_u32_e32 v29, vcc, v93, v29, vcc
	v_lshlrev_b64 v[30:31], 2, v[30:31]
	v_add_u32_e32 v32, s61, v90
	v_add_co_u32_e32 v30, vcc, s6, v30
	v_ashrrev_i32_e32 v33, 31, v32
	v_addc_co_u32_e32 v31, vcc, v93, v31, vcc
	v_lshlrev_b64 v[32:33], 2, v[32:33]
	v_add_u32_e32 v36, s62, v90
	v_add_co_u32_e32 v32, vcc, s6, v32
	v_ashrrev_i32_e32 v37, 31, v36
	v_addc_co_u32_e32 v33, vcc, v93, v33, vcc
	v_lshlrev_b64 v[36:37], 2, v[36:37]
	v_add_u32_e32 v38, s63, v90
	v_add_co_u32_e32 v36, vcc, s6, v36
	v_ashrrev_i32_e32 v39, 31, v38
	v_addc_co_u32_e32 v37, vcc, v93, v37, vcc
	v_lshlrev_b64 v[38:39], 2, v[38:39]
	v_add_u32_e32 v40, s64, v90
	v_add_co_u32_e32 v38, vcc, s6, v38
	v_ashrrev_i32_e32 v41, 31, v40
	v_addc_co_u32_e32 v39, vcc, v93, v39, vcc
	v_lshlrev_b64 v[40:41], 2, v[40:41]
	v_add_u32_e32 v42, s65, v90
	v_add_co_u32_e32 v40, vcc, s6, v40
	v_ashrrev_i32_e32 v43, 31, v42
	v_addc_co_u32_e32 v41, vcc, v93, v41, vcc
	v_lshlrev_b64 v[42:43], 2, v[42:43]
	v_add_u32_e32 v44, s66, v90
	v_add_co_u32_e32 v42, vcc, s6, v42
	v_ashrrev_i32_e32 v45, 31, v44
	v_addc_co_u32_e32 v43, vcc, v93, v43, vcc
	v_lshlrev_b64 v[44:45], 2, v[44:45]
	v_add_co_u32_e32 v44, vcc, s6, v44
	v_addc_co_u32_e32 v45, vcc, v93, v45, vcc
	global_load_dword v54, v[28:29], off
	global_load_dword v55, v[30:31], off
	global_load_dword v56, v[32:33], off
	global_load_dword v57, v[36:37], off
	global_load_dword v58, v[38:39], off
	global_load_dword v59, v[40:41], off
	global_load_dword v60, v[42:43], off
	global_load_dword v61, v[44:45], off
	v_add_u32_e32 v28, s67, v90
	v_ashrrev_i32_e32 v29, 31, v28
	v_lshlrev_b64 v[28:29], 2, v[28:29]
	v_add_u32_e32 v30, s68, v90
	v_add_co_u32_e32 v28, vcc, s6, v28
	v_ashrrev_i32_e32 v31, 31, v30
	v_addc_co_u32_e32 v29, vcc, v93, v29, vcc
	v_lshlrev_b64 v[30:31], 2, v[30:31]
	v_add_u32_e32 v32, s69, v90
	v_add_co_u32_e32 v30, vcc, s6, v30
	v_ashrrev_i32_e32 v33, 31, v32
	v_addc_co_u32_e32 v31, vcc, v93, v31, vcc
	v_lshlrev_b64 v[32:33], 2, v[32:33]
	v_add_u32_e32 v36, s70, v90
	v_add_co_u32_e32 v32, vcc, s6, v32
	v_ashrrev_i32_e32 v37, 31, v36
	v_addc_co_u32_e32 v33, vcc, v93, v33, vcc
	v_lshlrev_b64 v[36:37], 2, v[36:37]
	v_add_u32_e32 v38, s71, v90
	v_add_co_u32_e32 v36, vcc, s6, v36
	v_ashrrev_i32_e32 v39, 31, v38
	v_addc_co_u32_e32 v37, vcc, v93, v37, vcc
	v_lshlrev_b64 v[38:39], 2, v[38:39]
	v_add_u32_e32 v40, s72, v90
	v_add_co_u32_e32 v38, vcc, s6, v38
	v_ashrrev_i32_e32 v41, 31, v40
	v_addc_co_u32_e32 v39, vcc, v93, v39, vcc
	v_lshlrev_b64 v[40:41], 2, v[40:41]
	v_add_u32_e32 v42, s73, v90
	v_add_co_u32_e32 v40, vcc, s6, v40
	v_ashrrev_i32_e32 v43, 31, v42
	v_addc_co_u32_e32 v41, vcc, v93, v41, vcc
	v_lshlrev_b64 v[42:43], 2, v[42:43]
	v_add_u32_e32 v44, s74, v90
	v_add_co_u32_e32 v42, vcc, s6, v42
	v_ashrrev_i32_e32 v45, 31, v44
	v_addc_co_u32_e32 v43, vcc, v93, v43, vcc
	v_lshlrev_b64 v[44:45], 2, v[44:45]
	v_add_co_u32_e32 v44, vcc, s6, v44
	v_addc_co_u32_e32 v45, vcc, v93, v45, vcc
	;; [unrolled: 48-line block ×4, first 2 shown]
	global_load_dword v78, v[28:29], off
	global_load_dword v79, v[30:31], off
	;; [unrolled: 1-line block ×8, first 2 shown]
	v_add_u32_e32 v28, s90, v90
	v_ashrrev_i32_e32 v29, 31, v28
	v_lshlrev_b64 v[28:29], 2, v[28:29]
	v_add_u32_e32 v30, s91, v90
	v_add_co_u32_e32 v28, vcc, s6, v28
	v_ashrrev_i32_e32 v31, 31, v30
	v_addc_co_u32_e32 v29, vcc, v93, v29, vcc
	v_lshlrev_b64 v[30:31], 2, v[30:31]
	v_add_u32_e32 v32, s92, v90
	v_add_co_u32_e32 v30, vcc, s6, v30
	v_ashrrev_i32_e32 v33, 31, v32
	v_addc_co_u32_e32 v31, vcc, v93, v31, vcc
	;; [unrolled: 5-line block ×5, first 2 shown]
	v_lshlrev_b64 v[40:41], 2, v[40:41]
	v_add_co_u32_e32 v40, vcc, s6, v40
	v_addc_co_u32_e32 v41, vcc, v93, v41, vcc
	global_load_dword v98, v[28:29], off
	global_load_dword v99, v[30:31], off
	;; [unrolled: 1-line block ×6, first 2 shown]
	s_waitcnt vmcnt(54)
	ds_write_b32 v91, v20 offset:2376
	s_waitcnt vmcnt(53)
	ds_write_b32 v91, v21 offset:2640
	;; [unrolled: 2-line block ×7, first 2 shown]
	global_load_dwordx2 v[84:85], v[18:19], off
	ds_read_b64 v[36:37], v92
	ds_read_b64 v[32:33], v92 offset:32
	ds_read_b64 v[30:31], v92 offset:64
	ds_read_b64 v[28:29], v92 offset:96
	ds_read_b64 v[26:27], v92 offset:128
	ds_read_b64 v[24:25], v92 offset:160
	ds_read_b64 v[22:23], v92 offset:192
	ds_read_b64 v[20:21], v92 offset:224
	s_waitcnt vmcnt(48)
	ds_write_b32 v91, v34
	s_waitcnt vmcnt(47)
	ds_write_b32 v91, v35 offset:264
	s_waitcnt vmcnt(46)
	ds_write_b32 v91, v46 offset:528
	s_waitcnt vmcnt(45)
	ds_write_b32 v91, v47 offset:792
	s_waitcnt vmcnt(44)
	ds_write_b32 v91, v48 offset:1056
	s_waitcnt vmcnt(43)
	ds_write_b32 v91, v49 offset:1320
	s_waitcnt vmcnt(42)
	ds_write_b32 v91, v50 offset:1584
	s_waitcnt vmcnt(41)
	ds_write_b32 v91, v51 offset:1848
	s_waitcnt vmcnt(40)
	ds_write_b32 v91, v52 offset:2112
	s_waitcnt vmcnt(39)
	ds_write_b32 v91, v53 offset:2376
	s_waitcnt vmcnt(38)
	ds_write_b32 v91, v54 offset:2640
	s_waitcnt vmcnt(37)
	ds_write_b32 v91, v55 offset:2904
	s_waitcnt vmcnt(36)
	ds_write_b32 v91, v56 offset:3168
	s_waitcnt vmcnt(35)
	ds_write_b32 v91, v57 offset:3432
	s_waitcnt vmcnt(34)
	ds_write_b32 v91, v58 offset:3696
	s_waitcnt vmcnt(33)
	ds_write_b32 v91, v59 offset:3960
	ds_read_b64 v[54:55], v92
	ds_read_b64 v[52:53], v92 offset:32
	ds_read_b64 v[50:51], v92 offset:64
	ds_read_b64 v[48:49], v92 offset:96
	ds_read_b64 v[44:45], v92 offset:128
	ds_read_b64 v[42:43], v92 offset:160
	ds_read_b64 v[40:41], v92 offset:192
	ds_read_b64 v[34:35], v92 offset:224
	s_waitcnt vmcnt(32)
	ds_write_b32 v91, v60
	s_waitcnt vmcnt(31)
	ds_write_b32 v91, v61 offset:264
	s_waitcnt vmcnt(30)
	ds_write_b32 v91, v62 offset:528
	s_waitcnt vmcnt(29)
	ds_write_b32 v91, v63 offset:792
	s_waitcnt vmcnt(28)
	ds_write_b32 v91, v64 offset:1056
	s_waitcnt vmcnt(27)
	ds_write_b32 v91, v65 offset:1320
	s_waitcnt vmcnt(26)
	ds_write_b32 v91, v66 offset:1584
	s_waitcnt vmcnt(25)
	ds_write_b32 v91, v67 offset:1848
	s_waitcnt vmcnt(24)
	ds_write_b32 v91, v68 offset:2112
	s_waitcnt vmcnt(23)
	ds_write_b32 v91, v69 offset:2376
	s_waitcnt vmcnt(22)
	ds_write_b32 v91, v70 offset:2640
	s_waitcnt vmcnt(21)
	ds_write_b32 v91, v71 offset:2904
	s_waitcnt vmcnt(20)
	ds_write_b32 v91, v72 offset:3168
	s_waitcnt vmcnt(19)
	ds_write_b32 v91, v73 offset:3432
	s_waitcnt vmcnt(18)
	ds_write_b32 v91, v74 offset:3696
	s_waitcnt vmcnt(17)
	ds_write_b32 v91, v75 offset:3960
	;; [unrolled: 40-line block ×3, first 2 shown]
	ds_read_b64 v[82:83], v92
	ds_read_b64 v[80:81], v92 offset:32
	ds_read_b64 v[78:79], v92 offset:64
	ds_read_b64 v[76:77], v92 offset:96
	ds_read_b64 v[74:75], v92 offset:128
	ds_read_b64 v[72:73], v92 offset:160
	ds_read_b64 v[70:71], v92 offset:192
	ds_read_b64 v[46:47], v92 offset:224
	s_waitcnt vmcnt(0)
	v_and_b32_e32 v96, 0x7f800000, v84
	v_cmp_ne_u32_e32 vcc, s95, v96
                                        ; implicit-def: $vgpr96
	s_and_saveexec_b64 s[16:17], vcc
	s_xor_b64 s[16:17], exec, s[16:17]
; %bb.6:                                ;   in Loop: Header=BB137_5 Depth=1
	v_bfe_u32 v96, v84, 16, 1
	v_add3_u32 v96, v84, v96, s10
; %bb.7:                                ;   in Loop: Header=BB137_5 Depth=1
	s_andn2_saveexec_b64 s[16:17], s[16:17]
; %bb.8:                                ;   in Loop: Header=BB137_5 Depth=1
	v_or_b32_e32 v96, 0x10000, v84
	v_cmp_eq_u32_sdwa vcc, v84, v94 src0_sel:WORD_0 src1_sel:DWORD
	v_cndmask_b32_e32 v96, v96, v84, vcc
; %bb.9:                                ;   in Loop: Header=BB137_5 Depth=1
	s_or_b64 exec, exec, s[16:17]
	v_and_b32_e32 v84, 0x7f800000, v85
	v_cmp_ne_u32_e32 vcc, s95, v84
                                        ; implicit-def: $vgpr97
	s_and_saveexec_b64 s[16:17], vcc
	s_xor_b64 s[16:17], exec, s[16:17]
; %bb.10:                               ;   in Loop: Header=BB137_5 Depth=1
	v_bfe_u32 v84, v85, 16, 1
	v_add3_u32 v97, v85, v84, s10
                                        ; implicit-def: $vgpr84_vgpr85
; %bb.11:                               ;   in Loop: Header=BB137_5 Depth=1
	s_andn2_saveexec_b64 s[16:17], s[16:17]
; %bb.12:                               ;   in Loop: Header=BB137_5 Depth=1
	v_or_b32_e32 v84, 0x10000, v85
	v_cmp_eq_u32_sdwa vcc, v85, v94 src0_sel:WORD_0 src1_sel:DWORD
	v_cndmask_b32_e32 v97, v84, v85, vcc
; %bb.13:                               ;   in Loop: Header=BB137_5 Depth=1
	s_or_b64 exec, exec, s[16:17]
	v_mov_b32_e32 v85, s13
	v_add_co_u32_e32 v84, vcc, s12, v18
	v_addc_co_u32_e32 v85, vcc, v19, v85, vcc
	global_load_dwordx2 v[84:85], v[84:85], off
	v_perm_b32 v96, v97, v96, s11
	ds_write_b32 v91, v96
	s_waitcnt vmcnt(0)
	v_and_b32_e32 v96, 0x7f800000, v84
	v_cmp_ne_u32_e32 vcc, s95, v96
                                        ; implicit-def: $vgpr96
	s_and_saveexec_b64 s[16:17], vcc
	s_xor_b64 s[16:17], exec, s[16:17]
; %bb.14:                               ;   in Loop: Header=BB137_5 Depth=1
	v_bfe_u32 v96, v84, 16, 1
	v_add3_u32 v96, v84, v96, s10
; %bb.15:                               ;   in Loop: Header=BB137_5 Depth=1
	s_andn2_saveexec_b64 s[16:17], s[16:17]
; %bb.16:                               ;   in Loop: Header=BB137_5 Depth=1
	v_or_b32_e32 v96, 0x10000, v84
	v_cmp_eq_u32_sdwa vcc, v84, v94 src0_sel:WORD_0 src1_sel:DWORD
	v_cndmask_b32_e32 v96, v96, v84, vcc
; %bb.17:                               ;   in Loop: Header=BB137_5 Depth=1
	s_or_b64 exec, exec, s[16:17]
	v_and_b32_e32 v84, 0x7f800000, v85
	v_cmp_ne_u32_e32 vcc, s95, v84
                                        ; implicit-def: $vgpr97
	s_and_saveexec_b64 s[16:17], vcc
	s_xor_b64 s[16:17], exec, s[16:17]
; %bb.18:                               ;   in Loop: Header=BB137_5 Depth=1
	v_bfe_u32 v84, v85, 16, 1
	v_add3_u32 v97, v85, v84, s10
                                        ; implicit-def: $vgpr84_vgpr85
; %bb.19:                               ;   in Loop: Header=BB137_5 Depth=1
	s_andn2_saveexec_b64 s[16:17], s[16:17]
; %bb.20:                               ;   in Loop: Header=BB137_5 Depth=1
	v_or_b32_e32 v84, 0x10000, v85
	v_cmp_eq_u32_sdwa vcc, v85, v94 src0_sel:WORD_0 src1_sel:DWORD
	v_cndmask_b32_e32 v97, v84, v85, vcc
; %bb.21:                               ;   in Loop: Header=BB137_5 Depth=1
	s_or_b64 exec, exec, s[16:17]
	v_add_u32_e32 v84, s21, v90
	v_ashrrev_i32_e32 v85, 31, v84
	v_lshlrev_b64 v[84:85], 3, v[84:85]
	v_mov_b32_e32 v98, s18
	v_add_co_u32_e32 v84, vcc, s14, v84
	v_addc_co_u32_e32 v85, vcc, v98, v85, vcc
	global_load_dwordx2 v[84:85], v[84:85], off
	v_perm_b32 v96, v97, v96, s11
	ds_write_b32 v91, v96 offset:264
	s_waitcnt vmcnt(0)
	v_and_b32_e32 v96, 0x7f800000, v84
	v_cmp_ne_u32_e32 vcc, s95, v96
                                        ; implicit-def: $vgpr96
	s_and_saveexec_b64 s[16:17], vcc
	s_xor_b64 s[16:17], exec, s[16:17]
; %bb.22:                               ;   in Loop: Header=BB137_5 Depth=1
	v_bfe_u32 v96, v84, 16, 1
	v_add3_u32 v96, v84, v96, s10
; %bb.23:                               ;   in Loop: Header=BB137_5 Depth=1
	s_andn2_saveexec_b64 s[16:17], s[16:17]
; %bb.24:                               ;   in Loop: Header=BB137_5 Depth=1
	v_or_b32_e32 v96, 0x10000, v84
	v_cmp_eq_u32_sdwa vcc, v84, v94 src0_sel:WORD_0 src1_sel:DWORD
	v_cndmask_b32_e32 v96, v96, v84, vcc
; %bb.25:                               ;   in Loop: Header=BB137_5 Depth=1
	s_or_b64 exec, exec, s[16:17]
	v_and_b32_e32 v84, 0x7f800000, v85
	v_cmp_ne_u32_e32 vcc, s95, v84
                                        ; implicit-def: $vgpr97
	s_and_saveexec_b64 s[16:17], vcc
	s_xor_b64 s[16:17], exec, s[16:17]
; %bb.26:                               ;   in Loop: Header=BB137_5 Depth=1
	v_bfe_u32 v84, v85, 16, 1
	v_add3_u32 v97, v85, v84, s10
                                        ; implicit-def: $vgpr84_vgpr85
; %bb.27:                               ;   in Loop: Header=BB137_5 Depth=1
	s_andn2_saveexec_b64 s[16:17], s[16:17]
; %bb.28:                               ;   in Loop: Header=BB137_5 Depth=1
	v_or_b32_e32 v84, 0x10000, v85
	v_cmp_eq_u32_sdwa vcc, v85, v94 src0_sel:WORD_0 src1_sel:DWORD
	v_cndmask_b32_e32 v97, v84, v85, vcc
; %bb.29:                               ;   in Loop: Header=BB137_5 Depth=1
	s_or_b64 exec, exec, s[16:17]
	v_add_u32_e32 v84, s22, v90
	v_ashrrev_i32_e32 v85, 31, v84
	v_lshlrev_b64 v[84:85], 3, v[84:85]
	v_mov_b32_e32 v98, s18
	v_add_co_u32_e32 v84, vcc, s14, v84
	v_addc_co_u32_e32 v85, vcc, v98, v85, vcc
	global_load_dwordx2 v[84:85], v[84:85], off
	v_perm_b32 v96, v97, v96, s11
	ds_write_b32 v91, v96 offset:528
	;; [unrolled: 43-line block ×10, first 2 shown]
	s_waitcnt vmcnt(0)
	v_and_b32_e32 v96, 0x7f800000, v84
	v_cmp_ne_u32_e32 vcc, s95, v96
                                        ; implicit-def: $vgpr96
	s_and_saveexec_b64 s[16:17], vcc
	s_xor_b64 s[16:17], exec, s[16:17]
; %bb.94:                               ;   in Loop: Header=BB137_5 Depth=1
	v_bfe_u32 v96, v84, 16, 1
	v_add3_u32 v96, v84, v96, s10
; %bb.95:                               ;   in Loop: Header=BB137_5 Depth=1
	s_andn2_saveexec_b64 s[16:17], s[16:17]
; %bb.96:                               ;   in Loop: Header=BB137_5 Depth=1
	v_or_b32_e32 v96, 0x10000, v84
	v_cmp_eq_u32_sdwa vcc, v84, v94 src0_sel:WORD_0 src1_sel:DWORD
	v_cndmask_b32_e32 v96, v96, v84, vcc
; %bb.97:                               ;   in Loop: Header=BB137_5 Depth=1
	s_or_b64 exec, exec, s[16:17]
	v_and_b32_e32 v84, 0x7f800000, v85
	v_cmp_ne_u32_e32 vcc, s95, v84
                                        ; implicit-def: $vgpr97
	s_and_saveexec_b64 s[16:17], vcc
	s_xor_b64 s[16:17], exec, s[16:17]
; %bb.98:                               ;   in Loop: Header=BB137_5 Depth=1
	v_bfe_u32 v84, v85, 16, 1
	v_add3_u32 v97, v85, v84, s10
                                        ; implicit-def: $vgpr84_vgpr85
; %bb.99:                               ;   in Loop: Header=BB137_5 Depth=1
	s_andn2_saveexec_b64 s[16:17], s[16:17]
; %bb.100:                              ;   in Loop: Header=BB137_5 Depth=1
	v_or_b32_e32 v84, 0x10000, v85
	v_cmp_eq_u32_sdwa vcc, v85, v94 src0_sel:WORD_0 src1_sel:DWORD
	v_cndmask_b32_e32 v97, v84, v85, vcc
; %bb.101:                              ;   in Loop: Header=BB137_5 Depth=1
	s_or_b64 exec, exec, s[16:17]
	v_add_u32_e32 v84, s34, v90
	v_ashrrev_i32_e32 v85, 31, v84
	v_lshlrev_b64 v[84:85], 3, v[84:85]
	v_mov_b32_e32 v98, s18
	v_add_co_u32_e32 v84, vcc, s14, v84
	v_addc_co_u32_e32 v85, vcc, v98, v85, vcc
	global_load_dwordx2 v[84:85], v[84:85], off
	v_perm_b32 v96, v97, v96, s11
	ds_write_b32 v91, v96 offset:2904
	s_waitcnt vmcnt(0)
	v_and_b32_e32 v96, 0x7f800000, v84
	v_cmp_ne_u32_e32 vcc, s95, v96
                                        ; implicit-def: $vgpr96
	s_and_saveexec_b64 s[16:17], vcc
	s_xor_b64 s[16:17], exec, s[16:17]
; %bb.102:                              ;   in Loop: Header=BB137_5 Depth=1
	v_bfe_u32 v96, v84, 16, 1
	v_add3_u32 v96, v84, v96, s10
; %bb.103:                              ;   in Loop: Header=BB137_5 Depth=1
	s_andn2_saveexec_b64 s[16:17], s[16:17]
; %bb.104:                              ;   in Loop: Header=BB137_5 Depth=1
	v_or_b32_e32 v96, 0x10000, v84
	v_cmp_eq_u32_sdwa vcc, v84, v94 src0_sel:WORD_0 src1_sel:DWORD
	v_cndmask_b32_e32 v96, v96, v84, vcc
; %bb.105:                              ;   in Loop: Header=BB137_5 Depth=1
	s_or_b64 exec, exec, s[16:17]
	v_and_b32_e32 v84, 0x7f800000, v85
	v_cmp_ne_u32_e32 vcc, s95, v84
                                        ; implicit-def: $vgpr97
	s_and_saveexec_b64 s[16:17], vcc
	s_xor_b64 s[16:17], exec, s[16:17]
; %bb.106:                              ;   in Loop: Header=BB137_5 Depth=1
	v_bfe_u32 v84, v85, 16, 1
	v_add3_u32 v97, v85, v84, s10
                                        ; implicit-def: $vgpr84_vgpr85
; %bb.107:                              ;   in Loop: Header=BB137_5 Depth=1
	s_andn2_saveexec_b64 s[16:17], s[16:17]
	s_cbranch_execz .LBB137_4
; %bb.108:                              ;   in Loop: Header=BB137_5 Depth=1
	v_or_b32_e32 v84, 0x10000, v85
	v_cmp_eq_u32_sdwa vcc, v85, v94 src0_sel:WORD_0 src1_sel:DWORD
	v_cndmask_b32_e32 v97, v84, v85, vcc
	s_branch .LBB137_4
.LBB137_109:
	s_or_b64 exec, exec, s[0:1]
	v_readlane_b32 s10, v104, 0
	v_readlane_b32 s11, v104, 1
.LBB137_110:
	s_or_b64 exec, exec, s[24:25]
	v_mul_u32_u24_e32 v16, 0x508, v89
	v_lshlrev_b32_e32 v17, 2, v88
	v_add3_u32 v16, 0, v16, v17
	v_and_b32_e32 v17, 0x3f0, v87
	s_mul_hi_i32 s1, s19, s8
	s_mul_i32 s0, s19, s8
	v_add_u32_e32 v17, v16, v17
	s_lshl_b64 s[0:1], s[0:1], 2
	s_waitcnt lgkmcnt(0)
	s_barrier
	ds_write2_b32 v17, v4, v5 offset1:1
	ds_write_b32 v17, v6 offset:8
	v_or_b32_e32 v4, 12, v87
	s_mul_i32 s4, s7, s15
	s_add_u32 s6, s10, s0
	v_and_b32_e32 v4, 0x3fc, v4
	s_addc_u32 s7, s11, s1
	s_ashr_i32 s5, s4, 31
	v_add_u32_e32 v4, v16, v4
	s_lshl_b64 s[0:1], s[4:5], 2
	s_movk_i32 s4, 0x508
	ds_write_b32 v4, v7
	ds_write2_b32 v17, v0, v1 offset0:16 offset1:17
	ds_write_b32 v17, v2 offset:72
	ds_write_b32 v4, v3 offset:64
	ds_write2_b32 v17, v8, v9 offset0:32 offset1:33
	ds_write_b32 v17, v10 offset:136
	ds_write_b32 v4, v11 offset:128
	;; [unrolled: 3-line block ×3, first 2 shown]
	v_lshl_add_u32 v2, v87, 2, 0
	v_mad_u32_u24 v3, v86, s4, v2
	s_waitcnt lgkmcnt(0)
	s_barrier
	ds_read2st64_b32 v[0:1], v3 offset1:1
	ds_read2st64_b32 v[4:5], v3 offset0:2 offset1:3
	ds_read_b32 v6, v3 offset:1024
	ds_read_b32 v10, v3 offset:7464
	v_add_u32_e32 v3, 40, v3
	s_add_u32 s0, s6, s0
	s_addc_u32 s1, s7, s1
	s_waitcnt lgkmcnt(3)
	v_add_f32_e32 v0, 0, v0
	v_add_f32_e32 v0, v0, v1
	s_waitcnt lgkmcnt(2)
	v_add_f32_e32 v0, v0, v4
	v_add_f32_e32 v0, v0, v5
	s_waitcnt lgkmcnt(1)
	v_add_f32_e32 v11, v0, v6
	v_mul_lo_u32 v0, v86, s2
	ds_read2st64_b32 v[6:7], v3 offset0:25 offset1:26
	ds_read2st64_b32 v[8:9], v3 offset0:27 offset1:28
	v_add3_u32 v0, s3, v87, v0
	v_mov_b32_e32 v1, 0
	v_lshlrev_b64 v[4:5], 2, v[0:1]
	v_mov_b32_e32 v12, s1
	v_add_co_u32_e32 v4, vcc, s0, v4
	s_mul_i32 s2, s2, 5
	v_addc_co_u32_e32 v5, vcc, v12, v5, vcc
	s_waitcnt lgkmcnt(1)
	v_add_f32_e32 v3, 0, v6
	v_add_u32_e32 v0, s2, v0
	global_store_dword v[4:5], v11, off
	v_add_f32_e32 v3, v3, v7
	v_lshlrev_b64 v[4:5], 2, v[0:1]
	s_waitcnt lgkmcnt(0)
	v_add_f32_e32 v3, v3, v8
	v_mov_b32_e32 v6, s1
	v_add_co_u32_e32 v4, vcc, s0, v4
	v_add_f32_e32 v3, v3, v9
	v_addc_co_u32_e32 v5, vcc, v6, v5, vcc
	v_add_f32_e32 v3, v3, v10
	v_cmp_gt_u32_e32 vcc, 3, v86
	global_store_dword v[4:5], v3, off
	s_and_saveexec_b64 s[4:5], vcc
	s_cbranch_execz .LBB137_112
; %bb.111:
	v_mul_u32_u24_e32 v3, 0x508, v86
	v_add_u32_e32 v6, v2, v3
	v_add_u32_e32 v4, 0x50, v6
	ds_read2st64_b32 v[2:3], v4 offset0:50 offset1:51
	ds_read2st64_b32 v[4:5], v4 offset0:52 offset1:53
	ds_read_b32 v6, v6 offset:13904
	v_add_u32_e32 v0, s2, v0
	v_lshlrev_b64 v[0:1], 2, v[0:1]
	s_waitcnt lgkmcnt(2)
	v_add_f32_e32 v2, 0, v2
	v_add_f32_e32 v2, v2, v3
	s_waitcnt lgkmcnt(1)
	v_add_f32_e32 v2, v2, v4
	v_add_f32_e32 v2, v2, v5
	v_mov_b32_e32 v3, s1
	v_add_co_u32_e32 v0, vcc, s0, v0
	s_waitcnt lgkmcnt(0)
	v_add_f32_e32 v2, v2, v6
	v_addc_co_u32_e32 v1, vcc, v3, v1, vcc
	global_store_dword v[0:1], v2, off
.LBB137_112:
	s_endpgm
	.section	.rodata,"a",@progbits
	.p2align	6, 0x0
	.amdhsa_kernel _ZL9mul_mat_fI15__hip_bfloat162Li64ELi13ELi5ELb0EEvPKT_PKfPKiPfiiiiiiiiiiiiiiii
		.amdhsa_group_segment_fixed_size 0
		.amdhsa_private_segment_fixed_size 0
		.amdhsa_kernarg_size 96
		.amdhsa_user_sgpr_count 6
		.amdhsa_user_sgpr_private_segment_buffer 1
		.amdhsa_user_sgpr_dispatch_ptr 0
		.amdhsa_user_sgpr_queue_ptr 0
		.amdhsa_user_sgpr_kernarg_segment_ptr 1
		.amdhsa_user_sgpr_dispatch_id 0
		.amdhsa_user_sgpr_flat_scratch_init 0
		.amdhsa_user_sgpr_kernarg_preload_length 0
		.amdhsa_user_sgpr_kernarg_preload_offset 0
		.amdhsa_user_sgpr_private_segment_size 0
		.amdhsa_uses_dynamic_stack 0
		.amdhsa_system_sgpr_private_segment_wavefront_offset 0
		.amdhsa_system_sgpr_workgroup_id_x 1
		.amdhsa_system_sgpr_workgroup_id_y 1
		.amdhsa_system_sgpr_workgroup_id_z 1
		.amdhsa_system_sgpr_workgroup_info 0
		.amdhsa_system_vgpr_workitem_id 1
		.amdhsa_next_free_vgpr 105
		.amdhsa_next_free_sgpr 96
		.amdhsa_accum_offset 108
		.amdhsa_reserve_vcc 1
		.amdhsa_reserve_flat_scratch 0
		.amdhsa_float_round_mode_32 0
		.amdhsa_float_round_mode_16_64 0
		.amdhsa_float_denorm_mode_32 3
		.amdhsa_float_denorm_mode_16_64 3
		.amdhsa_dx10_clamp 1
		.amdhsa_ieee_mode 1
		.amdhsa_fp16_overflow 0
		.amdhsa_tg_split 0
		.amdhsa_exception_fp_ieee_invalid_op 0
		.amdhsa_exception_fp_denorm_src 0
		.amdhsa_exception_fp_ieee_div_zero 0
		.amdhsa_exception_fp_ieee_overflow 0
		.amdhsa_exception_fp_ieee_underflow 0
		.amdhsa_exception_fp_ieee_inexact 0
		.amdhsa_exception_int_div_zero 0
	.end_amdhsa_kernel
	.section	.text._ZL9mul_mat_fI15__hip_bfloat162Li64ELi13ELi5ELb0EEvPKT_PKfPKiPfiiiiiiiiiiiiiiii,"axG",@progbits,_ZL9mul_mat_fI15__hip_bfloat162Li64ELi13ELi5ELb0EEvPKT_PKfPKiPfiiiiiiiiiiiiiiii,comdat
.Lfunc_end137:
	.size	_ZL9mul_mat_fI15__hip_bfloat162Li64ELi13ELi5ELb0EEvPKT_PKfPKiPfiiiiiiiiiiiiiiii, .Lfunc_end137-_ZL9mul_mat_fI15__hip_bfloat162Li64ELi13ELi5ELb0EEvPKT_PKfPKiPfiiiiiiiiiiiiiiii
                                        ; -- End function
	.section	.AMDGPU.csdata,"",@progbits
; Kernel info:
; codeLenInByte = 7424
; NumSgprs: 100
; NumVgprs: 105
; NumAgprs: 0
; TotalNumVgprs: 105
; ScratchSize: 0
; MemoryBound: 0
; FloatMode: 240
; IeeeMode: 1
; LDSByteSize: 0 bytes/workgroup (compile time only)
; SGPRBlocks: 12
; VGPRBlocks: 13
; NumSGPRsForWavesPerEU: 100
; NumVGPRsForWavesPerEU: 105
; AccumOffset: 108
; Occupancy: 4
; WaveLimiterHint : 0
; COMPUTE_PGM_RSRC2:SCRATCH_EN: 0
; COMPUTE_PGM_RSRC2:USER_SGPR: 6
; COMPUTE_PGM_RSRC2:TRAP_HANDLER: 0
; COMPUTE_PGM_RSRC2:TGID_X_EN: 1
; COMPUTE_PGM_RSRC2:TGID_Y_EN: 1
; COMPUTE_PGM_RSRC2:TGID_Z_EN: 1
; COMPUTE_PGM_RSRC2:TIDIG_COMP_CNT: 1
; COMPUTE_PGM_RSRC3_GFX90A:ACCUM_OFFSET: 26
; COMPUTE_PGM_RSRC3_GFX90A:TG_SPLIT: 0
	.section	.text._ZL13mul_mat_f_idsI15__hip_bfloat162Li64ELi13ELi6EEvPKT_PKfPKiS7_S7_Pfiiiiiiiiiiiiii15HIP_vector_typeIjLj3EESA_,"axG",@progbits,_ZL13mul_mat_f_idsI15__hip_bfloat162Li64ELi13ELi6EEvPKT_PKfPKiS7_S7_Pfiiiiiiiiiiiiii15HIP_vector_typeIjLj3EESA_,comdat
	.globl	_ZL13mul_mat_f_idsI15__hip_bfloat162Li64ELi13ELi6EEvPKT_PKfPKiS7_S7_Pfiiiiiiiiiiiiii15HIP_vector_typeIjLj3EESA_ ; -- Begin function _ZL13mul_mat_f_idsI15__hip_bfloat162Li64ELi13ELi6EEvPKT_PKfPKiS7_S7_Pfiiiiiiiiiiiiii15HIP_vector_typeIjLj3EESA_
	.p2align	8
	.type	_ZL13mul_mat_f_idsI15__hip_bfloat162Li64ELi13ELi6EEvPKT_PKfPKiS7_S7_Pfiiiiiiiiiiiiii15HIP_vector_typeIjLj3EESA_,@function
_ZL13mul_mat_f_idsI15__hip_bfloat162Li64ELi13ELi6EEvPKT_PKfPKiS7_S7_Pfiiiiiiiiiiiiii15HIP_vector_typeIjLj3EESA_: ; @_ZL13mul_mat_f_idsI15__hip_bfloat162Li64ELi13ELi6EEvPKT_PKfPKiS7_S7_Pfiiiiiiiiiiiiii15HIP_vector_typeIjLj3EESA_
; %bb.0:
	s_load_dwordx2 s[0:1], s[4:5], 0x20
	s_mov_b32 s34, s7
	s_ashr_i32 s35, s7, 31
	s_lshl_b64 s[2:3], s[34:35], 2
	s_waitcnt lgkmcnt(0)
	s_add_u32 s0, s0, s2
	s_addc_u32 s1, s1, s3
	s_load_dwordx2 s[26:27], s[0:1], 0x0
	s_waitcnt lgkmcnt(0)
	s_sub_i32 s33, s27, s26
	s_add_i32 s0, s33, 12
	s_mul_hi_i32 s0, s0, 0x4ec4ec4f
	s_lshr_b32 s1, s0, 31
	s_ashr_i32 s0, s0, 2
	s_add_i32 s0, s0, s1
	s_cmp_ge_i32 s8, s0
	s_cbranch_scc1 .LBB138_160
; %bb.1:
	v_bfe_u32 v108, v0, 10, 10
	v_lshlrev_b32_e32 v110, 6, v108
	v_and_b32_e32 v109, 0x3ff, v0
	s_load_dwordx4 s[12:15], s[4:5], 0x30
	s_load_dwordx2 s[20:21], s[4:5], 0x40
	s_load_dwordx4 s[0:3], s[4:5], 0x4c
	s_load_dwordx4 s[16:19], s[4:5], 0x68
	s_load_dwordx2 s[24:25], s[4:5], 0x78
	v_add_u32_e32 v112, v110, v109
	s_ashr_i32 s27, s26, 31
	s_waitcnt lgkmcnt(0)
	v_cmp_le_i32_e32 vcc, s12, v112
	v_and_b32_e32 v111, 15, v109
                                        ; implicit-def: $sgpr3
	s_and_saveexec_b64 s[10:11], vcc
	s_xor_b64 s[10:11], exec, s[10:11]
; %bb.2:
	v_and_b32_e32 v111, 15, v109
	s_mov_b32 s3, 0
                                        ; implicit-def: $vgpr112
; %bb.3:
	s_or_saveexec_b64 s[22:23], s[10:11]
	s_load_dwordx2 s[10:11], s[4:5], 0x18
                                        ; implicit-def: $vgpr119 : SGPR spill to VGPR lane
	s_lshl_b32 s7, s6, 6
	s_mul_i32 s6, s8, 13
	v_mov_b32_e32 v15, s3
	v_mov_b32_e32 v14, s3
	s_waitcnt lgkmcnt(0)
	v_writelane_b32 v119, s10, 0
	v_writelane_b32 v119, s11, 1
	s_load_dwordx2 s[10:11], s[4:5], 0x28
	v_mov_b32_e32 v13, s3
	v_mov_b32_e32 v12, s3
	;; [unrolled: 1-line block ×4, first 2 shown]
	s_waitcnt lgkmcnt(0)
	v_writelane_b32 v119, s10, 2
	v_writelane_b32 v119, s11, 3
	v_mov_b32_e32 v1, s3
	v_mov_b32_e32 v0, s3
	;; [unrolled: 1-line block ×10, first 2 shown]
	v_writelane_b32 v119, s22, 4
	v_writelane_b32 v119, s23, 5
	s_xor_b64 exec, exec, s[22:23]
	s_cbranch_execz .LBB138_150
; %bb.4:
	v_writelane_b32 v119, s24, 6
	v_writelane_b32 v119, s25, 7
	s_load_dwordx4 s[8:11], s[4:5], 0x0
	s_load_dwordx2 s[22:23], s[4:5], 0x10
	s_mul_i32 s4, s34, s0
	s_mul_i32 s24, s7, s15
	s_ashr_i32 s5, s4, 31
	s_ashr_i32 s25, s24, 31
	s_lshl_b64 s[24:25], s[24:25], 2
	s_lshl_b64 s[4:5], s[4:5], 2
	s_add_u32 s3, s4, s24
	s_addc_u32 s24, s5, s25
	v_writelane_b32 v119, s7, 8
	s_waitcnt lgkmcnt(0)
	s_add_u32 s0, s3, s8
	s_addc_u32 s25, s24, s9
	v_writelane_b32 v119, s26, 9
	s_lshl_b64 s[4:5], s[26:27], 2
	v_writelane_b32 v119, s27, 10
	s_add_u32 s26, s22, s4
	s_addc_u32 s27, s23, s5
	s_movk_i32 s4, 0x1080
	s_cmp_lt_i32 s6, s33
	v_mad_u32_u24 v0, v108, s4, 0
	s_cselect_b64 s[4:5], -1, 0
	s_ashr_i32 s7, s6, 31
	s_lshl_b64 s[22:23], s[6:7], 2
	s_add_u32 s34, s26, s22
	s_addc_u32 s35, s27, s23
	s_add_i32 s7, s6, 1
	s_cmp_lt_i32 s7, s33
	s_cselect_b64 s[36:37], -1, 0
	s_add_i32 s7, s6, 2
	s_cmp_lt_i32 s7, s33
	v_lshrrev_b32_e32 v3, 1, v109
	s_cselect_b64 s[38:39], -1, 0
	s_add_i32 s7, s6, 3
	v_lshlrev_b32_e32 v1, 2, v109
	v_mul_u32_u24_e32 v2, 0x108, v111
	v_and_b32_e32 v3, 0x1f8, v3
	s_cmp_lt_i32 s7, s33
	v_add_u32_e32 v113, v0, v1
	v_add3_u32 v114, v0, v2, v3
	s_cselect_b64 s[40:41], -1, 0
	s_add_i32 s7, s6, 4
	v_lshlrev_b32_e32 v0, 8, v108
	s_cmp_lt_i32 s7, s33
	v_add_co_u32_e32 v0, vcc, s3, v0
	s_mul_i32 s3, s15, 3
	s_cselect_b64 s[42:43], -1, 0
	s_add_i32 s7, s6, 5
	v_writelane_b32 v119, s3, 11
	s_mul_i32 s3, s15, 5
	s_cmp_lt_i32 s7, s33
	v_writelane_b32 v119, s3, 12
	s_mul_i32 s3, s15, 6
	s_cselect_b64 s[44:45], -1, 0
	s_add_i32 s7, s6, 6
	v_writelane_b32 v119, s3, 13
	s_mul_i32 s3, s15, 7
	s_cmp_lt_i32 s7, s33
	v_writelane_b32 v119, s3, 14
	;; [unrolled: 7-line block ×6, first 2 shown]
	s_mul_i32 s3, s15, 18
	s_cselect_b64 s[54:55], -1, 0
	s_add_i32 s7, s6, 11
	v_writelane_b32 v119, s3, 23
	s_mul_i32 s3, s15, 19
	s_cmp_lt_i32 s7, s33
	v_mov_b32_e32 v2, s24
	v_writelane_b32 v119, s3, 24
	s_mul_i32 s3, s15, 20
	s_cselect_b64 s[56:57], -1, 0
	s_add_i32 s7, s6, 12
	v_addc_co_u32_e32 v2, vcc, 0, v2, vcc
	v_writelane_b32 v119, s3, 25
	s_mul_i32 s3, s15, 21
	s_cmp_lt_i32 s7, s33
	v_add_co_u32_e32 v0, vcc, v0, v1
	v_writelane_b32 v119, s3, 26
	s_mul_i32 s3, s15, 22
	s_cselect_b64 s[58:59], -1, 0
	s_ashr_i32 s23, s15, 31
	s_mov_b32 s22, s15
	v_addc_co_u32_e32 v1, vcc, 0, v2, vcc
	v_writelane_b32 v119, s3, 27
	s_mul_i32 s3, s15, 23
	s_lshl_b64 s[60:61], s[22:23], 2
	v_mov_b32_e32 v2, s9
	v_add_co_u32_e32 v16, vcc, s8, v0
	v_writelane_b32 v119, s3, 28
	s_mul_i32 s3, s15, 24
	v_mov_b32_e32 v116, 0
	v_addc_co_u32_e32 v17, vcc, v2, v1, vcc
	s_lshl_b32 s7, s15, 1
	s_lshl_b32 s65, s15, 2
	;; [unrolled: 1-line block ×4, first 2 shown]
	v_writelane_b32 v119, s3, 29
	s_mul_i32 s86, s15, 25
	s_mul_i32 s87, s15, 26
	;; [unrolled: 1-line block ×5, first 2 shown]
	v_mov_b32_e32 v115, s25
	s_mul_i32 s91, s15, 30
	v_mov_b32_e32 v117, s61
	v_mov_b32_e32 v8, 0
	;; [unrolled: 1-line block ×17, first 2 shown]
	s_mul_i32 s61, s15, 31
	s_lshl_b32 s92, s15, 5
	s_mul_i32 s93, s15, 33
	s_mul_i32 s94, s15, 34
	;; [unrolled: 1-line block ×31, first 2 shown]
	s_mov_b32 s83, 0x7f800000
	s_movk_i32 s84, 0x7fff
	s_mov_b32 s85, 0x7060302
	s_mov_b64 s[8:9], 0
	s_branch .LBB138_6
.LBB138_5:                              ;   in Loop: Header=BB138_6 Depth=1
	s_or_b64 exec, exec, s[62:63]
	v_perm_b32 v82, v82, v84, s85
	v_add_u32_e32 v83, 0xc00, v113
	ds_write2_b32 v83, v82, v116 offset0:24 offset1:90
	ds_write2_b32 v83, v116, v116 offset0:156 offset1:222
	ds_read2_b64 v[82:85], v114 offset1:4
	v_add_co_u32_e32 v16, vcc, 0x600, v16
	v_add_u32_e32 v112, 0x180, v112
	s_waitcnt lgkmcnt(0)
	v_mfma_f32_16x16x16bf16_1k v[8:11], v[34:35], v[82:83], v[8:11]
	v_addc_co_u32_e32 v17, vcc, 0, v17, vcc
	v_cmp_le_i32_e32 vcc, s12, v112
	s_or_b64 s[8:9], vcc, s[8:9]
	v_mfma_f32_16x16x16bf16_1k v[4:7], v[50:51], v[82:83], v[4:7]
	v_mfma_f32_16x16x16bf16_1k v[0:3], v[64:65], v[82:83], v[0:3]
	;; [unrolled: 1-line block ×6, first 2 shown]
	ds_read2_b64 v[62:65], v114 offset0:8 offset1:12
	v_mfma_f32_16x16x16bf16_1k v[12:15], v[78:79], v[84:85], v[12:15]
	s_waitcnt lgkmcnt(0)
	v_mfma_f32_16x16x16bf16_1k v[8:11], v[28:29], v[62:63], v[8:11]
	v_mfma_f32_16x16x16bf16_1k v[4:7], v[44:45], v[62:63], v[4:7]
	;; [unrolled: 1-line block ×5, first 2 shown]
	ds_read2_b64 v[26:29], v114 offset0:16 offset1:20
	v_mfma_f32_16x16x16bf16_1k v[4:7], v[42:43], v[64:65], v[4:7]
	v_mfma_f32_16x16x16bf16_1k v[0:3], v[58:59], v[64:65], v[0:3]
	;; [unrolled: 1-line block ×3, first 2 shown]
	s_waitcnt lgkmcnt(0)
	v_mfma_f32_16x16x16bf16_1k v[8:11], v[24:25], v[26:27], v[8:11]
	v_mfma_f32_16x16x16bf16_1k v[4:7], v[40:41], v[26:27], v[4:7]
	;; [unrolled: 1-line block ×5, first 2 shown]
	ds_read2_b64 v[22:25], v114 offset0:24 offset1:28
	v_mfma_f32_16x16x16bf16_1k v[4:7], v[38:39], v[28:29], v[4:7]
	v_mfma_f32_16x16x16bf16_1k v[0:3], v[54:55], v[28:29], v[0:3]
	;; [unrolled: 1-line block ×3, first 2 shown]
	s_waitcnt lgkmcnt(0)
	v_mfma_f32_16x16x16bf16_1k v[8:11], v[20:21], v[22:23], v[8:11]
	v_mfma_f32_16x16x16bf16_1k v[4:7], v[36:37], v[22:23], v[4:7]
	;; [unrolled: 1-line block ×8, first 2 shown]
	s_andn2_b64 exec, exec, s[8:9]
	s_cbranch_execz .LBB138_149
.LBB138_6:                              ; =>This Inner Loop Header: Depth=1
	v_add_co_u32_e32 v18, vcc, s60, v16
	v_addc_co_u32_e32 v19, vcc, v17, v117, vcc
	global_load_dword v30, v[16:17], off
	global_load_dword v31, v[18:19], off
	v_add_u32_e32 v18, s7, v112
	v_ashrrev_i32_e32 v19, 31, v18
	v_readlane_b32 s62, v119, 11
	v_lshlrev_b64 v[18:19], 2, v[18:19]
	v_add_u32_e32 v20, s62, v112
	v_add_co_u32_e32 v18, vcc, s0, v18
	v_ashrrev_i32_e32 v21, 31, v20
	v_addc_co_u32_e32 v19, vcc, v115, v19, vcc
	v_lshlrev_b64 v[20:21], 2, v[20:21]
	v_add_u32_e32 v22, s65, v112
	v_add_co_u32_e32 v20, vcc, s0, v20
	v_ashrrev_i32_e32 v23, 31, v22
	v_readlane_b32 s62, v119, 12
	v_addc_co_u32_e32 v21, vcc, v115, v21, vcc
	v_lshlrev_b64 v[22:23], 2, v[22:23]
	v_add_u32_e32 v24, s62, v112
	v_add_co_u32_e32 v22, vcc, s0, v22
	v_ashrrev_i32_e32 v25, 31, v24
	v_readlane_b32 s62, v119, 13
	;; [unrolled: 6-line block ×3, first 2 shown]
	v_addc_co_u32_e32 v25, vcc, v115, v25, vcc
	v_lshlrev_b64 v[26:27], 2, v[26:27]
	v_add_u32_e32 v28, s62, v112
	v_add_co_u32_e32 v26, vcc, s0, v26
	v_ashrrev_i32_e32 v29, 31, v28
	v_addc_co_u32_e32 v27, vcc, v115, v27, vcc
	v_lshlrev_b64 v[28:29], 2, v[28:29]
	v_add_co_u32_e32 v28, vcc, s0, v28
	v_addc_co_u32_e32 v29, vcc, v115, v29, vcc
	global_load_dword v32, v[18:19], off
	global_load_dword v33, v[20:21], off
	;; [unrolled: 1-line block ×3, first 2 shown]
	s_nop 0
	global_load_dword v24, v[24:25], off
	s_nop 0
	global_load_dword v25, v[26:27], off
	;; [unrolled: 2-line block ×3, first 2 shown]
	v_add_u32_e32 v18, s69, v112
	v_readlane_b32 s62, v119, 15
	v_ashrrev_i32_e32 v19, 31, v18
	v_add_u32_e32 v20, s62, v112
	v_lshlrev_b64 v[18:19], 2, v[18:19]
	v_readlane_b32 s62, v119, 16
	v_ashrrev_i32_e32 v21, 31, v20
	v_add_co_u32_e32 v18, vcc, s0, v18
	v_add_u32_e32 v22, s62, v112
	v_lshlrev_b64 v[20:21], 2, v[20:21]
	v_addc_co_u32_e32 v19, vcc, v115, v19, vcc
	v_ashrrev_i32_e32 v23, 31, v22
	v_add_co_u32_e32 v20, vcc, s0, v20
	v_readlane_b32 s62, v119, 17
	v_lshlrev_b64 v[22:23], 2, v[22:23]
	v_addc_co_u32_e32 v21, vcc, v115, v21, vcc
	global_load_dword v18, v[18:19], off
	s_nop 0
	global_load_dword v19, v[20:21], off
	v_add_u32_e32 v20, s62, v112
	v_add_co_u32_e32 v22, vcc, s0, v22
	v_ashrrev_i32_e32 v21, 31, v20
	v_addc_co_u32_e32 v23, vcc, v115, v23, vcc
	v_lshlrev_b64 v[20:21], 2, v[20:21]
	v_readlane_b32 s62, v119, 18
	v_add_u32_e32 v58, s29, v112
	v_ashrrev_i32_e32 v59, 31, v58
	v_lshlrev_b64 v[58:59], 2, v[58:59]
	v_mov_b32_e32 v106, 0
	v_mov_b32_e32 v107, 0
	s_waitcnt vmcnt(9)
	ds_write_b32 v113, v30
	s_waitcnt vmcnt(8)
	ds_write_b32 v113, v31 offset:264
	s_waitcnt vmcnt(7)
	ds_write_b32 v113, v32 offset:528
	;; [unrolled: 2-line block ×7, first 2 shown]
	v_add_co_u32_e32 v24, vcc, s0, v20
	v_add_u32_e32 v20, s62, v112
	v_addc_co_u32_e32 v25, vcc, v115, v21, vcc
	v_ashrrev_i32_e32 v21, 31, v20
	v_lshlrev_b64 v[20:21], 2, v[20:21]
	v_readlane_b32 s62, v119, 19
	v_add_co_u32_e32 v26, vcc, s0, v20
	v_add_u32_e32 v20, s62, v112
	v_addc_co_u32_e32 v27, vcc, v115, v21, vcc
	v_ashrrev_i32_e32 v21, 31, v20
	v_lshlrev_b64 v[20:21], 2, v[20:21]
	v_readlane_b32 s62, v119, 20
	;; [unrolled: 6-line block ×3, first 2 shown]
	v_add_co_u32_e32 v30, vcc, s0, v20
	v_add_u32_e32 v20, s62, v112
	v_addc_co_u32_e32 v31, vcc, v115, v21, vcc
	v_ashrrev_i32_e32 v21, 31, v20
	v_lshlrev_b64 v[20:21], 2, v[20:21]
	v_add_co_u32_e32 v32, vcc, s0, v20
	v_add_u32_e32 v20, s77, v112
	v_addc_co_u32_e32 v33, vcc, v115, v21, vcc
	v_ashrrev_i32_e32 v21, 31, v20
	v_lshlrev_b64 v[20:21], 2, v[20:21]
	v_readlane_b32 s62, v119, 22
	v_add_co_u32_e32 v34, vcc, s0, v20
	v_add_u32_e32 v20, s62, v112
	v_addc_co_u32_e32 v35, vcc, v115, v21, vcc
	v_ashrrev_i32_e32 v21, 31, v20
	v_lshlrev_b64 v[20:21], 2, v[20:21]
	v_add_co_u32_e32 v36, vcc, s0, v20
	v_readlane_b32 s62, v119, 23
	v_addc_co_u32_e32 v37, vcc, v115, v21, vcc
	global_load_dword v20, v[22:23], off
	global_load_dword v21, v[24:25], off
	s_nop 0
	global_load_dword v22, v[26:27], off
	global_load_dword v23, v[28:29], off
	;; [unrolled: 1-line block ×4, first 2 shown]
	s_nop 0
	global_load_dword v32, v[34:35], off
	global_load_dword v33, v[36:37], off
	v_add_u32_e32 v26, s62, v112
	v_ashrrev_i32_e32 v27, 31, v26
	v_readlane_b32 s62, v119, 24
	v_lshlrev_b64 v[26:27], 2, v[26:27]
	v_add_u32_e32 v28, s62, v112
	v_add_co_u32_e32 v26, vcc, s0, v26
	v_ashrrev_i32_e32 v29, 31, v28
	v_readlane_b32 s62, v119, 25
	v_addc_co_u32_e32 v27, vcc, v115, v27, vcc
	v_lshlrev_b64 v[28:29], 2, v[28:29]
	v_add_u32_e32 v30, s62, v112
	v_add_co_u32_e32 v28, vcc, s0, v28
	v_ashrrev_i32_e32 v31, 31, v30
	v_readlane_b32 s62, v119, 26
	v_addc_co_u32_e32 v29, vcc, v115, v29, vcc
	;; [unrolled: 6-line block ×3, first 2 shown]
	v_lshlrev_b64 v[34:35], 2, v[34:35]
	v_add_u32_e32 v36, s62, v112
	v_add_co_u32_e32 v34, vcc, s0, v34
	v_ashrrev_i32_e32 v37, 31, v36
	v_addc_co_u32_e32 v35, vcc, v115, v35, vcc
	v_lshlrev_b64 v[36:37], 2, v[36:37]
	v_readlane_b32 s62, v119, 28
	v_add_co_u32_e32 v40, vcc, s0, v36
	v_add_u32_e32 v36, s62, v112
	v_addc_co_u32_e32 v41, vcc, v115, v37, vcc
	v_ashrrev_i32_e32 v37, 31, v36
	v_lshlrev_b64 v[36:37], 2, v[36:37]
	v_readlane_b32 s62, v119, 29
	v_add_co_u32_e32 v42, vcc, s0, v36
	v_add_u32_e32 v36, s62, v112
	v_addc_co_u32_e32 v43, vcc, v115, v37, vcc
	v_ashrrev_i32_e32 v37, 31, v36
	v_lshlrev_b64 v[36:37], 2, v[36:37]
	v_add_co_u32_e32 v44, vcc, s0, v36
	v_add_u32_e32 v36, s86, v112
	v_addc_co_u32_e32 v45, vcc, v115, v37, vcc
	v_ashrrev_i32_e32 v37, 31, v36
	v_lshlrev_b64 v[36:37], 2, v[36:37]
	v_add_co_u32_e32 v46, vcc, s0, v36
	v_addc_co_u32_e32 v47, vcc, v115, v37, vcc
	global_load_dword v36, v[26:27], off
	global_load_dword v37, v[28:29], off
	;; [unrolled: 1-line block ×4, first 2 shown]
	s_nop 0
	global_load_dword v40, v[40:41], off
	s_nop 0
	global_load_dword v41, v[42:43], off
	;; [unrolled: 2-line block ×3, first 2 shown]
	global_load_dword v43, v[46:47], off
	v_add_u32_e32 v26, s87, v112
	v_ashrrev_i32_e32 v27, 31, v26
	v_lshlrev_b64 v[26:27], 2, v[26:27]
	v_add_u32_e32 v28, s88, v112
	v_add_co_u32_e32 v26, vcc, s0, v26
	v_ashrrev_i32_e32 v29, 31, v28
	v_addc_co_u32_e32 v27, vcc, v115, v27, vcc
	v_lshlrev_b64 v[28:29], 2, v[28:29]
	v_add_u32_e32 v30, s89, v112
	v_add_co_u32_e32 v28, vcc, s0, v28
	v_ashrrev_i32_e32 v31, 31, v30
	v_addc_co_u32_e32 v29, vcc, v115, v29, vcc
	;; [unrolled: 5-line block ×4, first 2 shown]
	v_lshlrev_b64 v[44:45], 2, v[44:45]
	v_add_co_u32_e32 v48, vcc, s0, v44
	v_add_u32_e32 v44, s61, v112
	v_addc_co_u32_e32 v49, vcc, v115, v45, vcc
	v_ashrrev_i32_e32 v45, 31, v44
	v_lshlrev_b64 v[44:45], 2, v[44:45]
	v_add_co_u32_e32 v52, vcc, s0, v44
	v_add_u32_e32 v44, s92, v112
	v_addc_co_u32_e32 v53, vcc, v115, v45, vcc
	v_ashrrev_i32_e32 v45, 31, v44
	;; [unrolled: 5-line block ×3, first 2 shown]
	v_lshlrev_b64 v[44:45], 2, v[44:45]
	v_add_co_u32_e32 v56, vcc, s0, v44
	v_addc_co_u32_e32 v57, vcc, v115, v45, vcc
	global_load_dword v44, v[26:27], off
	global_load_dword v45, v[28:29], off
	;; [unrolled: 1-line block ×6, first 2 shown]
	s_nop 0
	global_load_dword v48, v[54:55], off
	global_load_dword v49, v[56:57], off
	v_add_u32_e32 v26, s94, v112
	v_ashrrev_i32_e32 v27, 31, v26
	v_lshlrev_b64 v[26:27], 2, v[26:27]
	v_add_u32_e32 v28, s95, v112
	v_add_co_u32_e32 v26, vcc, s0, v26
	v_ashrrev_i32_e32 v29, 31, v28
	v_addc_co_u32_e32 v27, vcc, v115, v27, vcc
	v_lshlrev_b64 v[28:29], 2, v[28:29]
	v_add_u32_e32 v30, s24, v112
	v_add_co_u32_e32 v28, vcc, s0, v28
	v_ashrrev_i32_e32 v31, 31, v30
	v_addc_co_u32_e32 v29, vcc, v115, v29, vcc
	;; [unrolled: 5-line block ×6, first 2 shown]
	v_lshlrev_b64 v[56:57], 2, v[56:57]
	v_add_co_u32_e32 v56, vcc, s0, v56
	v_addc_co_u32_e32 v57, vcc, v115, v57, vcc
	v_add_co_u32_e32 v58, vcc, s0, v58
	v_addc_co_u32_e32 v59, vcc, v115, v59, vcc
	global_load_dword v60, v[26:27], off
	global_load_dword v61, v[28:29], off
	;; [unrolled: 1-line block ×8, first 2 shown]
	v_add_u32_e32 v26, s3, v112
	v_ashrrev_i32_e32 v27, 31, v26
	v_lshlrev_b64 v[26:27], 2, v[26:27]
	v_add_u32_e32 v28, s30, v112
	v_add_co_u32_e32 v26, vcc, s0, v26
	v_ashrrev_i32_e32 v29, 31, v28
	v_addc_co_u32_e32 v27, vcc, v115, v27, vcc
	v_lshlrev_b64 v[28:29], 2, v[28:29]
	v_add_u32_e32 v30, s31, v112
	v_add_co_u32_e32 v28, vcc, s0, v28
	v_ashrrev_i32_e32 v31, 31, v30
	v_addc_co_u32_e32 v29, vcc, v115, v29, vcc
	;; [unrolled: 5-line block ×7, first 2 shown]
	v_lshlrev_b64 v[58:59], 2, v[58:59]
	v_add_co_u32_e32 v58, vcc, s0, v58
	v_addc_co_u32_e32 v59, vcc, v115, v59, vcc
	global_load_dword v68, v[26:27], off
	global_load_dword v69, v[28:29], off
	;; [unrolled: 1-line block ×8, first 2 shown]
	v_add_u32_e32 v26, s68, v112
	v_ashrrev_i32_e32 v27, 31, v26
	v_lshlrev_b64 v[26:27], 2, v[26:27]
	v_add_u32_e32 v28, s70, v112
	v_add_co_u32_e32 v26, vcc, s0, v26
	v_ashrrev_i32_e32 v29, 31, v28
	v_addc_co_u32_e32 v27, vcc, v115, v27, vcc
	v_lshlrev_b64 v[28:29], 2, v[28:29]
	v_add_u32_e32 v30, s71, v112
	v_add_co_u32_e32 v28, vcc, s0, v28
	v_ashrrev_i32_e32 v31, 31, v30
	v_addc_co_u32_e32 v29, vcc, v115, v29, vcc
	;; [unrolled: 5-line block ×7, first 2 shown]
	v_lshlrev_b64 v[58:59], 2, v[58:59]
	v_add_co_u32_e32 v58, vcc, s0, v58
	v_addc_co_u32_e32 v59, vcc, v115, v59, vcc
	global_load_dword v76, v[26:27], off
	global_load_dword v77, v[28:29], off
	;; [unrolled: 1-line block ×8, first 2 shown]
	v_add_u32_e32 v26, s78, v112
	v_ashrrev_i32_e32 v27, 31, v26
	v_lshlrev_b64 v[26:27], 2, v[26:27]
	v_add_u32_e32 v28, s79, v112
	v_add_co_u32_e32 v26, vcc, s0, v26
	v_ashrrev_i32_e32 v29, 31, v28
	v_addc_co_u32_e32 v27, vcc, v115, v27, vcc
	v_lshlrev_b64 v[28:29], 2, v[28:29]
	v_add_u32_e32 v30, s80, v112
	v_add_co_u32_e32 v28, vcc, s0, v28
	v_ashrrev_i32_e32 v31, 31, v30
	v_addc_co_u32_e32 v29, vcc, v115, v29, vcc
	;; [unrolled: 5-line block ×5, first 2 shown]
	v_lshlrev_b64 v[54:55], 2, v[54:55]
	v_add_co_u32_e32 v54, vcc, s0, v54
	v_addc_co_u32_e32 v55, vcc, v115, v55, vcc
	global_load_dword v84, v[26:27], off
	global_load_dword v85, v[28:29], off
	global_load_dword v86, v[30:31], off
	global_load_dword v87, v[34:35], off
	global_load_dword v88, v[52:53], off
	global_load_dword v89, v[54:55], off
	s_waitcnt vmcnt(55)
	ds_write_b32 v113, v18 offset:2112
	s_waitcnt vmcnt(54)
	ds_write_b32 v113, v19 offset:2376
	s_waitcnt vmcnt(53)
	ds_write_b32 v113, v20 offset:2640
	s_waitcnt vmcnt(52)
	ds_write_b32 v113, v21 offset:2904
	s_waitcnt vmcnt(51)
	ds_write_b32 v113, v22 offset:3168
	s_waitcnt vmcnt(50)
	ds_write_b32 v113, v23 offset:3432
	s_waitcnt vmcnt(49)
	ds_write_b32 v113, v24 offset:3696
	s_waitcnt vmcnt(48)
	ds_write_b32 v113, v25 offset:3960
	ds_read_b64 v[34:35], v114
	ds_read_b64 v[30:31], v114 offset:32
	ds_read_b64 v[28:29], v114 offset:64
	ds_read_b64 v[26:27], v114 offset:96
	ds_read_b64 v[24:25], v114 offset:128
	ds_read_b64 v[22:23], v114 offset:160
	ds_read_b64 v[20:21], v114 offset:192
	ds_read_b64 v[18:19], v114 offset:224
	s_waitcnt vmcnt(47)
	ds_write_b32 v113, v32
	s_waitcnt vmcnt(46)
	ds_write_b32 v113, v33 offset:264
	s_waitcnt vmcnt(45)
	ds_write_b32 v113, v36 offset:528
	s_waitcnt vmcnt(44)
	ds_write_b32 v113, v37 offset:792
	s_waitcnt vmcnt(43)
	ds_write_b32 v113, v38 offset:1056
	s_waitcnt vmcnt(42)
	ds_write_b32 v113, v39 offset:1320
	s_waitcnt vmcnt(41)
	ds_write_b32 v113, v40 offset:1584
	s_waitcnt vmcnt(40)
	ds_write_b32 v113, v41 offset:1848
	s_waitcnt vmcnt(39)
	ds_write_b32 v113, v42 offset:2112
	s_waitcnt vmcnt(38)
	ds_write_b32 v113, v43 offset:2376
	s_waitcnt vmcnt(37)
	ds_write_b32 v113, v44 offset:2640
	s_waitcnt vmcnt(36)
	ds_write_b32 v113, v45 offset:2904
	s_waitcnt vmcnt(35)
	ds_write_b32 v113, v46 offset:3168
	s_waitcnt vmcnt(34)
	ds_write_b32 v113, v47 offset:3432
	s_waitcnt vmcnt(33)
	ds_write_b32 v113, v50 offset:3696
	s_waitcnt vmcnt(32)
	ds_write_b32 v113, v51 offset:3960
	ds_read_b64 v[50:51], v114
	ds_read_b64 v[46:47], v114 offset:32
	ds_read_b64 v[44:45], v114 offset:64
	ds_read_b64 v[42:43], v114 offset:96
	ds_read_b64 v[40:41], v114 offset:128
	ds_read_b64 v[38:39], v114 offset:160
	ds_read_b64 v[36:37], v114 offset:192
	ds_read_b64 v[32:33], v114 offset:224
	s_waitcnt vmcnt(31)
	ds_write_b32 v113, v48
	s_waitcnt vmcnt(30)
	ds_write_b32 v113, v49 offset:264
	s_waitcnt vmcnt(29)
	ds_write_b32 v113, v60 offset:528
	s_waitcnt vmcnt(28)
	ds_write_b32 v113, v61 offset:792
	s_waitcnt vmcnt(27)
	ds_write_b32 v113, v62 offset:1056
	s_waitcnt vmcnt(26)
	ds_write_b32 v113, v63 offset:1320
	s_waitcnt vmcnt(25)
	ds_write_b32 v113, v64 offset:1584
	s_waitcnt vmcnt(24)
	ds_write_b32 v113, v65 offset:1848
	;; [unrolled: 40-line block ×3, first 2 shown]
	s_waitcnt vmcnt(7)
	ds_write_b32 v113, v82 offset:2112
	s_waitcnt vmcnt(6)
	ds_write_b32 v113, v83 offset:2376
	;; [unrolled: 2-line block ×8, first 2 shown]
	ds_read_b64 v[80:81], v114
	ds_read_b64 v[78:79], v114 offset:32
	ds_read_b64 v[76:77], v114 offset:64
	;; [unrolled: 1-line block ×7, first 2 shown]
	s_andn2_b64 vcc, exec, s[4:5]
	s_cbranch_vccnz .LBB138_9
; %bb.7:                                ;   in Loop: Header=BB138_6 Depth=1
	s_load_dword s62, s[34:35], 0x0
	v_mov_b32_e32 v107, 0
	v_mov_b32_e32 v106, 0
	s_waitcnt lgkmcnt(0)
	s_mul_hi_u32 s63, s62, s16
	s_add_i32 s63, s62, s63
	s_lshr_b32 s63, s63, s17
	s_cmp_ge_i32 s63, s13
	s_cbranch_scc1 .LBB138_9
; %bb.8:                                ;   in Loop: Header=BB138_6 Depth=1
	s_mul_i32 vcc_lo, s63, s18
	s_sub_i32 s62, s62, vcc_lo
	s_mul_i32 s63, s63, s20
	s_mul_i32 s62, s62, s1
	v_add_u32_e32 v82, s63, v112
	v_lshl_add_u32 v82, v82, 1, s62
	v_ashrrev_i32_e32 v83, 31, v82
	v_lshlrev_b64 v[82:83], 2, v[82:83]
	v_mov_b32_e32 v84, s11
	v_add_co_u32_e32 v82, vcc, s10, v82
	v_addc_co_u32_e32 v83, vcc, v84, v83, vcc
	global_load_dwordx2 v[106:107], v[82:83], off
.LBB138_9:                              ;   in Loop: Header=BB138_6 Depth=1
	s_andn2_b64 vcc, exec, s[36:37]
	v_mov_b32_e32 v100, 0
	v_mov_b32_e32 v104, 0
	v_mov_b32_e32 v105, 0
	s_cbranch_vccnz .LBB138_12
; %bb.10:                               ;   in Loop: Header=BB138_6 Depth=1
	s_load_dword s62, s[34:35], 0x4
	v_mov_b32_e32 v105, 0
	v_mov_b32_e32 v104, 0
	s_waitcnt lgkmcnt(0)
	s_mul_hi_u32 s63, s62, s16
	s_add_i32 s63, s62, s63
	s_lshr_b32 s63, s63, s17
	s_cmp_ge_i32 s63, s13
	s_cbranch_scc1 .LBB138_12
; %bb.11:                               ;   in Loop: Header=BB138_6 Depth=1
	s_mul_i32 vcc_lo, s63, s18
	s_sub_i32 s62, s62, vcc_lo
	s_mul_i32 s63, s63, s20
	s_mul_i32 s62, s62, s1
	v_add_u32_e32 v82, s63, v112
	v_lshl_add_u32 v82, v82, 1, s62
	v_ashrrev_i32_e32 v83, 31, v82
	v_lshlrev_b64 v[82:83], 2, v[82:83]
	v_mov_b32_e32 v84, s11
	v_add_co_u32_e32 v82, vcc, s10, v82
	v_addc_co_u32_e32 v83, vcc, v84, v83, vcc
	global_load_dwordx2 v[104:105], v[82:83], off
.LBB138_12:                             ;   in Loop: Header=BB138_6 Depth=1
	s_andn2_b64 vcc, exec, s[38:39]
	v_mov_b32_e32 v101, 0
	s_cbranch_vccnz .LBB138_15
; %bb.13:                               ;   in Loop: Header=BB138_6 Depth=1
	s_load_dword s62, s[34:35], 0x8
	v_mov_b32_e32 v101, 0
	v_mov_b32_e32 v100, 0
	s_waitcnt lgkmcnt(0)
	s_mul_hi_u32 s63, s62, s16
	s_add_i32 s63, s62, s63
	s_lshr_b32 s63, s63, s17
	s_cmp_ge_i32 s63, s13
	s_cbranch_scc1 .LBB138_15
; %bb.14:                               ;   in Loop: Header=BB138_6 Depth=1
	s_mul_i32 vcc_lo, s63, s18
	s_sub_i32 s62, s62, vcc_lo
	s_mul_i32 s63, s63, s20
	s_mul_i32 s62, s62, s1
	v_add_u32_e32 v82, s63, v112
	v_lshl_add_u32 v82, v82, 1, s62
	v_ashrrev_i32_e32 v83, 31, v82
	v_lshlrev_b64 v[82:83], 2, v[82:83]
	v_mov_b32_e32 v84, s11
	v_add_co_u32_e32 v82, vcc, s10, v82
	v_addc_co_u32_e32 v83, vcc, v84, v83, vcc
	global_load_dwordx2 v[100:101], v[82:83], off
.LBB138_15:                             ;   in Loop: Header=BB138_6 Depth=1
	s_andn2_b64 vcc, exec, s[40:41]
	v_mov_b32_e32 v96, 0
	v_mov_b32_e32 v102, 0
	v_mov_b32_e32 v103, 0
	s_cbranch_vccnz .LBB138_18
; %bb.16:                               ;   in Loop: Header=BB138_6 Depth=1
	s_load_dword s62, s[34:35], 0xc
	v_mov_b32_e32 v103, 0
	v_mov_b32_e32 v102, 0
	s_waitcnt lgkmcnt(0)
	s_mul_hi_u32 s63, s62, s16
	s_add_i32 s63, s62, s63
	s_lshr_b32 s63, s63, s17
	s_cmp_ge_i32 s63, s13
	s_cbranch_scc1 .LBB138_18
; %bb.17:                               ;   in Loop: Header=BB138_6 Depth=1
	s_mul_i32 vcc_lo, s63, s18
	s_sub_i32 s62, s62, vcc_lo
	s_mul_i32 s63, s63, s20
	s_mul_i32 s62, s62, s1
	v_add_u32_e32 v82, s63, v112
	v_lshl_add_u32 v82, v82, 1, s62
	v_ashrrev_i32_e32 v83, 31, v82
	v_lshlrev_b64 v[82:83], 2, v[82:83]
	v_mov_b32_e32 v84, s11
	v_add_co_u32_e32 v82, vcc, s10, v82
	v_addc_co_u32_e32 v83, vcc, v84, v83, vcc
	global_load_dwordx2 v[102:103], v[82:83], off
.LBB138_18:                             ;   in Loop: Header=BB138_6 Depth=1
	s_andn2_b64 vcc, exec, s[42:43]
	v_mov_b32_e32 v97, 0
	s_cbranch_vccnz .LBB138_21
; %bb.19:                               ;   in Loop: Header=BB138_6 Depth=1
	s_load_dword s62, s[34:35], 0x10
	v_mov_b32_e32 v97, 0
	v_mov_b32_e32 v96, 0
	s_waitcnt lgkmcnt(0)
	s_mul_hi_u32 s63, s62, s16
	s_add_i32 s63, s62, s63
	s_lshr_b32 s63, s63, s17
	s_cmp_ge_i32 s63, s13
	s_cbranch_scc1 .LBB138_21
; %bb.20:                               ;   in Loop: Header=BB138_6 Depth=1
	s_mul_i32 vcc_lo, s63, s18
	s_sub_i32 s62, s62, vcc_lo
	s_mul_i32 s63, s63, s20
	s_mul_i32 s62, s62, s1
	v_add_u32_e32 v82, s63, v112
	v_lshl_add_u32 v82, v82, 1, s62
	v_ashrrev_i32_e32 v83, 31, v82
	v_lshlrev_b64 v[82:83], 2, v[82:83]
	v_mov_b32_e32 v84, s11
	v_add_co_u32_e32 v82, vcc, s10, v82
	v_addc_co_u32_e32 v83, vcc, v84, v83, vcc
	global_load_dwordx2 v[96:97], v[82:83], off
.LBB138_21:                             ;   in Loop: Header=BB138_6 Depth=1
	;; [unrolled: 56-line block ×6, first 2 shown]
	s_waitcnt vmcnt(0)
	v_and_b32_e32 v118, 0x7f800000, v106
	v_cmp_ne_u32_e32 vcc, s83, v118
                                        ; implicit-def: $vgpr118
	s_and_saveexec_b64 s[62:63], vcc
	s_xor_b64 s[62:63], exec, s[62:63]
; %bb.46:                               ;   in Loop: Header=BB138_6 Depth=1
	v_bfe_u32 v118, v106, 16, 1
	v_add3_u32 v118, v106, v118, s84
; %bb.47:                               ;   in Loop: Header=BB138_6 Depth=1
	s_andn2_saveexec_b64 s[62:63], s[62:63]
; %bb.48:                               ;   in Loop: Header=BB138_6 Depth=1
	v_or_b32_e32 v118, 0x10000, v106
	v_cmp_eq_u32_sdwa vcc, v106, v116 src0_sel:WORD_0 src1_sel:DWORD
	v_cndmask_b32_e32 v118, v118, v106, vcc
; %bb.49:                               ;   in Loop: Header=BB138_6 Depth=1
	s_or_b64 exec, exec, s[62:63]
	v_and_b32_e32 v106, 0x7f800000, v107
	v_cmp_ne_u32_e32 vcc, s83, v106
                                        ; implicit-def: $vgpr106
	s_and_saveexec_b64 s[62:63], vcc
	s_xor_b64 s[62:63], exec, s[62:63]
; %bb.50:                               ;   in Loop: Header=BB138_6 Depth=1
	v_bfe_u32 v106, v107, 16, 1
	v_add3_u32 v106, v107, v106, s84
                                        ; implicit-def: $vgpr107
; %bb.51:                               ;   in Loop: Header=BB138_6 Depth=1
	s_andn2_saveexec_b64 s[62:63], s[62:63]
; %bb.52:                               ;   in Loop: Header=BB138_6 Depth=1
	v_or_b32_e32 v106, 0x10000, v107
	v_cmp_eq_u32_sdwa vcc, v107, v116 src0_sel:WORD_0 src1_sel:DWORD
	v_cndmask_b32_e32 v106, v106, v107, vcc
; %bb.53:                               ;   in Loop: Header=BB138_6 Depth=1
	s_or_b64 exec, exec, s[62:63]
	v_perm_b32 v106, v106, v118, s85
	ds_write_b32 v113, v106
	v_and_b32_e32 v106, 0x7f800000, v104
	v_cmp_ne_u32_e32 vcc, s83, v106
                                        ; implicit-def: $vgpr106
	s_and_saveexec_b64 s[62:63], vcc
	s_xor_b64 s[62:63], exec, s[62:63]
; %bb.54:                               ;   in Loop: Header=BB138_6 Depth=1
	v_bfe_u32 v106, v104, 16, 1
	v_add3_u32 v106, v104, v106, s84
; %bb.55:                               ;   in Loop: Header=BB138_6 Depth=1
	s_andn2_saveexec_b64 s[62:63], s[62:63]
; %bb.56:                               ;   in Loop: Header=BB138_6 Depth=1
	v_or_b32_e32 v106, 0x10000, v104
	v_cmp_eq_u32_sdwa vcc, v104, v116 src0_sel:WORD_0 src1_sel:DWORD
	v_cndmask_b32_e32 v106, v106, v104, vcc
; %bb.57:                               ;   in Loop: Header=BB138_6 Depth=1
	s_or_b64 exec, exec, s[62:63]
	v_and_b32_e32 v104, 0x7f800000, v105
	v_cmp_ne_u32_e32 vcc, s83, v104
                                        ; implicit-def: $vgpr104
	s_and_saveexec_b64 s[62:63], vcc
	s_xor_b64 s[62:63], exec, s[62:63]
; %bb.58:                               ;   in Loop: Header=BB138_6 Depth=1
	v_bfe_u32 v104, v105, 16, 1
	v_add3_u32 v104, v105, v104, s84
                                        ; implicit-def: $vgpr105
; %bb.59:                               ;   in Loop: Header=BB138_6 Depth=1
	s_andn2_saveexec_b64 s[62:63], s[62:63]
; %bb.60:                               ;   in Loop: Header=BB138_6 Depth=1
	v_or_b32_e32 v104, 0x10000, v105
	v_cmp_eq_u32_sdwa vcc, v105, v116 src0_sel:WORD_0 src1_sel:DWORD
	v_cndmask_b32_e32 v104, v104, v105, vcc
; %bb.61:                               ;   in Loop: Header=BB138_6 Depth=1
	s_or_b64 exec, exec, s[62:63]
	v_perm_b32 v104, v104, v106, s85
	ds_write_b32 v113, v104 offset:264
	v_and_b32_e32 v104, 0x7f800000, v100
	v_cmp_ne_u32_e32 vcc, s83, v104
                                        ; implicit-def: $vgpr104
	s_and_saveexec_b64 s[62:63], vcc
	s_xor_b64 s[62:63], exec, s[62:63]
; %bb.62:                               ;   in Loop: Header=BB138_6 Depth=1
	v_bfe_u32 v104, v100, 16, 1
	v_add3_u32 v104, v100, v104, s84
; %bb.63:                               ;   in Loop: Header=BB138_6 Depth=1
	s_andn2_saveexec_b64 s[62:63], s[62:63]
; %bb.64:                               ;   in Loop: Header=BB138_6 Depth=1
	v_or_b32_e32 v104, 0x10000, v100
	v_cmp_eq_u32_sdwa vcc, v100, v116 src0_sel:WORD_0 src1_sel:DWORD
	v_cndmask_b32_e32 v104, v104, v100, vcc
; %bb.65:                               ;   in Loop: Header=BB138_6 Depth=1
	s_or_b64 exec, exec, s[62:63]
	v_and_b32_e32 v100, 0x7f800000, v101
	v_cmp_ne_u32_e32 vcc, s83, v100
                                        ; implicit-def: $vgpr100
	s_and_saveexec_b64 s[62:63], vcc
	s_xor_b64 s[62:63], exec, s[62:63]
; %bb.66:                               ;   in Loop: Header=BB138_6 Depth=1
	v_bfe_u32 v100, v101, 16, 1
	v_add3_u32 v100, v101, v100, s84
                                        ; implicit-def: $vgpr101
; %bb.67:                               ;   in Loop: Header=BB138_6 Depth=1
	s_andn2_saveexec_b64 s[62:63], s[62:63]
; %bb.68:                               ;   in Loop: Header=BB138_6 Depth=1
	v_or_b32_e32 v100, 0x10000, v101
	v_cmp_eq_u32_sdwa vcc, v101, v116 src0_sel:WORD_0 src1_sel:DWORD
	v_cndmask_b32_e32 v100, v100, v101, vcc
; %bb.69:                               ;   in Loop: Header=BB138_6 Depth=1
	s_or_b64 exec, exec, s[62:63]
	v_perm_b32 v100, v100, v104, s85
	ds_write_b32 v113, v100 offset:528
	v_and_b32_e32 v100, 0x7f800000, v102
	v_cmp_ne_u32_e32 vcc, s83, v100
                                        ; implicit-def: $vgpr100
	s_and_saveexec_b64 s[62:63], vcc
	s_xor_b64 s[62:63], exec, s[62:63]
; %bb.70:                               ;   in Loop: Header=BB138_6 Depth=1
	v_bfe_u32 v100, v102, 16, 1
	v_add3_u32 v100, v102, v100, s84
; %bb.71:                               ;   in Loop: Header=BB138_6 Depth=1
	s_andn2_saveexec_b64 s[62:63], s[62:63]
; %bb.72:                               ;   in Loop: Header=BB138_6 Depth=1
	v_or_b32_e32 v100, 0x10000, v102
	v_cmp_eq_u32_sdwa vcc, v102, v116 src0_sel:WORD_0 src1_sel:DWORD
	v_cndmask_b32_e32 v100, v100, v102, vcc
; %bb.73:                               ;   in Loop: Header=BB138_6 Depth=1
	s_or_b64 exec, exec, s[62:63]
	v_and_b32_e32 v101, 0x7f800000, v103
	v_cmp_ne_u32_e32 vcc, s83, v101
                                        ; implicit-def: $vgpr101
	s_and_saveexec_b64 s[62:63], vcc
	s_xor_b64 s[62:63], exec, s[62:63]
; %bb.74:                               ;   in Loop: Header=BB138_6 Depth=1
	v_bfe_u32 v101, v103, 16, 1
	v_add3_u32 v101, v103, v101, s84
                                        ; implicit-def: $vgpr103
; %bb.75:                               ;   in Loop: Header=BB138_6 Depth=1
	s_andn2_saveexec_b64 s[62:63], s[62:63]
; %bb.76:                               ;   in Loop: Header=BB138_6 Depth=1
	v_or_b32_e32 v101, 0x10000, v103
	v_cmp_eq_u32_sdwa vcc, v103, v116 src0_sel:WORD_0 src1_sel:DWORD
	v_cndmask_b32_e32 v101, v101, v103, vcc
; %bb.77:                               ;   in Loop: Header=BB138_6 Depth=1
	s_or_b64 exec, exec, s[62:63]
	v_perm_b32 v100, v101, v100, s85
	ds_write_b32 v113, v100 offset:792
	v_and_b32_e32 v100, 0x7f800000, v96
	v_cmp_ne_u32_e32 vcc, s83, v100
                                        ; implicit-def: $vgpr100
	s_and_saveexec_b64 s[62:63], vcc
	s_xor_b64 s[62:63], exec, s[62:63]
; %bb.78:                               ;   in Loop: Header=BB138_6 Depth=1
	v_bfe_u32 v100, v96, 16, 1
	v_add3_u32 v100, v96, v100, s84
; %bb.79:                               ;   in Loop: Header=BB138_6 Depth=1
	s_andn2_saveexec_b64 s[62:63], s[62:63]
; %bb.80:                               ;   in Loop: Header=BB138_6 Depth=1
	v_or_b32_e32 v100, 0x10000, v96
	v_cmp_eq_u32_sdwa vcc, v96, v116 src0_sel:WORD_0 src1_sel:DWORD
	v_cndmask_b32_e32 v100, v100, v96, vcc
; %bb.81:                               ;   in Loop: Header=BB138_6 Depth=1
	s_or_b64 exec, exec, s[62:63]
	v_and_b32_e32 v96, 0x7f800000, v97
	v_cmp_ne_u32_e32 vcc, s83, v96
                                        ; implicit-def: $vgpr96
	s_and_saveexec_b64 s[62:63], vcc
	s_xor_b64 s[62:63], exec, s[62:63]
; %bb.82:                               ;   in Loop: Header=BB138_6 Depth=1
	v_bfe_u32 v96, v97, 16, 1
	v_add3_u32 v96, v97, v96, s84
                                        ; implicit-def: $vgpr97
; %bb.83:                               ;   in Loop: Header=BB138_6 Depth=1
	s_andn2_saveexec_b64 s[62:63], s[62:63]
; %bb.84:                               ;   in Loop: Header=BB138_6 Depth=1
	v_or_b32_e32 v96, 0x10000, v97
	v_cmp_eq_u32_sdwa vcc, v97, v116 src0_sel:WORD_0 src1_sel:DWORD
	v_cndmask_b32_e32 v96, v96, v97, vcc
; %bb.85:                               ;   in Loop: Header=BB138_6 Depth=1
	s_or_b64 exec, exec, s[62:63]
	v_perm_b32 v96, v96, v100, s85
	ds_write_b32 v113, v96 offset:1056
	v_and_b32_e32 v96, 0x7f800000, v98
	v_cmp_ne_u32_e32 vcc, s83, v96
                                        ; implicit-def: $vgpr96
	s_and_saveexec_b64 s[62:63], vcc
	s_xor_b64 s[62:63], exec, s[62:63]
; %bb.86:                               ;   in Loop: Header=BB138_6 Depth=1
	v_bfe_u32 v96, v98, 16, 1
	v_add3_u32 v96, v98, v96, s84
; %bb.87:                               ;   in Loop: Header=BB138_6 Depth=1
	s_andn2_saveexec_b64 s[62:63], s[62:63]
; %bb.88:                               ;   in Loop: Header=BB138_6 Depth=1
	v_or_b32_e32 v96, 0x10000, v98
	v_cmp_eq_u32_sdwa vcc, v98, v116 src0_sel:WORD_0 src1_sel:DWORD
	v_cndmask_b32_e32 v96, v96, v98, vcc
; %bb.89:                               ;   in Loop: Header=BB138_6 Depth=1
	s_or_b64 exec, exec, s[62:63]
	v_and_b32_e32 v97, 0x7f800000, v99
	v_cmp_ne_u32_e32 vcc, s83, v97
                                        ; implicit-def: $vgpr97
	s_and_saveexec_b64 s[62:63], vcc
	s_xor_b64 s[62:63], exec, s[62:63]
; %bb.90:                               ;   in Loop: Header=BB138_6 Depth=1
	v_bfe_u32 v97, v99, 16, 1
	v_add3_u32 v97, v99, v97, s84
                                        ; implicit-def: $vgpr99
; %bb.91:                               ;   in Loop: Header=BB138_6 Depth=1
	s_andn2_saveexec_b64 s[62:63], s[62:63]
; %bb.92:                               ;   in Loop: Header=BB138_6 Depth=1
	v_or_b32_e32 v97, 0x10000, v99
	v_cmp_eq_u32_sdwa vcc, v99, v116 src0_sel:WORD_0 src1_sel:DWORD
	v_cndmask_b32_e32 v97, v97, v99, vcc
; %bb.93:                               ;   in Loop: Header=BB138_6 Depth=1
	s_or_b64 exec, exec, s[62:63]
	v_perm_b32 v96, v97, v96, s85
	ds_write_b32 v113, v96 offset:1320
	v_and_b32_e32 v96, 0x7f800000, v92
	v_cmp_ne_u32_e32 vcc, s83, v96
                                        ; implicit-def: $vgpr96
	s_and_saveexec_b64 s[62:63], vcc
	s_xor_b64 s[62:63], exec, s[62:63]
; %bb.94:                               ;   in Loop: Header=BB138_6 Depth=1
	v_bfe_u32 v96, v92, 16, 1
	v_add3_u32 v96, v92, v96, s84
; %bb.95:                               ;   in Loop: Header=BB138_6 Depth=1
	s_andn2_saveexec_b64 s[62:63], s[62:63]
; %bb.96:                               ;   in Loop: Header=BB138_6 Depth=1
	v_or_b32_e32 v96, 0x10000, v92
	v_cmp_eq_u32_sdwa vcc, v92, v116 src0_sel:WORD_0 src1_sel:DWORD
	v_cndmask_b32_e32 v96, v96, v92, vcc
; %bb.97:                               ;   in Loop: Header=BB138_6 Depth=1
	s_or_b64 exec, exec, s[62:63]
	v_and_b32_e32 v92, 0x7f800000, v93
	v_cmp_ne_u32_e32 vcc, s83, v92
                                        ; implicit-def: $vgpr92
	s_and_saveexec_b64 s[62:63], vcc
	s_xor_b64 s[62:63], exec, s[62:63]
; %bb.98:                               ;   in Loop: Header=BB138_6 Depth=1
	v_bfe_u32 v92, v93, 16, 1
	v_add3_u32 v92, v93, v92, s84
                                        ; implicit-def: $vgpr93
; %bb.99:                               ;   in Loop: Header=BB138_6 Depth=1
	s_andn2_saveexec_b64 s[62:63], s[62:63]
; %bb.100:                              ;   in Loop: Header=BB138_6 Depth=1
	v_or_b32_e32 v92, 0x10000, v93
	v_cmp_eq_u32_sdwa vcc, v93, v116 src0_sel:WORD_0 src1_sel:DWORD
	v_cndmask_b32_e32 v92, v92, v93, vcc
; %bb.101:                              ;   in Loop: Header=BB138_6 Depth=1
	s_or_b64 exec, exec, s[62:63]
	v_perm_b32 v92, v92, v96, s85
	ds_write_b32 v113, v92 offset:1584
	v_and_b32_e32 v92, 0x7f800000, v94
	v_cmp_ne_u32_e32 vcc, s83, v92
                                        ; implicit-def: $vgpr92
	s_and_saveexec_b64 s[62:63], vcc
	s_xor_b64 s[62:63], exec, s[62:63]
; %bb.102:                              ;   in Loop: Header=BB138_6 Depth=1
	v_bfe_u32 v92, v94, 16, 1
	v_add3_u32 v92, v94, v92, s84
; %bb.103:                              ;   in Loop: Header=BB138_6 Depth=1
	s_andn2_saveexec_b64 s[62:63], s[62:63]
; %bb.104:                              ;   in Loop: Header=BB138_6 Depth=1
	v_or_b32_e32 v92, 0x10000, v94
	v_cmp_eq_u32_sdwa vcc, v94, v116 src0_sel:WORD_0 src1_sel:DWORD
	v_cndmask_b32_e32 v92, v92, v94, vcc
; %bb.105:                              ;   in Loop: Header=BB138_6 Depth=1
	s_or_b64 exec, exec, s[62:63]
	v_and_b32_e32 v93, 0x7f800000, v95
	v_cmp_ne_u32_e32 vcc, s83, v93
                                        ; implicit-def: $vgpr93
	s_and_saveexec_b64 s[62:63], vcc
	s_xor_b64 s[62:63], exec, s[62:63]
; %bb.106:                              ;   in Loop: Header=BB138_6 Depth=1
	v_bfe_u32 v93, v95, 16, 1
	v_add3_u32 v93, v95, v93, s84
                                        ; implicit-def: $vgpr95
; %bb.107:                              ;   in Loop: Header=BB138_6 Depth=1
	s_andn2_saveexec_b64 s[62:63], s[62:63]
; %bb.108:                              ;   in Loop: Header=BB138_6 Depth=1
	v_or_b32_e32 v93, 0x10000, v95
	v_cmp_eq_u32_sdwa vcc, v95, v116 src0_sel:WORD_0 src1_sel:DWORD
	v_cndmask_b32_e32 v93, v93, v95, vcc
; %bb.109:                              ;   in Loop: Header=BB138_6 Depth=1
	s_or_b64 exec, exec, s[62:63]
	v_perm_b32 v92, v93, v92, s85
	ds_write_b32 v113, v92 offset:1848
	v_and_b32_e32 v92, 0x7f800000, v88
	v_cmp_ne_u32_e32 vcc, s83, v92
                                        ; implicit-def: $vgpr92
	s_and_saveexec_b64 s[62:63], vcc
	s_xor_b64 s[62:63], exec, s[62:63]
; %bb.110:                              ;   in Loop: Header=BB138_6 Depth=1
	v_bfe_u32 v92, v88, 16, 1
	v_add3_u32 v92, v88, v92, s84
; %bb.111:                              ;   in Loop: Header=BB138_6 Depth=1
	s_andn2_saveexec_b64 s[62:63], s[62:63]
; %bb.112:                              ;   in Loop: Header=BB138_6 Depth=1
	v_or_b32_e32 v92, 0x10000, v88
	v_cmp_eq_u32_sdwa vcc, v88, v116 src0_sel:WORD_0 src1_sel:DWORD
	v_cndmask_b32_e32 v92, v92, v88, vcc
; %bb.113:                              ;   in Loop: Header=BB138_6 Depth=1
	s_or_b64 exec, exec, s[62:63]
	v_and_b32_e32 v88, 0x7f800000, v89
	v_cmp_ne_u32_e32 vcc, s83, v88
                                        ; implicit-def: $vgpr88
	s_and_saveexec_b64 s[62:63], vcc
	s_xor_b64 s[62:63], exec, s[62:63]
; %bb.114:                              ;   in Loop: Header=BB138_6 Depth=1
	v_bfe_u32 v88, v89, 16, 1
	v_add3_u32 v88, v89, v88, s84
                                        ; implicit-def: $vgpr89
; %bb.115:                              ;   in Loop: Header=BB138_6 Depth=1
	s_andn2_saveexec_b64 s[62:63], s[62:63]
; %bb.116:                              ;   in Loop: Header=BB138_6 Depth=1
	v_or_b32_e32 v88, 0x10000, v89
	v_cmp_eq_u32_sdwa vcc, v89, v116 src0_sel:WORD_0 src1_sel:DWORD
	v_cndmask_b32_e32 v88, v88, v89, vcc
; %bb.117:                              ;   in Loop: Header=BB138_6 Depth=1
	s_or_b64 exec, exec, s[62:63]
	v_perm_b32 v88, v88, v92, s85
	ds_write_b32 v113, v88 offset:2112
	v_and_b32_e32 v88, 0x7f800000, v90
	v_cmp_ne_u32_e32 vcc, s83, v88
                                        ; implicit-def: $vgpr88
	s_and_saveexec_b64 s[62:63], vcc
	s_xor_b64 s[62:63], exec, s[62:63]
; %bb.118:                              ;   in Loop: Header=BB138_6 Depth=1
	v_bfe_u32 v88, v90, 16, 1
	v_add3_u32 v88, v90, v88, s84
; %bb.119:                              ;   in Loop: Header=BB138_6 Depth=1
	s_andn2_saveexec_b64 s[62:63], s[62:63]
; %bb.120:                              ;   in Loop: Header=BB138_6 Depth=1
	v_or_b32_e32 v88, 0x10000, v90
	v_cmp_eq_u32_sdwa vcc, v90, v116 src0_sel:WORD_0 src1_sel:DWORD
	v_cndmask_b32_e32 v88, v88, v90, vcc
; %bb.121:                              ;   in Loop: Header=BB138_6 Depth=1
	s_or_b64 exec, exec, s[62:63]
	v_and_b32_e32 v89, 0x7f800000, v91
	v_cmp_ne_u32_e32 vcc, s83, v89
                                        ; implicit-def: $vgpr89
	s_and_saveexec_b64 s[62:63], vcc
	s_xor_b64 s[62:63], exec, s[62:63]
; %bb.122:                              ;   in Loop: Header=BB138_6 Depth=1
	v_bfe_u32 v89, v91, 16, 1
	v_add3_u32 v89, v91, v89, s84
                                        ; implicit-def: $vgpr91
; %bb.123:                              ;   in Loop: Header=BB138_6 Depth=1
	s_andn2_saveexec_b64 s[62:63], s[62:63]
; %bb.124:                              ;   in Loop: Header=BB138_6 Depth=1
	v_or_b32_e32 v89, 0x10000, v91
	v_cmp_eq_u32_sdwa vcc, v91, v116 src0_sel:WORD_0 src1_sel:DWORD
	v_cndmask_b32_e32 v89, v89, v91, vcc
; %bb.125:                              ;   in Loop: Header=BB138_6 Depth=1
	s_or_b64 exec, exec, s[62:63]
	v_perm_b32 v88, v89, v88, s85
	ds_write_b32 v113, v88 offset:2376
	v_and_b32_e32 v88, 0x7f800000, v84
	v_cmp_ne_u32_e32 vcc, s83, v88
                                        ; implicit-def: $vgpr88
	s_and_saveexec_b64 s[62:63], vcc
	s_xor_b64 s[62:63], exec, s[62:63]
; %bb.126:                              ;   in Loop: Header=BB138_6 Depth=1
	v_bfe_u32 v88, v84, 16, 1
	v_add3_u32 v88, v84, v88, s84
; %bb.127:                              ;   in Loop: Header=BB138_6 Depth=1
	s_andn2_saveexec_b64 s[62:63], s[62:63]
; %bb.128:                              ;   in Loop: Header=BB138_6 Depth=1
	v_or_b32_e32 v88, 0x10000, v84
	v_cmp_eq_u32_sdwa vcc, v84, v116 src0_sel:WORD_0 src1_sel:DWORD
	v_cndmask_b32_e32 v88, v88, v84, vcc
; %bb.129:                              ;   in Loop: Header=BB138_6 Depth=1
	s_or_b64 exec, exec, s[62:63]
	v_and_b32_e32 v84, 0x7f800000, v85
	v_cmp_ne_u32_e32 vcc, s83, v84
                                        ; implicit-def: $vgpr84
	s_and_saveexec_b64 s[62:63], vcc
	s_xor_b64 s[62:63], exec, s[62:63]
; %bb.130:                              ;   in Loop: Header=BB138_6 Depth=1
	v_bfe_u32 v84, v85, 16, 1
	v_add3_u32 v84, v85, v84, s84
                                        ; implicit-def: $vgpr85
; %bb.131:                              ;   in Loop: Header=BB138_6 Depth=1
	s_andn2_saveexec_b64 s[62:63], s[62:63]
; %bb.132:                              ;   in Loop: Header=BB138_6 Depth=1
	v_or_b32_e32 v84, 0x10000, v85
	v_cmp_eq_u32_sdwa vcc, v85, v116 src0_sel:WORD_0 src1_sel:DWORD
	v_cndmask_b32_e32 v84, v84, v85, vcc
; %bb.133:                              ;   in Loop: Header=BB138_6 Depth=1
	s_or_b64 exec, exec, s[62:63]
	v_perm_b32 v84, v84, v88, s85
	ds_write_b32 v113, v84 offset:2640
	v_and_b32_e32 v84, 0x7f800000, v86
	v_cmp_ne_u32_e32 vcc, s83, v84
                                        ; implicit-def: $vgpr84
	s_and_saveexec_b64 s[62:63], vcc
	s_xor_b64 s[62:63], exec, s[62:63]
; %bb.134:                              ;   in Loop: Header=BB138_6 Depth=1
	v_bfe_u32 v84, v86, 16, 1
	v_add3_u32 v84, v86, v84, s84
; %bb.135:                              ;   in Loop: Header=BB138_6 Depth=1
	s_andn2_saveexec_b64 s[62:63], s[62:63]
; %bb.136:                              ;   in Loop: Header=BB138_6 Depth=1
	v_or_b32_e32 v84, 0x10000, v86
	v_cmp_eq_u32_sdwa vcc, v86, v116 src0_sel:WORD_0 src1_sel:DWORD
	v_cndmask_b32_e32 v84, v84, v86, vcc
; %bb.137:                              ;   in Loop: Header=BB138_6 Depth=1
	s_or_b64 exec, exec, s[62:63]
	v_and_b32_e32 v85, 0x7f800000, v87
	v_cmp_ne_u32_e32 vcc, s83, v85
                                        ; implicit-def: $vgpr85
	s_and_saveexec_b64 s[62:63], vcc
	s_xor_b64 s[62:63], exec, s[62:63]
; %bb.138:                              ;   in Loop: Header=BB138_6 Depth=1
	v_bfe_u32 v85, v87, 16, 1
	v_add3_u32 v85, v87, v85, s84
                                        ; implicit-def: $vgpr87
; %bb.139:                              ;   in Loop: Header=BB138_6 Depth=1
	s_andn2_saveexec_b64 s[62:63], s[62:63]
; %bb.140:                              ;   in Loop: Header=BB138_6 Depth=1
	v_or_b32_e32 v85, 0x10000, v87
	v_cmp_eq_u32_sdwa vcc, v87, v116 src0_sel:WORD_0 src1_sel:DWORD
	v_cndmask_b32_e32 v85, v85, v87, vcc
; %bb.141:                              ;   in Loop: Header=BB138_6 Depth=1
	s_or_b64 exec, exec, s[62:63]
	v_perm_b32 v84, v85, v84, s85
	ds_write_b32 v113, v84 offset:2904
	v_and_b32_e32 v84, 0x7f800000, v82
	v_cmp_ne_u32_e32 vcc, s83, v84
                                        ; implicit-def: $vgpr84
	s_and_saveexec_b64 s[62:63], vcc
	s_xor_b64 s[62:63], exec, s[62:63]
; %bb.142:                              ;   in Loop: Header=BB138_6 Depth=1
	v_bfe_u32 v84, v82, 16, 1
	v_add3_u32 v84, v82, v84, s84
; %bb.143:                              ;   in Loop: Header=BB138_6 Depth=1
	s_andn2_saveexec_b64 s[62:63], s[62:63]
; %bb.144:                              ;   in Loop: Header=BB138_6 Depth=1
	v_or_b32_e32 v84, 0x10000, v82
	v_cmp_eq_u32_sdwa vcc, v82, v116 src0_sel:WORD_0 src1_sel:DWORD
	v_cndmask_b32_e32 v84, v84, v82, vcc
; %bb.145:                              ;   in Loop: Header=BB138_6 Depth=1
	s_or_b64 exec, exec, s[62:63]
	v_and_b32_e32 v82, 0x7f800000, v83
	v_cmp_ne_u32_e32 vcc, s83, v82
                                        ; implicit-def: $vgpr82
	s_and_saveexec_b64 s[62:63], vcc
	s_xor_b64 s[62:63], exec, s[62:63]
; %bb.146:                              ;   in Loop: Header=BB138_6 Depth=1
	v_bfe_u32 v82, v83, 16, 1
	v_add3_u32 v82, v83, v82, s84
                                        ; implicit-def: $vgpr83
; %bb.147:                              ;   in Loop: Header=BB138_6 Depth=1
	s_andn2_saveexec_b64 s[62:63], s[62:63]
	s_cbranch_execz .LBB138_5
; %bb.148:                              ;   in Loop: Header=BB138_6 Depth=1
	v_or_b32_e32 v82, 0x10000, v83
	v_cmp_eq_u32_sdwa vcc, v83, v116 src0_sel:WORD_0 src1_sel:DWORD
	v_cndmask_b32_e32 v82, v82, v83, vcc
	s_branch .LBB138_5
.LBB138_149:
	s_or_b64 exec, exec, s[8:9]
	v_readlane_b32 s24, v119, 6
	v_readlane_b32 s26, v119, 9
	;; [unrolled: 1-line block ×5, first 2 shown]
.LBB138_150:
	v_readlane_b32 s0, v119, 4
	v_readlane_b32 s1, v119, 5
	s_or_b64 exec, exec, s[0:1]
	v_mul_u32_u24_e32 v16, 0x608, v111
	v_lshlrev_b32_e32 v17, 2, v110
	v_add3_u32 v16, 0, v16, v17
	v_and_b32_e32 v17, 0x3f0, v109
	v_add_u32_e32 v17, v16, v17
	s_lshl_b64 s[0:1], s[26:27], 2
	v_readlane_b32 s4, v119, 0
	s_barrier
	ds_write2_b32 v17, v8, v9 offset1:1
	ds_write_b32 v17, v10 offset:8
	v_or_b32_e32 v8, 12, v109
	v_readlane_b32 s5, v119, 1
	s_add_u32 s3, s4, s0
	v_and_b32_e32 v8, 0x3fc, v8
	s_addc_u32 s8, s5, s1
	v_add_u32_e32 v8, v16, v8
	ds_write_b32 v8, v11
	ds_write2_b32 v17, v4, v5 offset0:16 offset1:17
	ds_write_b32 v17, v6 offset:72
	ds_write_b32 v8, v7 offset:64
	ds_write2_b32 v17, v0, v1 offset0:32 offset1:33
	ds_write_b32 v17, v2 offset:136
	ds_write_b32 v8, v3 offset:128
	;; [unrolled: 3-line block ×3, first 2 shown]
	s_cmp_gt_i32 s14, 0
	v_add_u32_e32 v0, s6, v108
	s_cselect_b64 s[4:5], -1, 0
	v_cmp_gt_i32_e64 s[0:1], s33, v0
	v_cmp_gt_u32_e32 vcc, 13, v108
	s_and_b64 s[0:1], s[4:5], s[0:1]
	v_lshl_add_u32 v3, v109, 2, 0
	v_add_u32_e32 v2, s7, v109
	v_mul_u32_u24_e32 v4, 0x608, v108
	s_and_b64 s[10:11], vcc, s[0:1]
	s_waitcnt lgkmcnt(0)
	s_barrier
	s_and_saveexec_b64 s[0:1], s[10:11]
	s_cbranch_execz .LBB138_153
; %bb.151:
	v_ashrrev_i32_e32 v1, 31, v0
	v_lshlrev_b64 v[6:7], 2, v[0:1]
	v_mov_b32_e32 v1, s8
	v_add_co_u32_e32 v6, vcc, s3, v6
	v_addc_co_u32_e32 v7, vcc, v1, v7, vcc
	global_load_dword v5, v[6:7], off
	s_waitcnt vmcnt(0)
	v_mul_hi_u32 v1, v5, s19
	v_add_u32_e32 v1, v5, v1
	v_lshrrev_b32_e32 v1, s24, v1
	v_cmp_gt_i32_e32 vcc, s13, v1
	s_and_b64 exec, exec, vcc
	s_cbranch_execz .LBB138_153
; %bb.152:
	v_add_u32_e32 v10, v3, v4
	ds_read2st64_b32 v[6:7], v10 offset1:1
	ds_read2st64_b32 v[8:9], v10 offset0:2 offset1:3
	ds_read2st64_b32 v[10:11], v10 offset0:4 offset1:5
	v_mul_lo_u32 v12, v1, s25
	v_sub_u32_e32 v5, v5, v12
	v_mul_lo_u32 v5, v5, s2
	s_waitcnt lgkmcnt(2)
	v_add_f32_e32 v6, 0, v6
	v_add_f32_e32 v6, v6, v7
	s_waitcnt lgkmcnt(1)
	v_add_f32_e32 v6, v6, v8
	v_add_f32_e32 v6, v6, v9
	s_waitcnt lgkmcnt(0)
	v_add_f32_e32 v6, v6, v10
	v_mul_lo_u32 v1, v1, s21
	v_add_f32_e32 v8, v6, v11
	v_add3_u32 v6, v2, v1, v5
	v_mov_b32_e32 v7, 0
	v_readlane_b32 s10, v119, 2
	v_lshlrev_b64 v[6:7], 2, v[6:7]
	v_readlane_b32 s11, v119, 3
	v_mov_b32_e32 v1, s11
	v_add_co_u32_e32 v6, vcc, s10, v6
	v_addc_co_u32_e32 v7, vcc, v1, v7, vcc
	global_store_dword v[6:7], v8, off
.LBB138_153:
	s_or_b64 exec, exec, s[0:1]
	v_add_u32_e32 v0, 6, v0
	v_cmp_gt_i32_e64 s[0:1], s33, v0
	v_cmp_gt_u32_e32 vcc, 7, v108
	s_and_b64 s[0:1], s[4:5], s[0:1]
	s_and_b64 s[10:11], vcc, s[0:1]
	s_and_saveexec_b64 s[0:1], s[10:11]
	s_cbranch_execz .LBB138_156
; %bb.154:
	s_ashr_i32 s7, s6, 31
	v_mov_b32_e32 v1, s7
	v_add_co_u32_e32 v0, vcc, s6, v108
	v_addc_co_u32_e32 v1, vcc, 0, v1, vcc
	v_lshlrev_b64 v[0:1], 2, v[0:1]
	v_mov_b32_e32 v5, s8
	v_add_co_u32_e32 v0, vcc, s3, v0
	v_addc_co_u32_e32 v1, vcc, v5, v1, vcc
	global_load_dword v5, v[0:1], off offset:24
	v_mov_b32_e32 v1, 0
	s_waitcnt vmcnt(0)
	v_mul_hi_u32 v0, v5, s19
	v_add_u32_e32 v0, v5, v0
	v_lshrrev_b32_e32 v0, s24, v0
	v_cmp_gt_i32_e32 vcc, s13, v0
	s_and_b64 exec, exec, vcc
	s_cbranch_execz .LBB138_156
; %bb.155:
	v_add_u32_e32 v4, v4, v3
	v_add_u32_e32 v4, 48, v4
	ds_read2st64_b32 v[6:7], v4 offset0:36 offset1:37
	ds_read2st64_b32 v[8:9], v4 offset0:38 offset1:39
	v_mul_lo_u32 v10, v0, s25
	v_sub_u32_e32 v10, v5, v10
	ds_read2st64_b32 v[4:5], v4 offset0:40 offset1:41
	s_waitcnt lgkmcnt(2)
	v_add_f32_e32 v6, 0, v6
	v_add_f32_e32 v6, v6, v7
	s_waitcnt lgkmcnt(1)
	v_add_f32_e32 v6, v6, v8
	v_add_f32_e32 v6, v6, v9
	;; [unrolled: 3-line block ×3, first 2 shown]
	v_mul_lo_u32 v5, v10, s2
	v_mul_lo_u32 v0, v0, s21
	v_add3_u32 v0, v2, v0, v5
	v_readlane_b32 s10, v119, 2
	v_lshlrev_b64 v[0:1], 2, v[0:1]
	v_readlane_b32 s11, v119, 3
	v_mov_b32_e32 v5, s11
	v_add_co_u32_e32 v0, vcc, s10, v0
	v_addc_co_u32_e32 v1, vcc, v5, v1, vcc
	global_store_dword v[0:1], v4, off
.LBB138_156:
	s_or_b64 exec, exec, s[0:1]
	v_cmp_eq_u32_e32 vcc, 0, v108
	s_and_saveexec_b64 s[0:1], vcc
	s_cbranch_execz .LBB138_160
; %bb.157:
	s_add_i32 s0, s6, 12
	s_cmp_ge_i32 s0, s33
	s_cselect_b64 s[0:1], -1, 0
	s_xor_b64 s[4:5], s[4:5], -1
	s_or_b64 s[0:1], s[4:5], s[0:1]
	s_and_b64 vcc, exec, s[0:1]
	s_cbranch_vccnz .LBB138_160
; %bb.158:
	s_ashr_i32 s7, s6, 31
	s_lshl_b64 s[0:1], s[6:7], 2
	s_add_u32 s0, s3, s0
	s_addc_u32 s1, s8, s1
	s_load_dword s1, s[0:1], 0x30
	s_waitcnt lgkmcnt(0)
	s_mul_hi_u32 s0, s1, s19
	s_add_i32 s0, s1, s0
	s_lshr_b32 s0, s0, s24
	s_cmp_ge_i32 s0, s13
	s_cbranch_scc1 .LBB138_160
; %bb.159:
	v_add_u32_e32 v3, 0x60, v3
	ds_read2st64_b32 v[0:1], v3 offset0:72 offset1:73
	ds_read2st64_b32 v[4:5], v3 offset0:74 offset1:75
	ds_read2st64_b32 v[6:7], v3 offset0:76 offset1:77
	s_mul_i32 s3, s0, s25
	s_sub_i32 s1, s1, s3
	s_mul_i32 s1, s1, s2
	s_waitcnt lgkmcnt(2)
	v_add_f32_e32 v0, 0, v0
	v_add_f32_e32 v0, v0, v1
	s_waitcnt lgkmcnt(1)
	v_add_f32_e32 v0, v0, v4
	v_add_f32_e32 v0, v0, v5
	s_mul_i32 s0, s0, s21
	s_waitcnt lgkmcnt(0)
	v_add_f32_e32 v0, v0, v6
	s_add_i32 s1, s1, s0
	v_add_f32_e32 v3, v0, v7
	v_add_u32_e32 v0, s1, v2
	v_mov_b32_e32 v1, 0
	v_readlane_b32 s0, v119, 2
	v_lshlrev_b64 v[0:1], 2, v[0:1]
	v_readlane_b32 s1, v119, 3
	v_mov_b32_e32 v2, s1
	v_add_co_u32_e32 v0, vcc, s0, v0
	v_addc_co_u32_e32 v1, vcc, v2, v1, vcc
	global_store_dword v[0:1], v3, off
.LBB138_160:
	s_endpgm
	.section	.rodata,"a",@progbits
	.p2align	6, 0x0
	.amdhsa_kernel _ZL13mul_mat_f_idsI15__hip_bfloat162Li64ELi13ELi6EEvPKT_PKfPKiS7_S7_Pfiiiiiiiiiiiiii15HIP_vector_typeIjLj3EESA_
		.amdhsa_group_segment_fixed_size 0
		.amdhsa_private_segment_fixed_size 0
		.amdhsa_kernarg_size 128
		.amdhsa_user_sgpr_count 6
		.amdhsa_user_sgpr_private_segment_buffer 1
		.amdhsa_user_sgpr_dispatch_ptr 0
		.amdhsa_user_sgpr_queue_ptr 0
		.amdhsa_user_sgpr_kernarg_segment_ptr 1
		.amdhsa_user_sgpr_dispatch_id 0
		.amdhsa_user_sgpr_flat_scratch_init 0
		.amdhsa_user_sgpr_kernarg_preload_length 0
		.amdhsa_user_sgpr_kernarg_preload_offset 0
		.amdhsa_user_sgpr_private_segment_size 0
		.amdhsa_uses_dynamic_stack 0
		.amdhsa_system_sgpr_private_segment_wavefront_offset 0
		.amdhsa_system_sgpr_workgroup_id_x 1
		.amdhsa_system_sgpr_workgroup_id_y 1
		.amdhsa_system_sgpr_workgroup_id_z 1
		.amdhsa_system_sgpr_workgroup_info 0
		.amdhsa_system_vgpr_workitem_id 1
		.amdhsa_next_free_vgpr 120
		.amdhsa_next_free_sgpr 96
		.amdhsa_accum_offset 120
		.amdhsa_reserve_vcc 1
		.amdhsa_reserve_flat_scratch 0
		.amdhsa_float_round_mode_32 0
		.amdhsa_float_round_mode_16_64 0
		.amdhsa_float_denorm_mode_32 3
		.amdhsa_float_denorm_mode_16_64 3
		.amdhsa_dx10_clamp 1
		.amdhsa_ieee_mode 1
		.amdhsa_fp16_overflow 0
		.amdhsa_tg_split 0
		.amdhsa_exception_fp_ieee_invalid_op 0
		.amdhsa_exception_fp_denorm_src 0
		.amdhsa_exception_fp_ieee_div_zero 0
		.amdhsa_exception_fp_ieee_overflow 0
		.amdhsa_exception_fp_ieee_underflow 0
		.amdhsa_exception_fp_ieee_inexact 0
		.amdhsa_exception_int_div_zero 0
	.end_amdhsa_kernel
	.section	.text._ZL13mul_mat_f_idsI15__hip_bfloat162Li64ELi13ELi6EEvPKT_PKfPKiS7_S7_Pfiiiiiiiiiiiiii15HIP_vector_typeIjLj3EESA_,"axG",@progbits,_ZL13mul_mat_f_idsI15__hip_bfloat162Li64ELi13ELi6EEvPKT_PKfPKiS7_S7_Pfiiiiiiiiiiiiii15HIP_vector_typeIjLj3EESA_,comdat
.Lfunc_end138:
	.size	_ZL13mul_mat_f_idsI15__hip_bfloat162Li64ELi13ELi6EEvPKT_PKfPKiS7_S7_Pfiiiiiiiiiiiiii15HIP_vector_typeIjLj3EESA_, .Lfunc_end138-_ZL13mul_mat_f_idsI15__hip_bfloat162Li64ELi13ELi6EEvPKT_PKfPKiS7_S7_Pfiiiiiiiiiiiiii15HIP_vector_typeIjLj3EESA_
                                        ; -- End function
	.section	.AMDGPU.csdata,"",@progbits
; Kernel info:
; codeLenInByte = 9204
; NumSgprs: 100
; NumVgprs: 120
; NumAgprs: 0
; TotalNumVgprs: 120
; ScratchSize: 0
; MemoryBound: 0
; FloatMode: 240
; IeeeMode: 1
; LDSByteSize: 0 bytes/workgroup (compile time only)
; SGPRBlocks: 12
; VGPRBlocks: 14
; NumSGPRsForWavesPerEU: 100
; NumVGPRsForWavesPerEU: 120
; AccumOffset: 120
; Occupancy: 4
; WaveLimiterHint : 1
; COMPUTE_PGM_RSRC2:SCRATCH_EN: 0
; COMPUTE_PGM_RSRC2:USER_SGPR: 6
; COMPUTE_PGM_RSRC2:TRAP_HANDLER: 0
; COMPUTE_PGM_RSRC2:TGID_X_EN: 1
; COMPUTE_PGM_RSRC2:TGID_Y_EN: 1
; COMPUTE_PGM_RSRC2:TGID_Z_EN: 1
; COMPUTE_PGM_RSRC2:TIDIG_COMP_CNT: 1
; COMPUTE_PGM_RSRC3_GFX90A:ACCUM_OFFSET: 29
; COMPUTE_PGM_RSRC3_GFX90A:TG_SPLIT: 0
	.section	.text._ZL9mul_mat_fI15__hip_bfloat162Li64ELi13ELi6ELb1EEvPKT_PKfPKiPfiiiiiiiiiiiiiiii,"axG",@progbits,_ZL9mul_mat_fI15__hip_bfloat162Li64ELi13ELi6ELb1EEvPKT_PKfPKiPfiiiiiiiiiiiiiiii,comdat
	.globl	_ZL9mul_mat_fI15__hip_bfloat162Li64ELi13ELi6ELb1EEvPKT_PKfPKiPfiiiiiiiiiiiiiiii ; -- Begin function _ZL9mul_mat_fI15__hip_bfloat162Li64ELi13ELi6ELb1EEvPKT_PKfPKiPfiiiiiiiiiiiiiiii
	.p2align	8
	.type	_ZL9mul_mat_fI15__hip_bfloat162Li64ELi13ELi6ELb1EEvPKT_PKfPKiPfiiiiiiiiiiiiiiii,@function
_ZL9mul_mat_fI15__hip_bfloat162Li64ELi13ELi6ELb1EEvPKT_PKfPKiPfiiiiiiiiiiiiiiii: ; @_ZL9mul_mat_fI15__hip_bfloat162Li64ELi13ELi6ELb1EEvPKT_PKfPKiPfiiiiiiiiiiiiiiii
; %bb.0:
	s_load_dwordx8 s[16:23], s[4:5], 0x20
	v_and_b32_e32 v16, 0x3ff, v0
	v_bfe_u32 v17, v0, 10, 10
	v_cmp_eq_u32_e32 vcc, 0, v16
	s_waitcnt lgkmcnt(0)
	s_add_i32 s0, s17, 12
	s_mul_hi_i32 s0, s0, 0x4ec4ec4f
	s_lshr_b32 s1, s0, 31
	s_ashr_i32 s0, s0, 2
	s_add_i32 s0, s0, s1
	v_cvt_f32_u32_e32 v1, s0
	s_load_dwordx4 s[24:27], s[4:5], 0x44
	s_load_dword s1, s[4:5], 0x64
	s_add_u32 s34, s4, 0x60
	s_addc_u32 s35, s5, 0
	v_rcp_iflag_f32_e32 v1, v1
	s_sub_i32 s2, 0, s0
	v_mul_f32_e32 v1, 0x4f7ffffe, v1
	v_cvt_u32_f32_e32 v1, v1
	v_readfirstlane_b32 s3, v1
	s_mul_i32 s2, s2, s3
	s_mul_hi_u32 s2, s3, s2
	s_add_i32 s3, s3, s2
	s_waitcnt lgkmcnt(0)
	s_mul_hi_u32 s2, s1, s3
	s_mul_i32 s3, s2, s0
	s_sub_i32 s1, s1, s3
	s_add_i32 s9, s2, 1
	s_sub_i32 s3, s1, s0
	s_cmp_ge_u32 s1, s0
	s_cselect_b32 s2, s9, s2
	s_cselect_b32 s1, s3, s1
	s_add_i32 s3, s2, 1
	s_cmp_ge_u32 s1, s0
	s_cselect_b32 s10, s3, s2
	v_cvt_f32_u32_e32 v1, s10
	s_abs_i32 s40, s27
	v_cvt_f32_u32_e32 v2, s40
	s_load_dwordx2 s[0:1], s[4:5], 0x10
	v_rcp_iflag_f32_e32 v1, v1
	s_sub_i32 s2, 0, s10
	v_rcp_iflag_f32_e32 v2, v2
	v_mul_f32_e32 v1, 0x4f7ffffe, v1
	v_cvt_u32_f32_e32 v1, v1
	v_mul_f32_e32 v2, 0x4f7ffffe, v2
	v_cvt_u32_f32_e32 v2, v2
	v_readfirstlane_b32 s3, v1
	s_mul_i32 s2, s2, s3
	s_mul_hi_u32 s2, s3, s2
	s_add_i32 s3, s3, s2
	v_readfirstlane_b32 s9, v2
	s_mul_hi_u32 s11, s7, s3
	s_and_saveexec_b64 s[2:3], vcc
	s_cbranch_execz .LBB139_2
; %bb.1:
	v_mov_b32_e32 v1, 0x100
	v_lshl_add_u32 v1, v17, 2, v1
	v_mov_b32_e32 v2, -1
	ds_write_b32 v1, v2
.LBB139_2:
	s_or_b64 exec, exec, s[2:3]
	s_mul_i32 s2, s11, s10
	s_sub_i32 s2, s7, s2
	s_add_i32 s3, s11, 1
	s_sub_i32 s12, s2, s10
	s_cmp_ge_u32 s2, s10
	s_cselect_b32 s3, s3, s11
	s_cselect_b32 s2, s12, s2
	s_add_i32 s11, s3, 1
	s_cmp_ge_u32 s2, s10
	s_cselect_b32 s2, s11, s3
	s_mul_i32 s3, s2, s10
	s_mul_i32 s52, s2, 13
	s_sub_i32 s7, s7, s3
	s_mul_hi_i32 s3, s52, s23
	s_mul_i32 s2, s52, s23
	s_lshl_b64 s[2:3], s[2:3], 2
	s_waitcnt lgkmcnt(0)
	s_add_u32 s33, s0, s2
	v_add_u32_e32 v1, s52, v17
	s_addc_u32 s1, s1, s3
	v_cmp_gt_i32_e64 s[10:11], s18, v16
	v_cmp_gt_i32_e64 s[42:43], s17, v1
	v_mov_b32_e32 v1, 0
	s_and_saveexec_b64 s[14:15], s[42:43]
	s_cbranch_execz .LBB139_10
; %bb.3:
	v_mov_b32_e32 v1, 0
	s_and_saveexec_b64 s[28:29], s[10:11]
	s_cbranch_execz .LBB139_9
; %bb.4:
	v_mul_lo_u32 v2, v17, s23
	v_ashrrev_i32_e32 v3, 31, v2
	v_lshlrev_b64 v[2:3], 2, v[2:3]
	v_mov_b32_e32 v1, s1
	v_add_co_u32_e64 v4, s[2:3], s33, v2
	v_addc_co_u32_e64 v5, s[2:3], v1, v3, s[2:3]
	v_mov_b32_e32 v1, 0x100
	v_lshl_add_u32 v6, v17, 2, v1
	v_mul_lo_u32 v2, v16, s22
	s_lshl_b32 s0, s22, 6
	s_mov_b64 s[30:31], 0
	v_mov_b32_e32 v1, 0
	v_mov_b32_e32 v7, v16
	s_branch .LBB139_6
.LBB139_5:                              ;   in Loop: Header=BB139_6 Depth=1
	s_or_b64 exec, exec, s[36:37]
	v_add_u32_e32 v7, 64, v7
	v_cmp_le_i32_e64 s[12:13], s18, v7
	s_xor_b64 s[2:3], s[2:3], -1
	s_or_b64 s[2:3], s[2:3], s[12:13]
	s_and_b64 s[2:3], exec, s[2:3]
	s_or_b64 s[30:31], s[2:3], s[30:31]
	v_add_u32_e32 v2, s0, v2
	s_andn2_b64 exec, exec, s[30:31]
	s_cbranch_execz .LBB139_8
.LBB139_6:                              ; =>This Inner Loop Header: Depth=1
	v_ashrrev_i32_e32 v3, 31, v2
	v_lshlrev_b64 v[8:9], 2, v[2:3]
	v_add_co_u32_e64 v8, s[2:3], v4, v8
	v_addc_co_u32_e64 v9, s[2:3], v5, v9, s[2:3]
	global_load_dword v3, v[8:9], off
	s_waitcnt vmcnt(0)
	v_cmp_ne_u32_e64 s[2:3], s7, v3
	v_cmp_eq_u32_e64 s[12:13], s7, v3
	s_and_saveexec_b64 s[36:37], s[12:13]
	s_cbranch_execz .LBB139_5
; %bb.7:                                ;   in Loop: Header=BB139_6 Depth=1
	v_mov_b32_e32 v1, 1
	ds_write_b32 v6, v7
	s_branch .LBB139_5
.LBB139_8:
	s_or_b64 exec, exec, s[30:31]
.LBB139_9:
	s_or_b64 exec, exec, s[28:29]
.LBB139_10:
	s_or_b64 exec, exec, s[14:15]
	s_sub_i32 s0, 0, s40
	s_and_saveexec_b64 s[2:3], vcc
	s_cbranch_execz .LBB139_12
; %bb.11:
	v_mov_b32_e32 v2, 0x100
	v_lshl_add_u32 v2, v17, 2, v2
	v_mov_b32_e32 v3, -1
	ds_write_b32 v2, v3 offset:24
.LBB139_12:
	s_or_b64 exec, exec, s[2:3]
	v_add_u32_e32 v86, 6, v17
	s_mul_i32 s0, s0, s9
	v_add_u32_e32 v2, s52, v86
	v_cmp_gt_i32_e64 s[2:3], s17, v2
	s_mov_b64 s[28:29], exec
                                        ; implicit-def: $vgpr104 : SGPR spill to VGPR lane
	v_writelane_b32 v104, s2, 0
	v_writelane_b32 v104, s3, 1
	s_and_b64 s[2:3], s[28:29], s[2:3]
	s_mov_b64 exec, s[2:3]
	s_cbranch_execz .LBB139_20
; %bb.13:
	s_and_saveexec_b64 s[30:31], s[10:11]
	s_cbranch_execz .LBB139_19
; %bb.14:
	v_mul_lo_u32 v2, v86, s23
	v_ashrrev_i32_e32 v3, 31, v2
	v_lshlrev_b64 v[2:3], 2, v[2:3]
	v_mov_b32_e32 v5, s1
	v_add_co_u32_e64 v4, s[12:13], s33, v2
	v_mov_b32_e32 v2, 0x100
	v_addc_co_u32_e64 v5, s[12:13], v5, v3, s[12:13]
	v_lshl_add_u32 v6, v17, 2, v2
	v_mul_lo_u32 v2, v16, s22
	s_lshl_b32 s2, s22, 6
	s_mov_b64 s[36:37], 0
	v_mov_b32_e32 v7, v16
	s_branch .LBB139_16
.LBB139_15:                             ;   in Loop: Header=BB139_16 Depth=1
	s_or_b64 exec, exec, s[38:39]
	v_add_u32_e32 v7, 64, v7
	v_cmp_le_i32_e64 s[14:15], s18, v7
	s_xor_b64 s[12:13], s[12:13], -1
	s_or_b64 s[12:13], s[12:13], s[14:15]
	s_and_b64 s[12:13], exec, s[12:13]
	s_or_b64 s[36:37], s[12:13], s[36:37]
	v_add_u32_e32 v2, s2, v2
	s_andn2_b64 exec, exec, s[36:37]
	s_cbranch_execz .LBB139_18
.LBB139_16:                             ; =>This Inner Loop Header: Depth=1
	v_ashrrev_i32_e32 v3, 31, v2
	v_lshlrev_b64 v[8:9], 2, v[2:3]
	v_add_co_u32_e64 v8, s[12:13], v4, v8
	v_addc_co_u32_e64 v9, s[12:13], v5, v9, s[12:13]
	global_load_dword v3, v[8:9], off
	s_waitcnt vmcnt(0)
	v_cmp_ne_u32_e64 s[12:13], s7, v3
	v_cmp_eq_u32_e64 s[14:15], s7, v3
	s_and_saveexec_b64 s[38:39], s[14:15]
	s_cbranch_execz .LBB139_15
; %bb.17:                               ;   in Loop: Header=BB139_16 Depth=1
	v_mov_b32_e32 v1, 1
	ds_write_b32 v6, v7 offset:24
	s_branch .LBB139_15
.LBB139_18:
	s_or_b64 exec, exec, s[36:37]
.LBB139_19:
	s_or_b64 exec, exec, s[30:31]
.LBB139_20:
	s_or_b64 exec, exec, s[28:29]
	s_mul_hi_u32 s2, s9, s0
	s_and_saveexec_b64 s[12:13], vcc
	s_cbranch_execz .LBB139_22
; %bb.21:
	v_mov_b32_e32 v2, 0x100
	v_lshl_add_u32 v2, v17, 2, v2
	v_mov_b32_e32 v3, -1
	ds_write_b32 v2, v3 offset:48
.LBB139_22:
	s_or_b64 exec, exec, s[12:13]
	s_load_dwordx4 s[28:31], s[4:5], 0x54
	v_add_u32_e32 v87, 12, v17
	s_abs_i32 s0, s8
	s_add_i32 s9, s9, s2
	v_add_u32_e32 v2, s52, v87
	v_cmp_gt_i32_e64 s[2:3], s17, v2
	s_mov_b64 s[14:15], exec
	v_writelane_b32 v104, s2, 2
	v_writelane_b32 v104, s3, 3
	s_and_b64 s[2:3], s[14:15], s[2:3]
	s_mov_b64 exec, s[2:3]
	s_cbranch_execz .LBB139_30
; %bb.23:
	s_and_saveexec_b64 s[36:37], s[10:11]
	s_cbranch_execz .LBB139_29
; %bb.24:
	v_mul_lo_u32 v2, v87, s23
	v_ashrrev_i32_e32 v3, 31, v2
	v_lshlrev_b64 v[2:3], 2, v[2:3]
	v_mov_b32_e32 v5, s1
	v_add_co_u32_e32 v4, vcc, s33, v2
	v_mov_b32_e32 v2, 0x100
	v_addc_co_u32_e32 v5, vcc, v5, v3, vcc
	v_lshl_add_u32 v6, v17, 2, v2
	v_mul_lo_u32 v2, v16, s22
	s_lshl_b32 s1, s22, 6
	s_mov_b64 s[22:23], 0
	v_mov_b32_e32 v7, v16
	s_branch .LBB139_26
.LBB139_25:                             ;   in Loop: Header=BB139_26 Depth=1
	s_or_b64 exec, exec, s[38:39]
	v_add_u32_e32 v7, 64, v7
	v_cmp_le_i32_e64 s[10:11], s18, v7
	s_xor_b64 s[2:3], vcc, -1
	s_or_b64 s[2:3], s[2:3], s[10:11]
	s_and_b64 s[2:3], exec, s[2:3]
	s_or_b64 s[22:23], s[2:3], s[22:23]
	v_add_u32_e32 v2, s1, v2
	s_andn2_b64 exec, exec, s[22:23]
	s_cbranch_execz .LBB139_28
.LBB139_26:                             ; =>This Inner Loop Header: Depth=1
	v_ashrrev_i32_e32 v3, 31, v2
	v_lshlrev_b64 v[8:9], 2, v[2:3]
	v_add_co_u32_e32 v8, vcc, v4, v8
	v_addc_co_u32_e32 v9, vcc, v5, v9, vcc
	global_load_dword v3, v[8:9], off
	s_waitcnt vmcnt(0)
	v_cmp_ne_u32_e32 vcc, s7, v3
	v_cmp_eq_u32_e64 s[10:11], s7, v3
	s_and_saveexec_b64 s[38:39], s[10:11]
	s_cbranch_execz .LBB139_25
; %bb.27:                               ;   in Loop: Header=BB139_26 Depth=1
	v_mov_b32_e32 v1, 1
	ds_write_b32 v6, v7 offset:48
	s_branch .LBB139_25
.LBB139_28:
	s_or_b64 exec, exec, s[22:23]
.LBB139_29:
	s_or_b64 exec, exec, s[36:37]
.LBB139_30:
	s_or_b64 exec, exec, s[14:15]
	s_load_dwordx2 s[2:3], s[34:35], 0xc
	s_load_dwordx4 s[36:39], s[4:5], 0x0
	s_load_dwordx2 s[10:11], s[4:5], 0x18
	v_cmp_ne_u32_e32 vcc, 0, v1
	v_cndmask_b32_e64 v1, 0, 1, vcc
                                        ; kill: killed $sgpr4 killed $sgpr5
	s_waitcnt lgkmcnt(0)
	s_and_b32 s5, s3, 0xffff
	s_lshr_b32 s4, s2, 16
	v_or_b32_dpp v1, v1, v1 row_shl:1 row_mask:0xf bank_mask:0xf bound_ctrl:1
	s_and_b32 s3, s2, 0xffff
	s_mul_i32 s2, s4, s3
	v_or_b32_dpp v1, v1, v1 row_shl:2 row_mask:0xf bank_mask:0xf bound_ctrl:1
	s_bfe_i32 s2, s2, 0x180000
	s_mul_i32 s2, s2, s5
	v_or_b32_dpp v1, v1, v1 row_shl:4 row_mask:0xf bank_mask:0xf bound_ctrl:1
	s_add_i32 s5, s2, 63
	s_bitcmp1_b32 exec_hi, 0
	v_or_b32_dpp v1, v1, v1 row_shl:8 row_mask:0xf bank_mask:0xf bound_ctrl:1
	s_mul_hi_u32 s1, s0, s9
	v_writelane_b32 v104, s10, 4
	v_mov_b32_dpp v2, v1 wave_shl:1 row_mask:0xf bank_mask:0xf bound_ctrl:1
	v_writelane_b32 v104, s11, 5
                                        ; kill: killed $sgpr34 killed $sgpr35
	s_nop 0
	v_or_b32_dpp v1, v2, v1 row_mirror row_mask:0xf bank_mask:0xf bound_ctrl:1
	v_readlane_b32 s2, v1, 32
	s_cselect_b32 s2, s2, 0
	v_readlane_b32 s9, v1, 0
	s_or_b32 s2, s2, s9
	s_andn2_b32 s5, s5, 63
	s_cmp_lg_u32 s5, 64
	v_mov_b32_e32 v1, s2
	s_cbranch_scc0 .LBB139_37
; %bb.31:
	v_bfe_u32 v0, v0, 20, 10
	v_mbcnt_lo_u32_b32 v1, -1, 0
	v_mad_u32_u24 v0, v0, s4, v17
	v_mbcnt_hi_u32_b32 v2, -1, v1
	v_mad_u64_u32 v[0:1], s[4:5], v0, s3, v[16:17]
	v_lshrrev_b32_e32 v1, 6, v0
	v_or_b32_e32 v1, v2, v1
	v_cmp_eq_u32_e32 vcc, 0, v1
	s_and_saveexec_b64 s[4:5], vcc
	s_cbranch_execz .LBB139_33
; %bb.32:
	v_mov_b32_e32 v1, 0
	v_mov_b32_e32 v3, s2
	ds_write_b32 v1, v3
.LBB139_33:
	s_or_b64 exec, exec, s[4:5]
	v_cmp_eq_u32_e32 vcc, 0, v2
	v_cmp_lt_u32_e64 s[4:5], 63, v0
	s_and_b64 s[10:11], s[4:5], vcc
	s_waitcnt lgkmcnt(0)
	s_barrier
	s_and_saveexec_b64 s[4:5], s[10:11]
	s_cbranch_execz .LBB139_36
; %bb.34:
	v_mbcnt_lo_u32_b32 v0, exec_lo, 0
	v_mbcnt_hi_u32_b32 v0, exec_hi, v0
	v_cmp_eq_u32_e32 vcc, 0, v0
	s_and_b64 exec, exec, vcc
	s_cbranch_execz .LBB139_36
; %bb.35:
	v_mov_b32_e32 v0, 0
	v_mov_b32_e32 v1, s2
	ds_or_b32 v0, v1
.LBB139_36:
	s_or_b64 exec, exec, s[4:5]
	v_mov_b32_e32 v0, 0
	s_waitcnt lgkmcnt(0)
	s_barrier
	ds_read_b32 v1, v0
	s_waitcnt lgkmcnt(0)
	s_barrier
.LBB139_37:
	v_cmp_ne_u32_e32 vcc, 0, v1
	s_ashr_i32 s2, s8, 31
	s_ashr_i32 s3, s27, 31
	s_cbranch_vccz .LBB139_198
; %bb.38:
	v_lshlrev_b32_e32 v88, 6, v17
	v_add_u32_e32 v90, v88, v16
	v_cmp_le_i32_e32 vcc, s16, v90
	v_and_b32_e32 v89, 15, v16
                                        ; implicit-def: $sgpr9
	s_and_saveexec_b64 s[4:5], vcc
	s_xor_b64 s[4:5], exec, s[4:5]
; %bb.39:
	v_and_b32_e32 v89, 15, v16
	s_mov_b32 s9, 0
                                        ; implicit-def: $vgpr90
; %bb.40:
	s_or_saveexec_b64 s[4:5], s[4:5]
	s_lshl_b32 s6, s6, 6
	v_mov_b32_e32 v11, s9
	v_mov_b32_e32 v10, s9
	;; [unrolled: 1-line block ×16, first 2 shown]
	v_writelane_b32 v104, s4, 6
	v_writelane_b32 v104, s5, 7
	s_xor_b64 exec, exec, s[4:5]
	s_cbranch_execz .LBB139_187
; %bb.41:
	s_xor_b32 s2, s2, s3
	s_mul_i32 s3, s1, s40
	s_sub_i32 s0, s0, s3
	s_add_i32 s3, s1, 1
	s_sub_i32 s4, s0, s40
	s_cmp_ge_u32 s0, s40
	s_cselect_b32 s1, s3, s1
	s_cselect_b32 s0, s4, s0
	s_add_i32 s3, s1, 1
	s_cmp_ge_u32 s0, s40
	s_cselect_b32 s0, s3, s1
	s_xor_b32 s0, s0, s2
	s_sub_i32 s0, s0, s2
	s_mul_hi_i32 s1, s0, s28
	s_mul_i32 s0, s0, s28
	s_mul_i32 s2, s7, s24
	v_writelane_b32 v104, s42, 8
	s_ashr_i32 s3, s2, 31
	s_lshl_b64 s[0:1], s[0:1], 2
	v_writelane_b32 v104, s43, 9
	s_add_u32 s5, s36, s0
	v_writelane_b32 v104, s6, 10
	s_mul_i32 s4, s6, s19
	s_addc_u32 s6, s37, s1
	s_lshl_b64 s[2:3], s[2:3], 2
	s_add_u32 s7, s5, s2
	s_addc_u32 s6, s6, s3
	s_ashr_i32 s5, s4, 31
	s_lshl_b64 s[4:5], s[4:5], 2
	s_add_u32 s24, s7, s4
	s_addc_u32 s10, s6, s5
	s_movk_i32 s6, 0x1080
	v_mov_b32_e32 v91, 0x100
	v_writelane_b32 v104, s8, 11
	v_mad_u32_u24 v0, v17, s6, v91
	s_mul_hi_i32 s7, s29, s8
	v_writelane_b32 v104, s28, 12
	s_mul_i32 s6, s29, s8
	s_mul_hi_i32 s9, s20, s52
	s_mul_i32 s8, s20, s52
	s_lshl_b64 s[8:9], s[8:9], 3
	s_lshl_b64 s[6:7], s[6:7], 2
	v_writelane_b32 v104, s29, 13
	s_add_u32 s6, s38, s6
	v_writelane_b32 v104, s30, 14
	s_addc_u32 s7, s39, s7
	v_writelane_b32 v104, s31, 15
	s_add_u32 s31, s6, s8
	s_addc_u32 s33, s7, s9
	s_cmp_lt_i32 s52, s17
	s_cselect_b64 s[6:7], -1, 0
	s_add_i32 s8, s52, 1
	s_cmp_lt_i32 s8, s17
	s_cselect_b64 s[14:15], -1, 0
	s_add_i32 s8, s52, 2
	s_cmp_lt_i32 s8, s17
	s_cselect_b64 s[22:23], -1, 0
	s_lshl_b32 s8, s20, 2
	v_writelane_b32 v104, s8, 16
	s_add_i32 s8, s52, 3
	s_cmp_lt_i32 s8, s17
	s_cselect_b64 s[28:29], -1, 0
	s_add_i32 s8, s52, 4
	s_cmp_lt_i32 s8, s17
	s_cselect_b64 s[34:35], -1, 0
	s_lshl_b32 s8, s20, 3
	v_writelane_b32 v104, s8, 17
	s_add_i32 s8, s52, 5
	s_cmp_lt_i32 s8, s17
	s_cselect_b64 s[38:39], -1, 0
	s_add_i32 s8, s52, 6
	s_cmp_lt_i32 s8, s17
	s_mul_i32 s8, s20, 6
	s_cselect_b64 s[40:41], -1, 0
	v_writelane_b32 v104, s8, 18
	s_add_i32 s8, s52, 7
	s_cmp_lt_i32 s8, s17
	s_cselect_b64 s[42:43], -1, 0
	s_add_i32 s8, s52, 8
	s_cmp_lt_i32 s8, s17
	s_cselect_b64 s[44:45], -1, 0
	s_lshl_b32 s8, s20, 4
	v_writelane_b32 v104, s8, 19
	s_add_i32 s8, s52, 9
	s_cmp_lt_i32 s8, s17
	s_cselect_b64 s[46:47], -1, 0
	s_add_i32 s8, s52, 10
	s_cmp_lt_i32 s8, s17
	s_mul_i32 s8, s20, 10
	s_cselect_b64 s[48:49], -1, 0
	v_writelane_b32 v104, s8, 20
	s_add_i32 s8, s52, 11
	s_cmp_lt_i32 s8, s17
	s_cselect_b64 s[50:51], -1, 0
	s_add_i32 s8, s52, 12
	v_writelane_b32 v104, s52, 21
	s_cmp_lt_i32 s8, s17
	s_mul_i32 s8, s20, 12
	s_cselect_b64 s[52:53], -1, 0
	v_writelane_b32 v104, s8, 22
	s_ashr_i32 s9, s19, 31
	s_mov_b32 s8, s19
	s_lshl_b64 s[54:55], s[8:9], 2
	s_add_u32 s0, s0, s4
	v_lshrrev_b32_e32 v2, 1, v16
	s_addc_u32 s1, s1, s5
	v_mul_u32_u24_e32 v1, 0x108, v89
	v_and_b32_e32 v2, 0x1f8, v2
	s_add_u32 s0, s0, s2
	v_lshl_add_u32 v92, v16, 2, v0
	v_add3_u32 v93, v0, v1, v2
	v_lshlrev_b32_e32 v0, 1, v16
	s_addc_u32 s1, s1, s3
	v_lshl_add_u32 v94, v17, 7, v0
	v_lshlrev_b32_e32 v0, 2, v90
	s_add_u32 s0, s36, s0
	v_add_co_u32_e32 v18, vcc, s0, v0
	s_mul_i32 s0, s20, 24
	v_writelane_b32 v104, s0, 23
	s_mul_i32 s0, s20, 22
	v_writelane_b32 v104, s0, 24
	;; [unrolled: 2-line block ×4, first 2 shown]
	s_mul_i32 s0, s20, 14
	s_addc_u32 s1, s37, s1
	v_writelane_b32 v104, s0, 27
	s_lshl_b32 s0, s20, 1
	v_writelane_b32 v104, s0, 28
	s_mul_i32 s0, s19, 3
	v_writelane_b32 v104, s0, 29
	s_mul_i32 s0, s19, 5
	;; [unrolled: 2-line block ×7, first 2 shown]
	v_mov_b32_e32 v1, s1
	v_writelane_b32 v104, s0, 35
	s_mul_i32 s0, s19, 12
	v_mov_b32_e32 v96, 0
	v_addc_co_u32_e32 v19, vcc, 0, v1, vcc
	s_lshl_b32 s66, s19, 1
	s_lshl_b32 s68, s19, 2
	;; [unrolled: 1-line block ×3, first 2 shown]
	v_writelane_b32 v104, s0, 36
	s_mul_i32 s77, s19, 13
	s_mul_i32 s78, s19, 14
	;; [unrolled: 1-line block ×3, first 2 shown]
	s_lshl_b32 s80, s19, 4
	v_mov_b32_e32 v95, s10
	s_mul_i32 s81, s19, 17
	v_mov_b32_e32 v97, s55
	v_mov_b32_e32 v12, 0
	v_mov_b32_e32 v13, v96
	v_mov_b32_e32 v14, v96
	v_mov_b32_e32 v15, v96
	v_mov_b32_e32 v0, 0
	v_mov_b32_e32 v1, v96
	v_mov_b32_e32 v2, v96
	v_mov_b32_e32 v3, v96
	v_mov_b32_e32 v4, 0
	v_mov_b32_e32 v5, v96
	v_mov_b32_e32 v6, v96
	v_mov_b32_e32 v7, v96
	v_mov_b32_e32 v8, 0
	v_mov_b32_e32 v9, v96
	v_mov_b32_e32 v10, v96
	v_mov_b32_e32 v11, v96
	s_mul_i32 s55, s19, 18
	s_mul_i32 s82, s19, 19
	;; [unrolled: 1-line block ×14, first 2 shown]
	s_lshl_b32 s95, s19, 5
	s_mul_i32 s10, s19, 33
	s_mul_i32 s11, s19, 34
	;; [unrolled: 1-line block ×31, first 2 shown]
	s_mov_b32 s74, 0x7f800000
	s_movk_i32 s75, 0x7fff
	s_mov_b32 s76, 0x7060302
	s_mov_b64 s[18:19], 0
	s_branch .LBB139_43
.LBB139_42:                             ;   in Loop: Header=BB139_43 Depth=1
	s_or_b64 exec, exec, s[36:37]
	v_perm_b32 v84, v84, v98, s76
	v_add_u32_e32 v85, 0xc00, v92
	ds_write2_b32 v85, v84, v96 offset0:40 offset1:106
	ds_write2_b32 v85, v96, v96 offset0:172 offset1:238
	ds_read2_b64 v[98:101], v93 offset0:8 offset1:12
	v_add_co_u32_e32 v18, vcc, 0x600, v18
	v_add_u32_e32 v90, 0x180, v90
	s_waitcnt lgkmcnt(0)
	v_mfma_f32_16x16x16bf16_1k v[8:11], v[36:37], v[98:99], v[8:11]
	v_addc_co_u32_e32 v19, vcc, 0, v19, vcc
	v_cmp_le_i32_e32 vcc, s16, v90
	v_add_u32_e32 v94, 0x300, v94
	s_or_b64 s[18:19], vcc, s[18:19]
	v_mfma_f32_16x16x16bf16_1k v[4:7], v[52:53], v[98:99], v[4:7]
	v_mfma_f32_16x16x16bf16_1k v[0:3], v[66:67], v[98:99], v[0:3]
	;; [unrolled: 1-line block ×5, first 2 shown]
	ds_read2_b64 v[50:53], v93 offset0:16 offset1:20
	v_mfma_f32_16x16x16bf16_1k v[0:3], v[64:65], v[100:101], v[0:3]
	v_mfma_f32_16x16x16bf16_1k v[12:15], v[80:81], v[100:101], v[12:15]
	s_waitcnt lgkmcnt(0)
	v_mfma_f32_16x16x16bf16_1k v[8:11], v[30:31], v[50:51], v[8:11]
	v_mfma_f32_16x16x16bf16_1k v[4:7], v[46:47], v[50:51], v[4:7]
	;; [unrolled: 1-line block ×5, first 2 shown]
	ds_read2_b64 v[28:31], v93 offset0:24 offset1:28
	v_mfma_f32_16x16x16bf16_1k v[4:7], v[44:45], v[52:53], v[4:7]
	v_mfma_f32_16x16x16bf16_1k v[0:3], v[60:61], v[52:53], v[0:3]
	;; [unrolled: 1-line block ×3, first 2 shown]
	s_waitcnt lgkmcnt(0)
	v_mfma_f32_16x16x16bf16_1k v[8:11], v[26:27], v[28:29], v[8:11]
	v_mfma_f32_16x16x16bf16_1k v[4:7], v[42:43], v[28:29], v[4:7]
	v_mfma_f32_16x16x16bf16_1k v[0:3], v[58:59], v[28:29], v[0:3]
	v_mfma_f32_16x16x16bf16_1k v[12:15], v[74:75], v[28:29], v[12:15]
	v_mfma_f32_16x16x16bf16_1k v[8:11], v[24:25], v[30:31], v[8:11]
	ds_read2_b64 v[24:27], v93 offset0:32 offset1:36
	v_mfma_f32_16x16x16bf16_1k v[4:7], v[40:41], v[30:31], v[4:7]
	v_mfma_f32_16x16x16bf16_1k v[0:3], v[56:57], v[30:31], v[0:3]
	;; [unrolled: 1-line block ×3, first 2 shown]
	s_waitcnt lgkmcnt(0)
	v_mfma_f32_16x16x16bf16_1k v[8:11], v[22:23], v[24:25], v[8:11]
	v_mfma_f32_16x16x16bf16_1k v[4:7], v[38:39], v[24:25], v[4:7]
	v_mfma_f32_16x16x16bf16_1k v[0:3], v[54:55], v[24:25], v[0:3]
	v_mfma_f32_16x16x16bf16_1k v[12:15], v[70:71], v[24:25], v[12:15]
	v_mfma_f32_16x16x16bf16_1k v[8:11], v[20:21], v[26:27], v[8:11]
	v_mfma_f32_16x16x16bf16_1k v[4:7], v[34:35], v[26:27], v[4:7]
	v_mfma_f32_16x16x16bf16_1k v[0:3], v[48:49], v[26:27], v[0:3]
	v_mfma_f32_16x16x16bf16_1k v[12:15], v[68:69], v[26:27], v[12:15]
	s_andn2_b64 exec, exec, s[18:19]
	s_cbranch_execz .LBB139_186
.LBB139_43:                             ; =>This Inner Loop Header: Depth=1
	v_add_co_u32_e32 v20, vcc, s54, v18
	v_addc_co_u32_e32 v21, vcc, v19, v97, vcc
	global_load_dword v32, v[18:19], off
	global_load_dword v33, v[20:21], off
	v_add_u32_e32 v20, s66, v90
	v_ashrrev_i32_e32 v21, 31, v20
	v_readlane_b32 s36, v104, 29
	v_lshlrev_b64 v[20:21], 2, v[20:21]
	v_add_u32_e32 v22, s36, v90
	v_add_co_u32_e32 v20, vcc, s24, v20
	v_ashrrev_i32_e32 v23, 31, v22
	v_addc_co_u32_e32 v21, vcc, v95, v21, vcc
	v_lshlrev_b64 v[22:23], 2, v[22:23]
	v_add_u32_e32 v24, s68, v90
	v_add_co_u32_e32 v22, vcc, s24, v22
	v_ashrrev_i32_e32 v25, 31, v24
	v_readlane_b32 s36, v104, 30
	v_addc_co_u32_e32 v23, vcc, v95, v23, vcc
	v_lshlrev_b64 v[24:25], 2, v[24:25]
	v_add_u32_e32 v26, s36, v90
	v_add_co_u32_e32 v24, vcc, s24, v24
	v_ashrrev_i32_e32 v27, 31, v26
	v_readlane_b32 s36, v104, 31
	;; [unrolled: 6-line block ×3, first 2 shown]
	v_addc_co_u32_e32 v27, vcc, v95, v27, vcc
	v_lshlrev_b64 v[28:29], 2, v[28:29]
	v_add_u32_e32 v30, s36, v90
	v_add_co_u32_e32 v28, vcc, s24, v28
	v_ashrrev_i32_e32 v31, 31, v30
	v_addc_co_u32_e32 v29, vcc, v95, v29, vcc
	v_lshlrev_b64 v[30:31], 2, v[30:31]
	v_add_co_u32_e32 v30, vcc, s24, v30
	v_addc_co_u32_e32 v31, vcc, v95, v31, vcc
	global_load_dword v34, v[20:21], off
	global_load_dword v35, v[22:23], off
	;; [unrolled: 1-line block ×3, first 2 shown]
	s_nop 0
	global_load_dword v26, v[26:27], off
	s_nop 0
	global_load_dword v27, v[28:29], off
	;; [unrolled: 2-line block ×3, first 2 shown]
	v_add_u32_e32 v20, s72, v90
	v_readlane_b32 s36, v104, 33
	v_ashrrev_i32_e32 v21, 31, v20
	v_add_u32_e32 v22, s36, v90
	v_lshlrev_b64 v[20:21], 2, v[20:21]
	v_readlane_b32 s36, v104, 34
	v_ashrrev_i32_e32 v23, 31, v22
	v_add_co_u32_e32 v20, vcc, s24, v20
	v_add_u32_e32 v24, s36, v90
	v_lshlrev_b64 v[22:23], 2, v[22:23]
	v_addc_co_u32_e32 v21, vcc, v95, v21, vcc
	v_ashrrev_i32_e32 v25, 31, v24
	v_add_co_u32_e32 v22, vcc, s24, v22
	v_readlane_b32 s36, v104, 35
	v_lshlrev_b64 v[24:25], 2, v[24:25]
	v_addc_co_u32_e32 v23, vcc, v95, v23, vcc
	global_load_dword v20, v[20:21], off
	s_nop 0
	global_load_dword v21, v[22:23], off
	v_add_u32_e32 v22, s36, v90
	v_add_co_u32_e32 v24, vcc, s24, v24
	v_ashrrev_i32_e32 v23, 31, v22
	v_addc_co_u32_e32 v25, vcc, v95, v25, vcc
	v_lshlrev_b64 v[22:23], 2, v[22:23]
	v_readlane_b32 s36, v104, 36
	v_add_u32_e32 v60, s62, v90
	v_ashrrev_i32_e32 v61, 31, v60
	v_lshlrev_b64 v[60:61], 2, v[60:61]
	s_waitcnt vmcnt(9)
	ds_write_b32 v92, v32 offset:64
	s_waitcnt vmcnt(8)
	ds_write_b32 v92, v33 offset:328
	;; [unrolled: 2-line block ×8, first 2 shown]
	v_add_co_u32_e32 v26, vcc, s24, v22
	v_add_u32_e32 v22, s36, v90
	v_addc_co_u32_e32 v27, vcc, v95, v23, vcc
	v_ashrrev_i32_e32 v23, 31, v22
	v_lshlrev_b64 v[22:23], 2, v[22:23]
	v_add_co_u32_e32 v28, vcc, s24, v22
	v_add_u32_e32 v22, s77, v90
	v_addc_co_u32_e32 v29, vcc, v95, v23, vcc
	v_ashrrev_i32_e32 v23, 31, v22
	v_lshlrev_b64 v[22:23], 2, v[22:23]
	;; [unrolled: 5-line block ×6, first 2 shown]
	v_add_co_u32_e32 v38, vcc, s24, v22
	v_addc_co_u32_e32 v39, vcc, v95, v23, vcc
	global_load_dword v22, v[24:25], off
	global_load_dword v23, v[26:27], off
	s_nop 0
	global_load_dword v24, v[28:29], off
	global_load_dword v25, v[30:31], off
	global_load_dword v26, v[32:33], off
	global_load_dword v27, v[34:35], off
	s_nop 0
	global_load_dword v34, v[36:37], off
	global_load_dword v35, v[38:39], off
	v_add_u32_e32 v28, s55, v90
	v_ashrrev_i32_e32 v29, 31, v28
	v_lshlrev_b64 v[28:29], 2, v[28:29]
	v_add_u32_e32 v30, s82, v90
	v_add_co_u32_e32 v28, vcc, s24, v28
	v_ashrrev_i32_e32 v31, 31, v30
	v_addc_co_u32_e32 v29, vcc, v95, v29, vcc
	v_lshlrev_b64 v[30:31], 2, v[30:31]
	v_add_u32_e32 v32, s83, v90
	v_add_co_u32_e32 v30, vcc, s24, v30
	v_ashrrev_i32_e32 v33, 31, v32
	v_addc_co_u32_e32 v31, vcc, v95, v31, vcc
	v_lshlrev_b64 v[32:33], 2, v[32:33]
	v_add_u32_e32 v36, s84, v90
	v_add_co_u32_e32 v32, vcc, s24, v32
	v_ashrrev_i32_e32 v37, 31, v36
	v_addc_co_u32_e32 v33, vcc, v95, v33, vcc
	v_lshlrev_b64 v[36:37], 2, v[36:37]
	v_add_u32_e32 v38, s85, v90
	v_add_co_u32_e32 v36, vcc, s24, v36
	v_ashrrev_i32_e32 v39, 31, v38
	v_addc_co_u32_e32 v37, vcc, v95, v37, vcc
	v_lshlrev_b64 v[38:39], 2, v[38:39]
	v_add_co_u32_e32 v42, vcc, s24, v38
	v_add_u32_e32 v38, s86, v90
	v_addc_co_u32_e32 v43, vcc, v95, v39, vcc
	v_ashrrev_i32_e32 v39, 31, v38
	v_lshlrev_b64 v[38:39], 2, v[38:39]
	v_add_co_u32_e32 v44, vcc, s24, v38
	v_add_u32_e32 v38, s87, v90
	v_addc_co_u32_e32 v45, vcc, v95, v39, vcc
	v_ashrrev_i32_e32 v39, 31, v38
	;; [unrolled: 5-line block ×3, first 2 shown]
	v_lshlrev_b64 v[38:39], 2, v[38:39]
	v_add_co_u32_e32 v48, vcc, s24, v38
	v_addc_co_u32_e32 v49, vcc, v95, v39, vcc
	global_load_dword v38, v[28:29], off
	global_load_dword v39, v[30:31], off
	;; [unrolled: 1-line block ×4, first 2 shown]
	s_nop 0
	global_load_dword v42, v[42:43], off
	s_nop 0
	global_load_dword v43, v[44:45], off
	;; [unrolled: 2-line block ×3, first 2 shown]
	global_load_dword v45, v[48:49], off
	v_add_u32_e32 v28, s89, v90
	v_ashrrev_i32_e32 v29, 31, v28
	v_lshlrev_b64 v[28:29], 2, v[28:29]
	v_add_u32_e32 v30, s90, v90
	v_add_co_u32_e32 v28, vcc, s24, v28
	v_ashrrev_i32_e32 v31, 31, v30
	v_addc_co_u32_e32 v29, vcc, v95, v29, vcc
	v_lshlrev_b64 v[30:31], 2, v[30:31]
	v_add_u32_e32 v32, s91, v90
	v_add_co_u32_e32 v30, vcc, s24, v30
	v_ashrrev_i32_e32 v33, 31, v32
	v_addc_co_u32_e32 v31, vcc, v95, v31, vcc
	;; [unrolled: 5-line block ×4, first 2 shown]
	v_lshlrev_b64 v[46:47], 2, v[46:47]
	v_add_co_u32_e32 v48, vcc, s24, v46
	v_add_u32_e32 v46, s94, v90
	v_addc_co_u32_e32 v49, vcc, v95, v47, vcc
	v_ashrrev_i32_e32 v47, 31, v46
	v_lshlrev_b64 v[46:47], 2, v[46:47]
	v_add_co_u32_e32 v54, vcc, s24, v46
	v_add_u32_e32 v46, s95, v90
	v_addc_co_u32_e32 v55, vcc, v95, v47, vcc
	v_ashrrev_i32_e32 v47, 31, v46
	;; [unrolled: 5-line block ×3, first 2 shown]
	v_lshlrev_b64 v[46:47], 2, v[46:47]
	v_add_co_u32_e32 v58, vcc, s24, v46
	v_addc_co_u32_e32 v59, vcc, v95, v47, vcc
	global_load_dword v46, v[28:29], off
	global_load_dword v47, v[30:31], off
	;; [unrolled: 1-line block ×6, first 2 shown]
	s_nop 0
	global_load_dword v48, v[56:57], off
	global_load_dword v49, v[58:59], off
	v_add_u32_e32 v28, s11, v90
	v_ashrrev_i32_e32 v29, 31, v28
	v_lshlrev_b64 v[28:29], 2, v[28:29]
	v_add_u32_e32 v30, s27, v90
	v_add_co_u32_e32 v28, vcc, s24, v28
	v_ashrrev_i32_e32 v31, 31, v30
	v_addc_co_u32_e32 v29, vcc, v95, v29, vcc
	v_lshlrev_b64 v[30:31], 2, v[30:31]
	v_add_u32_e32 v32, s30, v90
	v_add_co_u32_e32 v30, vcc, s24, v30
	v_ashrrev_i32_e32 v33, 31, v32
	v_addc_co_u32_e32 v31, vcc, v95, v31, vcc
	;; [unrolled: 5-line block ×6, first 2 shown]
	v_lshlrev_b64 v[58:59], 2, v[58:59]
	v_add_co_u32_e32 v58, vcc, s24, v58
	v_addc_co_u32_e32 v59, vcc, v95, v59, vcc
	v_add_co_u32_e32 v60, vcc, s24, v60
	v_addc_co_u32_e32 v61, vcc, v95, v61, vcc
	global_load_dword v62, v[28:29], off
	global_load_dword v63, v[30:31], off
	;; [unrolled: 1-line block ×8, first 2 shown]
	v_add_u32_e32 v28, s63, v90
	v_ashrrev_i32_e32 v29, 31, v28
	v_lshlrev_b64 v[28:29], 2, v[28:29]
	v_add_u32_e32 v30, s64, v90
	v_add_co_u32_e32 v28, vcc, s24, v28
	v_ashrrev_i32_e32 v31, 31, v30
	v_addc_co_u32_e32 v29, vcc, v95, v29, vcc
	v_lshlrev_b64 v[30:31], 2, v[30:31]
	v_add_u32_e32 v32, s65, v90
	v_add_co_u32_e32 v30, vcc, s24, v30
	v_ashrrev_i32_e32 v33, 31, v32
	v_addc_co_u32_e32 v31, vcc, v95, v31, vcc
	;; [unrolled: 5-line block ×7, first 2 shown]
	v_lshlrev_b64 v[60:61], 2, v[60:61]
	v_add_co_u32_e32 v60, vcc, s24, v60
	v_addc_co_u32_e32 v61, vcc, v95, v61, vcc
	global_load_dword v70, v[28:29], off
	global_load_dword v71, v[30:31], off
	;; [unrolled: 1-line block ×8, first 2 shown]
	v_add_u32_e32 v28, s1, v90
	v_ashrrev_i32_e32 v29, 31, v28
	v_lshlrev_b64 v[28:29], 2, v[28:29]
	v_add_u32_e32 v30, s2, v90
	v_add_co_u32_e32 v28, vcc, s24, v28
	v_ashrrev_i32_e32 v31, 31, v30
	v_addc_co_u32_e32 v29, vcc, v95, v29, vcc
	v_lshlrev_b64 v[30:31], 2, v[30:31]
	v_add_u32_e32 v32, s3, v90
	v_add_co_u32_e32 v30, vcc, s24, v30
	v_ashrrev_i32_e32 v33, 31, v32
	v_addc_co_u32_e32 v31, vcc, v95, v31, vcc
	;; [unrolled: 5-line block ×7, first 2 shown]
	v_lshlrev_b64 v[60:61], 2, v[60:61]
	v_add_co_u32_e32 v60, vcc, s24, v60
	v_addc_co_u32_e32 v61, vcc, v95, v61, vcc
	global_load_dword v78, v[28:29], off
	global_load_dword v79, v[30:31], off
	;; [unrolled: 1-line block ×8, first 2 shown]
	v_add_u32_e32 v28, s8, v90
	v_ashrrev_i32_e32 v29, 31, v28
	v_lshlrev_b64 v[28:29], 2, v[28:29]
	v_add_u32_e32 v30, s67, v90
	v_add_co_u32_e32 v28, vcc, s24, v28
	v_ashrrev_i32_e32 v31, 31, v30
	v_addc_co_u32_e32 v29, vcc, v95, v29, vcc
	v_lshlrev_b64 v[30:31], 2, v[30:31]
	v_add_u32_e32 v32, s69, v90
	v_add_co_u32_e32 v30, vcc, s24, v30
	v_ashrrev_i32_e32 v33, 31, v32
	v_addc_co_u32_e32 v31, vcc, v95, v31, vcc
	;; [unrolled: 5-line block ×5, first 2 shown]
	v_lshlrev_b64 v[56:57], 2, v[56:57]
	v_add_co_u32_e32 v56, vcc, s24, v56
	v_addc_co_u32_e32 v57, vcc, v95, v57, vcc
	global_load_dword v98, v[28:29], off
	global_load_dword v99, v[30:31], off
	;; [unrolled: 1-line block ×6, first 2 shown]
	s_waitcnt vmcnt(55)
	ds_write_b32 v92, v20 offset:2176
	s_waitcnt vmcnt(54)
	ds_write_b32 v92, v21 offset:2440
	s_waitcnt vmcnt(53)
	ds_write_b32 v92, v22 offset:2704
	s_waitcnt vmcnt(52)
	ds_write_b32 v92, v23 offset:2968
	s_waitcnt vmcnt(51)
	ds_write_b32 v92, v24 offset:3232
	s_waitcnt vmcnt(50)
	ds_write_b32 v92, v25 offset:3496
	s_waitcnt vmcnt(49)
	ds_write_b32 v92, v26 offset:3760
	s_waitcnt vmcnt(48)
	ds_write_b32 v92, v27 offset:4024
	ds_read_b64 v[36:37], v93 offset:64
	ds_read_b64 v[32:33], v93 offset:96
	ds_read_b64 v[30:31], v93 offset:128
	ds_read_b64 v[28:29], v93 offset:160
	ds_read_b64 v[26:27], v93 offset:192
	ds_read_b64 v[24:25], v93 offset:224
	ds_read_b64 v[22:23], v93 offset:256
	ds_read_b64 v[20:21], v93 offset:288
	s_waitcnt vmcnt(47)
	ds_write_b32 v92, v34 offset:64
	s_waitcnt vmcnt(46)
	ds_write_b32 v92, v35 offset:328
	s_waitcnt vmcnt(45)
	ds_write_b32 v92, v38 offset:592
	s_waitcnt vmcnt(44)
	ds_write_b32 v92, v39 offset:856
	s_waitcnt vmcnt(43)
	ds_write_b32 v92, v40 offset:1120
	s_waitcnt vmcnt(42)
	ds_write_b32 v92, v41 offset:1384
	s_waitcnt vmcnt(41)
	ds_write_b32 v92, v42 offset:1648
	s_waitcnt vmcnt(40)
	ds_write_b32 v92, v43 offset:1912
	s_waitcnt vmcnt(39)
	ds_write_b32 v92, v44 offset:2176
	s_waitcnt vmcnt(38)
	ds_write_b32 v92, v45 offset:2440
	s_waitcnt vmcnt(37)
	ds_write_b32 v92, v46 offset:2704
	s_waitcnt vmcnt(36)
	ds_write_b32 v92, v47 offset:2968
	s_waitcnt vmcnt(35)
	ds_write_b32 v92, v50 offset:3232
	s_waitcnt vmcnt(34)
	ds_write_b32 v92, v51 offset:3496
	s_waitcnt vmcnt(33)
	ds_write_b32 v92, v52 offset:3760
	s_waitcnt vmcnt(32)
	ds_write_b32 v92, v53 offset:4024
	ds_read_b64 v[52:53], v93 offset:64
	ds_read_b64 v[50:51], v93 offset:96
	ds_read_b64 v[46:47], v93 offset:128
	ds_read_b64 v[44:45], v93 offset:160
	ds_read_b64 v[42:43], v93 offset:192
	ds_read_b64 v[40:41], v93 offset:224
	ds_read_b64 v[38:39], v93 offset:256
	ds_read_b64 v[34:35], v93 offset:288
	s_waitcnt vmcnt(31)
	ds_write_b32 v92, v48 offset:64
	s_waitcnt vmcnt(30)
	ds_write_b32 v92, v49 offset:328
	s_waitcnt vmcnt(29)
	ds_write_b32 v92, v62 offset:592
	s_waitcnt vmcnt(28)
	ds_write_b32 v92, v63 offset:856
	s_waitcnt vmcnt(27)
	ds_write_b32 v92, v64 offset:1120
	s_waitcnt vmcnt(26)
	ds_write_b32 v92, v65 offset:1384
	s_waitcnt vmcnt(25)
	ds_write_b32 v92, v66 offset:1648
	s_waitcnt vmcnt(24)
	ds_write_b32 v92, v67 offset:1912
	;; [unrolled: 40-line block ×3, first 2 shown]
	s_waitcnt vmcnt(7)
	ds_write_b32 v92, v84 offset:2176
	s_waitcnt vmcnt(6)
	ds_write_b32 v92, v85 offset:2440
	;; [unrolled: 2-line block ×8, first 2 shown]
	ds_read_b64 v[82:83], v93 offset:64
	ds_read_b64 v[80:81], v93 offset:96
	;; [unrolled: 1-line block ×8, first 2 shown]
	s_andn2_b64 vcc, exec, s[6:7]
	v_mov_b32_e32 v84, 0
	v_mov_b32_e32 v85, 0
	s_cbranch_vccnz .LBB139_46
; %bb.44:                               ;   in Loop: Header=BB139_43 Depth=1
	ds_read_b32 v98, v91
	v_mov_b32_e32 v85, 0
	v_mov_b32_e32 v84, 0
	s_waitcnt lgkmcnt(0)
	v_cmp_gt_i32_e32 vcc, 0, v98
	s_cbranch_vccnz .LBB139_46
; %bb.45:                               ;   in Loop: Header=BB139_43 Depth=1
	v_mul_lo_u32 v84, v98, s25
	v_add_u32_e32 v84, v94, v84
	v_ashrrev_i32_e32 v85, 31, v84
	v_lshlrev_b64 v[84:85], 2, v[84:85]
	v_mov_b32_e32 v98, s33
	v_add_co_u32_e32 v84, vcc, s31, v84
	v_addc_co_u32_e32 v85, vcc, v98, v85, vcc
	global_load_dwordx2 v[84:85], v[84:85], off
.LBB139_46:                             ;   in Loop: Header=BB139_43 Depth=1
	s_waitcnt vmcnt(0)
	v_and_b32_e32 v98, 0x7f800000, v84
	v_cmp_ne_u32_e32 vcc, s74, v98
                                        ; implicit-def: $vgpr98
	s_and_saveexec_b64 s[36:37], vcc
	s_xor_b64 s[36:37], exec, s[36:37]
; %bb.47:                               ;   in Loop: Header=BB139_43 Depth=1
	v_bfe_u32 v98, v84, 16, 1
	v_add3_u32 v98, v84, v98, s75
; %bb.48:                               ;   in Loop: Header=BB139_43 Depth=1
	s_andn2_saveexec_b64 s[36:37], s[36:37]
; %bb.49:                               ;   in Loop: Header=BB139_43 Depth=1
	v_or_b32_e32 v98, 0x10000, v84
	v_cmp_eq_u32_sdwa vcc, v84, v96 src0_sel:WORD_0 src1_sel:DWORD
	v_cndmask_b32_e32 v98, v98, v84, vcc
; %bb.50:                               ;   in Loop: Header=BB139_43 Depth=1
	s_or_b64 exec, exec, s[36:37]
	v_and_b32_e32 v84, 0x7f800000, v85
	v_cmp_ne_u32_e32 vcc, s74, v84
                                        ; implicit-def: $vgpr84
	s_and_saveexec_b64 s[36:37], vcc
	s_xor_b64 s[36:37], exec, s[36:37]
; %bb.51:                               ;   in Loop: Header=BB139_43 Depth=1
	v_bfe_u32 v84, v85, 16, 1
	v_add3_u32 v84, v85, v84, s75
                                        ; implicit-def: $vgpr85
; %bb.52:                               ;   in Loop: Header=BB139_43 Depth=1
	s_andn2_saveexec_b64 s[36:37], s[36:37]
; %bb.53:                               ;   in Loop: Header=BB139_43 Depth=1
	v_or_b32_e32 v84, 0x10000, v85
	v_cmp_eq_u32_sdwa vcc, v85, v96 src0_sel:WORD_0 src1_sel:DWORD
	v_cndmask_b32_e32 v84, v84, v85, vcc
; %bb.54:                               ;   in Loop: Header=BB139_43 Depth=1
	s_or_b64 exec, exec, s[36:37]
	v_perm_b32 v84, v84, v98, s76
	ds_write_b32 v92, v84 offset:64
	s_andn2_b64 vcc, exec, s[14:15]
	v_mov_b32_e32 v84, 0
	v_mov_b32_e32 v85, 0
	s_cbranch_vccnz .LBB139_57
; %bb.55:                               ;   in Loop: Header=BB139_43 Depth=1
	ds_read_b32 v98, v91 offset:4
	v_mov_b32_e32 v85, 0
	v_mov_b32_e32 v84, 0
	s_waitcnt lgkmcnt(0)
	v_cmp_gt_i32_e32 vcc, 0, v98
	s_cbranch_vccnz .LBB139_57
; %bb.56:                               ;   in Loop: Header=BB139_43 Depth=1
	v_mul_lo_u32 v84, v98, s25
	v_readlane_b32 s36, v104, 28
	v_add_u32_e32 v84, s36, v84
	v_add_u32_e32 v84, v84, v94
	v_ashrrev_i32_e32 v85, 31, v84
	v_lshlrev_b64 v[84:85], 2, v[84:85]
	v_mov_b32_e32 v98, s33
	v_add_co_u32_e32 v84, vcc, s31, v84
	v_addc_co_u32_e32 v85, vcc, v98, v85, vcc
	global_load_dwordx2 v[84:85], v[84:85], off
.LBB139_57:                             ;   in Loop: Header=BB139_43 Depth=1
	s_waitcnt vmcnt(0)
	v_and_b32_e32 v98, 0x7f800000, v84
	v_cmp_ne_u32_e32 vcc, s74, v98
                                        ; implicit-def: $vgpr98
	s_and_saveexec_b64 s[36:37], vcc
	s_xor_b64 s[36:37], exec, s[36:37]
; %bb.58:                               ;   in Loop: Header=BB139_43 Depth=1
	v_bfe_u32 v98, v84, 16, 1
	v_add3_u32 v98, v84, v98, s75
; %bb.59:                               ;   in Loop: Header=BB139_43 Depth=1
	s_andn2_saveexec_b64 s[36:37], s[36:37]
; %bb.60:                               ;   in Loop: Header=BB139_43 Depth=1
	v_or_b32_e32 v98, 0x10000, v84
	v_cmp_eq_u32_sdwa vcc, v84, v96 src0_sel:WORD_0 src1_sel:DWORD
	v_cndmask_b32_e32 v98, v98, v84, vcc
; %bb.61:                               ;   in Loop: Header=BB139_43 Depth=1
	s_or_b64 exec, exec, s[36:37]
	v_and_b32_e32 v84, 0x7f800000, v85
	v_cmp_ne_u32_e32 vcc, s74, v84
                                        ; implicit-def: $vgpr84
	s_and_saveexec_b64 s[36:37], vcc
	s_xor_b64 s[36:37], exec, s[36:37]
; %bb.62:                               ;   in Loop: Header=BB139_43 Depth=1
	v_bfe_u32 v84, v85, 16, 1
	v_add3_u32 v84, v85, v84, s75
                                        ; implicit-def: $vgpr85
; %bb.63:                               ;   in Loop: Header=BB139_43 Depth=1
	s_andn2_saveexec_b64 s[36:37], s[36:37]
; %bb.64:                               ;   in Loop: Header=BB139_43 Depth=1
	v_or_b32_e32 v84, 0x10000, v85
	v_cmp_eq_u32_sdwa vcc, v85, v96 src0_sel:WORD_0 src1_sel:DWORD
	v_cndmask_b32_e32 v84, v84, v85, vcc
; %bb.65:                               ;   in Loop: Header=BB139_43 Depth=1
	s_or_b64 exec, exec, s[36:37]
	v_perm_b32 v84, v84, v98, s76
	ds_write_b32 v92, v84 offset:328
	s_andn2_b64 vcc, exec, s[22:23]
	v_mov_b32_e32 v84, 0
	v_mov_b32_e32 v85, 0
	s_cbranch_vccnz .LBB139_68
; %bb.66:                               ;   in Loop: Header=BB139_43 Depth=1
	ds_read_b32 v98, v91 offset:8
	v_mov_b32_e32 v85, 0
	v_mov_b32_e32 v84, 0
	s_waitcnt lgkmcnt(0)
	v_cmp_gt_i32_e32 vcc, 0, v98
	s_cbranch_vccnz .LBB139_68
; %bb.67:                               ;   in Loop: Header=BB139_43 Depth=1
	v_mul_lo_u32 v84, v98, s25
	v_readlane_b32 s36, v104, 16
	v_add_u32_e32 v84, s36, v84
	v_add_u32_e32 v84, v84, v94
	v_ashrrev_i32_e32 v85, 31, v84
	v_lshlrev_b64 v[84:85], 2, v[84:85]
	v_mov_b32_e32 v98, s33
	v_add_co_u32_e32 v84, vcc, s31, v84
	v_addc_co_u32_e32 v85, vcc, v98, v85, vcc
	global_load_dwordx2 v[84:85], v[84:85], off
.LBB139_68:                             ;   in Loop: Header=BB139_43 Depth=1
	s_waitcnt vmcnt(0)
	v_and_b32_e32 v98, 0x7f800000, v84
	v_cmp_ne_u32_e32 vcc, s74, v98
                                        ; implicit-def: $vgpr98
	s_and_saveexec_b64 s[36:37], vcc
	s_xor_b64 s[36:37], exec, s[36:37]
; %bb.69:                               ;   in Loop: Header=BB139_43 Depth=1
	v_bfe_u32 v98, v84, 16, 1
	v_add3_u32 v98, v84, v98, s75
; %bb.70:                               ;   in Loop: Header=BB139_43 Depth=1
	s_andn2_saveexec_b64 s[36:37], s[36:37]
; %bb.71:                               ;   in Loop: Header=BB139_43 Depth=1
	v_or_b32_e32 v98, 0x10000, v84
	v_cmp_eq_u32_sdwa vcc, v84, v96 src0_sel:WORD_0 src1_sel:DWORD
	v_cndmask_b32_e32 v98, v98, v84, vcc
; %bb.72:                               ;   in Loop: Header=BB139_43 Depth=1
	s_or_b64 exec, exec, s[36:37]
	v_and_b32_e32 v84, 0x7f800000, v85
	v_cmp_ne_u32_e32 vcc, s74, v84
                                        ; implicit-def: $vgpr84
	s_and_saveexec_b64 s[36:37], vcc
	s_xor_b64 s[36:37], exec, s[36:37]
; %bb.73:                               ;   in Loop: Header=BB139_43 Depth=1
	v_bfe_u32 v84, v85, 16, 1
	v_add3_u32 v84, v85, v84, s75
                                        ; implicit-def: $vgpr85
; %bb.74:                               ;   in Loop: Header=BB139_43 Depth=1
	s_andn2_saveexec_b64 s[36:37], s[36:37]
; %bb.75:                               ;   in Loop: Header=BB139_43 Depth=1
	v_or_b32_e32 v84, 0x10000, v85
	v_cmp_eq_u32_sdwa vcc, v85, v96 src0_sel:WORD_0 src1_sel:DWORD
	v_cndmask_b32_e32 v84, v84, v85, vcc
; %bb.76:                               ;   in Loop: Header=BB139_43 Depth=1
	s_or_b64 exec, exec, s[36:37]
	v_perm_b32 v84, v84, v98, s76
	ds_write_b32 v92, v84 offset:592
	s_andn2_b64 vcc, exec, s[28:29]
	v_mov_b32_e32 v84, 0
	v_mov_b32_e32 v85, 0
	s_cbranch_vccnz .LBB139_79
; %bb.77:                               ;   in Loop: Header=BB139_43 Depth=1
	ds_read_b32 v98, v91 offset:12
	v_mov_b32_e32 v85, 0
	v_mov_b32_e32 v84, 0
	s_waitcnt lgkmcnt(0)
	v_cmp_gt_i32_e32 vcc, 0, v98
	s_cbranch_vccnz .LBB139_79
; %bb.78:                               ;   in Loop: Header=BB139_43 Depth=1
	v_mul_lo_u32 v84, v98, s25
	v_readlane_b32 s36, v104, 18
	v_add_u32_e32 v84, s36, v84
	v_add_u32_e32 v84, v84, v94
	v_ashrrev_i32_e32 v85, 31, v84
	v_lshlrev_b64 v[84:85], 2, v[84:85]
	v_mov_b32_e32 v98, s33
	v_add_co_u32_e32 v84, vcc, s31, v84
	v_addc_co_u32_e32 v85, vcc, v98, v85, vcc
	global_load_dwordx2 v[84:85], v[84:85], off
.LBB139_79:                             ;   in Loop: Header=BB139_43 Depth=1
	s_waitcnt vmcnt(0)
	v_and_b32_e32 v98, 0x7f800000, v84
	v_cmp_ne_u32_e32 vcc, s74, v98
                                        ; implicit-def: $vgpr98
	s_and_saveexec_b64 s[36:37], vcc
	s_xor_b64 s[36:37], exec, s[36:37]
; %bb.80:                               ;   in Loop: Header=BB139_43 Depth=1
	v_bfe_u32 v98, v84, 16, 1
	v_add3_u32 v98, v84, v98, s75
; %bb.81:                               ;   in Loop: Header=BB139_43 Depth=1
	s_andn2_saveexec_b64 s[36:37], s[36:37]
; %bb.82:                               ;   in Loop: Header=BB139_43 Depth=1
	v_or_b32_e32 v98, 0x10000, v84
	v_cmp_eq_u32_sdwa vcc, v84, v96 src0_sel:WORD_0 src1_sel:DWORD
	v_cndmask_b32_e32 v98, v98, v84, vcc
; %bb.83:                               ;   in Loop: Header=BB139_43 Depth=1
	s_or_b64 exec, exec, s[36:37]
	v_and_b32_e32 v84, 0x7f800000, v85
	v_cmp_ne_u32_e32 vcc, s74, v84
                                        ; implicit-def: $vgpr84
	s_and_saveexec_b64 s[36:37], vcc
	s_xor_b64 s[36:37], exec, s[36:37]
; %bb.84:                               ;   in Loop: Header=BB139_43 Depth=1
	v_bfe_u32 v84, v85, 16, 1
	v_add3_u32 v84, v85, v84, s75
                                        ; implicit-def: $vgpr85
; %bb.85:                               ;   in Loop: Header=BB139_43 Depth=1
	s_andn2_saveexec_b64 s[36:37], s[36:37]
; %bb.86:                               ;   in Loop: Header=BB139_43 Depth=1
	v_or_b32_e32 v84, 0x10000, v85
	v_cmp_eq_u32_sdwa vcc, v85, v96 src0_sel:WORD_0 src1_sel:DWORD
	v_cndmask_b32_e32 v84, v84, v85, vcc
; %bb.87:                               ;   in Loop: Header=BB139_43 Depth=1
	s_or_b64 exec, exec, s[36:37]
	v_perm_b32 v84, v84, v98, s76
	ds_write_b32 v92, v84 offset:856
	s_andn2_b64 vcc, exec, s[34:35]
	v_mov_b32_e32 v84, 0
	v_mov_b32_e32 v85, 0
	s_cbranch_vccnz .LBB139_90
; %bb.88:                               ;   in Loop: Header=BB139_43 Depth=1
	ds_read_b32 v98, v91 offset:16
	v_mov_b32_e32 v85, 0
	v_mov_b32_e32 v84, 0
	s_waitcnt lgkmcnt(0)
	v_cmp_gt_i32_e32 vcc, 0, v98
	s_cbranch_vccnz .LBB139_90
; %bb.89:                               ;   in Loop: Header=BB139_43 Depth=1
	v_mul_lo_u32 v84, v98, s25
	v_readlane_b32 s36, v104, 17
	v_add_u32_e32 v84, s36, v84
	v_add_u32_e32 v84, v84, v94
	v_ashrrev_i32_e32 v85, 31, v84
	v_lshlrev_b64 v[84:85], 2, v[84:85]
	v_mov_b32_e32 v98, s33
	v_add_co_u32_e32 v84, vcc, s31, v84
	v_addc_co_u32_e32 v85, vcc, v98, v85, vcc
	global_load_dwordx2 v[84:85], v[84:85], off
.LBB139_90:                             ;   in Loop: Header=BB139_43 Depth=1
	s_waitcnt vmcnt(0)
	v_and_b32_e32 v98, 0x7f800000, v84
	v_cmp_ne_u32_e32 vcc, s74, v98
                                        ; implicit-def: $vgpr98
	s_and_saveexec_b64 s[36:37], vcc
	s_xor_b64 s[36:37], exec, s[36:37]
; %bb.91:                               ;   in Loop: Header=BB139_43 Depth=1
	v_bfe_u32 v98, v84, 16, 1
	v_add3_u32 v98, v84, v98, s75
; %bb.92:                               ;   in Loop: Header=BB139_43 Depth=1
	s_andn2_saveexec_b64 s[36:37], s[36:37]
; %bb.93:                               ;   in Loop: Header=BB139_43 Depth=1
	v_or_b32_e32 v98, 0x10000, v84
	v_cmp_eq_u32_sdwa vcc, v84, v96 src0_sel:WORD_0 src1_sel:DWORD
	v_cndmask_b32_e32 v98, v98, v84, vcc
; %bb.94:                               ;   in Loop: Header=BB139_43 Depth=1
	s_or_b64 exec, exec, s[36:37]
	v_and_b32_e32 v84, 0x7f800000, v85
	v_cmp_ne_u32_e32 vcc, s74, v84
                                        ; implicit-def: $vgpr84
	s_and_saveexec_b64 s[36:37], vcc
	s_xor_b64 s[36:37], exec, s[36:37]
; %bb.95:                               ;   in Loop: Header=BB139_43 Depth=1
	v_bfe_u32 v84, v85, 16, 1
	v_add3_u32 v84, v85, v84, s75
                                        ; implicit-def: $vgpr85
; %bb.96:                               ;   in Loop: Header=BB139_43 Depth=1
	s_andn2_saveexec_b64 s[36:37], s[36:37]
; %bb.97:                               ;   in Loop: Header=BB139_43 Depth=1
	v_or_b32_e32 v84, 0x10000, v85
	v_cmp_eq_u32_sdwa vcc, v85, v96 src0_sel:WORD_0 src1_sel:DWORD
	v_cndmask_b32_e32 v84, v84, v85, vcc
; %bb.98:                               ;   in Loop: Header=BB139_43 Depth=1
	s_or_b64 exec, exec, s[36:37]
	v_perm_b32 v84, v84, v98, s76
	ds_write_b32 v92, v84 offset:1120
	s_andn2_b64 vcc, exec, s[38:39]
	v_mov_b32_e32 v84, 0
	v_mov_b32_e32 v85, 0
	s_cbranch_vccnz .LBB139_101
; %bb.99:                               ;   in Loop: Header=BB139_43 Depth=1
	ds_read_b32 v98, v91 offset:20
	v_mov_b32_e32 v85, 0
	v_mov_b32_e32 v84, 0
	s_waitcnt lgkmcnt(0)
	v_cmp_gt_i32_e32 vcc, 0, v98
	s_cbranch_vccnz .LBB139_101
; %bb.100:                              ;   in Loop: Header=BB139_43 Depth=1
	v_mul_lo_u32 v84, v98, s25
	v_readlane_b32 s36, v104, 20
	v_add_u32_e32 v84, s36, v84
	v_add_u32_e32 v84, v84, v94
	v_ashrrev_i32_e32 v85, 31, v84
	v_lshlrev_b64 v[84:85], 2, v[84:85]
	v_mov_b32_e32 v98, s33
	v_add_co_u32_e32 v84, vcc, s31, v84
	v_addc_co_u32_e32 v85, vcc, v98, v85, vcc
	global_load_dwordx2 v[84:85], v[84:85], off
.LBB139_101:                            ;   in Loop: Header=BB139_43 Depth=1
	s_waitcnt vmcnt(0)
	v_and_b32_e32 v98, 0x7f800000, v84
	v_cmp_ne_u32_e32 vcc, s74, v98
                                        ; implicit-def: $vgpr98
	s_and_saveexec_b64 s[36:37], vcc
	s_xor_b64 s[36:37], exec, s[36:37]
; %bb.102:                              ;   in Loop: Header=BB139_43 Depth=1
	v_bfe_u32 v98, v84, 16, 1
	v_add3_u32 v98, v84, v98, s75
; %bb.103:                              ;   in Loop: Header=BB139_43 Depth=1
	s_andn2_saveexec_b64 s[36:37], s[36:37]
; %bb.104:                              ;   in Loop: Header=BB139_43 Depth=1
	v_or_b32_e32 v98, 0x10000, v84
	v_cmp_eq_u32_sdwa vcc, v84, v96 src0_sel:WORD_0 src1_sel:DWORD
	v_cndmask_b32_e32 v98, v98, v84, vcc
; %bb.105:                              ;   in Loop: Header=BB139_43 Depth=1
	s_or_b64 exec, exec, s[36:37]
	v_and_b32_e32 v84, 0x7f800000, v85
	v_cmp_ne_u32_e32 vcc, s74, v84
                                        ; implicit-def: $vgpr84
	s_and_saveexec_b64 s[36:37], vcc
	s_xor_b64 s[36:37], exec, s[36:37]
; %bb.106:                              ;   in Loop: Header=BB139_43 Depth=1
	v_bfe_u32 v84, v85, 16, 1
	v_add3_u32 v84, v85, v84, s75
                                        ; implicit-def: $vgpr85
; %bb.107:                              ;   in Loop: Header=BB139_43 Depth=1
	s_andn2_saveexec_b64 s[36:37], s[36:37]
; %bb.108:                              ;   in Loop: Header=BB139_43 Depth=1
	v_or_b32_e32 v84, 0x10000, v85
	v_cmp_eq_u32_sdwa vcc, v85, v96 src0_sel:WORD_0 src1_sel:DWORD
	v_cndmask_b32_e32 v84, v84, v85, vcc
; %bb.109:                              ;   in Loop: Header=BB139_43 Depth=1
	s_or_b64 exec, exec, s[36:37]
	v_perm_b32 v84, v84, v98, s76
	ds_write_b32 v92, v84 offset:1384
	s_andn2_b64 vcc, exec, s[40:41]
	v_mov_b32_e32 v84, 0
	v_mov_b32_e32 v85, 0
	s_cbranch_vccnz .LBB139_112
; %bb.110:                              ;   in Loop: Header=BB139_43 Depth=1
	ds_read_b32 v98, v91 offset:24
	v_mov_b32_e32 v85, 0
	v_mov_b32_e32 v84, 0
	s_waitcnt lgkmcnt(0)
	v_cmp_gt_i32_e32 vcc, 0, v98
	s_cbranch_vccnz .LBB139_112
; %bb.111:                              ;   in Loop: Header=BB139_43 Depth=1
	v_mul_lo_u32 v84, v98, s25
	v_readlane_b32 s36, v104, 22
	v_add_u32_e32 v84, s36, v84
	v_add_u32_e32 v84, v84, v94
	v_ashrrev_i32_e32 v85, 31, v84
	v_lshlrev_b64 v[84:85], 2, v[84:85]
	v_mov_b32_e32 v98, s33
	v_add_co_u32_e32 v84, vcc, s31, v84
	v_addc_co_u32_e32 v85, vcc, v98, v85, vcc
	global_load_dwordx2 v[84:85], v[84:85], off
.LBB139_112:                            ;   in Loop: Header=BB139_43 Depth=1
	s_waitcnt vmcnt(0)
	v_and_b32_e32 v98, 0x7f800000, v84
	v_cmp_ne_u32_e32 vcc, s74, v98
                                        ; implicit-def: $vgpr98
	s_and_saveexec_b64 s[36:37], vcc
	s_xor_b64 s[36:37], exec, s[36:37]
; %bb.113:                              ;   in Loop: Header=BB139_43 Depth=1
	v_bfe_u32 v98, v84, 16, 1
	v_add3_u32 v98, v84, v98, s75
; %bb.114:                              ;   in Loop: Header=BB139_43 Depth=1
	s_andn2_saveexec_b64 s[36:37], s[36:37]
; %bb.115:                              ;   in Loop: Header=BB139_43 Depth=1
	v_or_b32_e32 v98, 0x10000, v84
	v_cmp_eq_u32_sdwa vcc, v84, v96 src0_sel:WORD_0 src1_sel:DWORD
	v_cndmask_b32_e32 v98, v98, v84, vcc
; %bb.116:                              ;   in Loop: Header=BB139_43 Depth=1
	s_or_b64 exec, exec, s[36:37]
	v_and_b32_e32 v84, 0x7f800000, v85
	v_cmp_ne_u32_e32 vcc, s74, v84
                                        ; implicit-def: $vgpr84
	s_and_saveexec_b64 s[36:37], vcc
	s_xor_b64 s[36:37], exec, s[36:37]
; %bb.117:                              ;   in Loop: Header=BB139_43 Depth=1
	v_bfe_u32 v84, v85, 16, 1
	v_add3_u32 v84, v85, v84, s75
                                        ; implicit-def: $vgpr85
; %bb.118:                              ;   in Loop: Header=BB139_43 Depth=1
	s_andn2_saveexec_b64 s[36:37], s[36:37]
; %bb.119:                              ;   in Loop: Header=BB139_43 Depth=1
	v_or_b32_e32 v84, 0x10000, v85
	v_cmp_eq_u32_sdwa vcc, v85, v96 src0_sel:WORD_0 src1_sel:DWORD
	v_cndmask_b32_e32 v84, v84, v85, vcc
; %bb.120:                              ;   in Loop: Header=BB139_43 Depth=1
	s_or_b64 exec, exec, s[36:37]
	v_perm_b32 v84, v84, v98, s76
	ds_write_b32 v92, v84 offset:1648
	s_andn2_b64 vcc, exec, s[42:43]
	v_mov_b32_e32 v84, 0
	v_mov_b32_e32 v85, 0
	s_cbranch_vccnz .LBB139_123
; %bb.121:                              ;   in Loop: Header=BB139_43 Depth=1
	ds_read_b32 v98, v91 offset:28
	v_mov_b32_e32 v85, 0
	v_mov_b32_e32 v84, 0
	s_waitcnt lgkmcnt(0)
	v_cmp_gt_i32_e32 vcc, 0, v98
	s_cbranch_vccnz .LBB139_123
; %bb.122:                              ;   in Loop: Header=BB139_43 Depth=1
	v_mul_lo_u32 v84, v98, s25
	v_readlane_b32 s36, v104, 27
	v_add_u32_e32 v84, s36, v84
	v_add_u32_e32 v84, v84, v94
	v_ashrrev_i32_e32 v85, 31, v84
	v_lshlrev_b64 v[84:85], 2, v[84:85]
	v_mov_b32_e32 v98, s33
	v_add_co_u32_e32 v84, vcc, s31, v84
	v_addc_co_u32_e32 v85, vcc, v98, v85, vcc
	global_load_dwordx2 v[84:85], v[84:85], off
.LBB139_123:                            ;   in Loop: Header=BB139_43 Depth=1
	;; [unrolled: 59-line block ×7, first 2 shown]
	s_waitcnt vmcnt(0)
	v_and_b32_e32 v98, 0x7f800000, v84
	v_cmp_ne_u32_e32 vcc, s74, v98
                                        ; implicit-def: $vgpr98
	s_and_saveexec_b64 s[36:37], vcc
	s_xor_b64 s[36:37], exec, s[36:37]
; %bb.179:                              ;   in Loop: Header=BB139_43 Depth=1
	v_bfe_u32 v98, v84, 16, 1
	v_add3_u32 v98, v84, v98, s75
; %bb.180:                              ;   in Loop: Header=BB139_43 Depth=1
	s_andn2_saveexec_b64 s[36:37], s[36:37]
; %bb.181:                              ;   in Loop: Header=BB139_43 Depth=1
	v_or_b32_e32 v98, 0x10000, v84
	v_cmp_eq_u32_sdwa vcc, v84, v96 src0_sel:WORD_0 src1_sel:DWORD
	v_cndmask_b32_e32 v98, v98, v84, vcc
; %bb.182:                              ;   in Loop: Header=BB139_43 Depth=1
	s_or_b64 exec, exec, s[36:37]
	v_and_b32_e32 v84, 0x7f800000, v85
	v_cmp_ne_u32_e32 vcc, s74, v84
                                        ; implicit-def: $vgpr84
	s_and_saveexec_b64 s[36:37], vcc
	s_xor_b64 s[36:37], exec, s[36:37]
; %bb.183:                              ;   in Loop: Header=BB139_43 Depth=1
	v_bfe_u32 v84, v85, 16, 1
	v_add3_u32 v84, v85, v84, s75
                                        ; implicit-def: $vgpr85
; %bb.184:                              ;   in Loop: Header=BB139_43 Depth=1
	s_andn2_saveexec_b64 s[36:37], s[36:37]
	s_cbranch_execz .LBB139_42
; %bb.185:                              ;   in Loop: Header=BB139_43 Depth=1
	v_or_b32_e32 v84, 0x10000, v85
	v_cmp_eq_u32_sdwa vcc, v85, v96 src0_sel:WORD_0 src1_sel:DWORD
	v_cndmask_b32_e32 v84, v84, v85, vcc
	s_branch .LBB139_42
.LBB139_186:
	s_or_b64 exec, exec, s[18:19]
	v_readlane_b32 s42, v104, 8
	v_readlane_b32 s28, v104, 12
	;; [unrolled: 1-line block ×9, first 2 shown]
.LBB139_187:
	v_readlane_b32 s0, v104, 6
	v_readlane_b32 s1, v104, 7
	s_or_b64 exec, exec, s[0:1]
	v_mul_u32_u24_e32 v18, 0x608, v89
	s_movk_i32 s1, 0x100
	v_lshlrev_b32_e32 v19, 2, v88
	v_add3_u32 v18, s1, v18, v19
	v_and_b32_e32 v20, 0x3f0, v16
	v_add_u32_e32 v21, v18, v20
	s_barrier
	v_add_u32_e32 v19, 64, v18
	ds_write2_b32 v21, v8, v9 offset0:16 offset1:17
	v_or_b32_e32 v9, 12, v16
	v_add_u32_e32 v8, v19, v20
	v_and_b32_e32 v9, 0x3fc, v9
	ds_write_b32 v8, v10 offset:8
	v_add_u32_e32 v10, v18, v9
	ds_write_b32 v10, v11 offset:64
	ds_write2_b32 v8, v4, v5 offset0:16 offset1:17
	ds_write_b32 v8, v6 offset:72
	v_add_u32_e32 v4, v19, v9
	v_mov_b32_e32 v6, 0x100
	s_movk_i32 s0, 0x608
	ds_write_b32 v4, v7 offset:64
	ds_write2_b32 v8, v0, v1 offset0:32 offset1:33
	ds_write_b32 v8, v2 offset:136
	ds_write_b32 v4, v3 offset:128
	ds_write2_b32 v8, v12, v13 offset0:48 offset1:49
	ds_write_b32 v8, v14 offset:200
	ds_write_b32 v4, v15 offset:192
	v_lshl_add_u32 v7, v16, 2, v6
	v_mad_u32_u24 v2, v17, s0, v7
	s_waitcnt lgkmcnt(0)
	s_barrier
	ds_read2_b32 v[4:5], v2 offset0:16 offset1:80
	ds_read2_b32 v[0:1], v2 offset0:144 offset1:208
	v_add_u32_e32 v2, 64, v2
	ds_read2st64_b32 v[2:3], v2 offset0:4 offset1:5
	v_cmp_gt_u32_e32 vcc, 13, v17
	v_mov_b32_e32 v9, -1
	s_and_saveexec_b64 s[4:5], vcc
	s_cbranch_execz .LBB139_189
; %bb.188:
	v_lshl_add_u32 v6, v17, 2, v6
	ds_read_b32 v9, v6
.LBB139_189:
	s_or_b64 exec, exec, s[4:5]
	s_mul_hi_i32 s1, s30, s8
	s_mul_i32 s0, s30, s8
	s_lshl_b64 s[0:1], s[0:1], 2
	v_readlane_b32 s4, v104, 4
	s_mul_hi_i32 s3, s52, s21
	s_mul_i32 s2, s52, s21
	v_readlane_b32 s5, v104, 5
	s_add_u32 s4, s4, s0
	s_addc_u32 s5, s5, s1
	s_lshl_b64 s[0:1], s[2:3], 2
	s_add_u32 s2, s4, s0
	s_waitcnt lgkmcnt(0)
	v_cmp_lt_i32_e32 vcc, -1, v9
	v_mul_u32_u24_e32 v8, 0x608, v17
	v_add_u32_e32 v6, s6, v16
	s_addc_u32 s3, s5, s1
	s_and_b64 s[4:5], vcc, s[42:43]
	s_and_saveexec_b64 s[0:1], s[4:5]
	s_cbranch_execz .LBB139_191
; %bb.190:
	v_add_f32_e32 v4, 0, v4
	v_add_f32_e32 v4, v4, v5
	;; [unrolled: 1-line block ×6, first 2 shown]
	v_mul_lo_u32 v0, v9, s26
	v_mul_lo_u32 v1, v17, s21
	v_add3_u32 v0, v6, v1, v0
	v_mov_b32_e32 v1, 0
	v_lshlrev_b64 v[0:1], 2, v[0:1]
	v_mov_b32_e32 v3, s3
	v_add_co_u32_e32 v0, vcc, s2, v0
	v_addc_co_u32_e32 v1, vcc, v3, v1, vcc
	global_store_dword v[0:1], v2, off
.LBB139_191:
	s_or_b64 exec, exec, s[0:1]
	v_add_u32_e32 v7, v8, v7
	v_add_u32_e32 v0, 0x70, v7
	ds_read2st64_b32 v[4:5], v0 offset0:36 offset1:37
	ds_read2st64_b32 v[2:3], v0 offset0:38 offset1:39
	;; [unrolled: 1-line block ×3, first 2 shown]
	v_cmp_gt_u32_e32 vcc, 7, v17
	v_mov_b32_e32 v8, -1
	s_and_saveexec_b64 s[0:1], vcc
	s_cbranch_execz .LBB139_193
; %bb.192:
	v_mov_b32_e32 v8, 0x100
	v_lshl_add_u32 v8, v17, 2, v8
	ds_read_b32 v8, v8 offset:24
.LBB139_193:
	s_or_b64 exec, exec, s[0:1]
	v_readlane_b32 s0, v104, 0
	s_waitcnt lgkmcnt(0)
	v_cmp_lt_i32_e32 vcc, -1, v8
	v_readlane_b32 s1, v104, 1
	s_and_b64 s[4:5], vcc, s[0:1]
	s_and_saveexec_b64 s[0:1], s[4:5]
	s_cbranch_execz .LBB139_195
; %bb.194:
	v_add_f32_e32 v4, 0, v4
	v_add_f32_e32 v4, v4, v5
	;; [unrolled: 1-line block ×6, first 2 shown]
	v_mul_lo_u32 v0, v8, s26
	v_mul_lo_u32 v1, v86, s21
	v_add3_u32 v0, v6, v1, v0
	v_mov_b32_e32 v1, 0
	v_lshlrev_b64 v[0:1], 2, v[0:1]
	v_mov_b32_e32 v3, s3
	v_add_co_u32_e32 v0, vcc, s2, v0
	v_addc_co_u32_e32 v1, vcc, v3, v1, vcc
	global_store_dword v[0:1], v2, off
.LBB139_195:
	s_or_b64 exec, exec, s[0:1]
	v_cmp_eq_u32_e32 vcc, 0, v17
	s_and_saveexec_b64 s[0:1], vcc
	s_cbranch_execz .LBB139_198
; %bb.196:
	v_mov_b32_e32 v0, 0x100
	ds_read_b32 v0, v0 offset:48
	v_readlane_b32 s4, v104, 2
	v_readlane_b32 s5, v104, 3
	s_waitcnt lgkmcnt(0)
	v_readfirstlane_b32 s0, v0
	s_cmp_gt_i32 s0, -1
	s_cselect_b64 s[0:1], -1, 0
	s_and_b64 s[0:1], s[0:1], s[4:5]
	s_and_b64 exec, exec, s[0:1]
	s_cbranch_execz .LBB139_198
; %bb.197:
	v_add_u32_e32 v4, 0xa0, v7
	ds_read2st64_b32 v[2:3], v4 offset0:72 offset1:73
	v_mul_lo_u32 v7, v0, s26
	ds_read2st64_b32 v[0:1], v4 offset0:74 offset1:75
	ds_read2st64_b32 v[4:5], v4 offset0:76 offset1:77
	v_mul_lo_u32 v8, v87, s21
	s_waitcnt lgkmcnt(2)
	v_add_f32_e32 v2, 0, v2
	v_add_f32_e32 v2, v2, v3
	s_waitcnt lgkmcnt(1)
	v_add_f32_e32 v0, v2, v0
	v_add_f32_e32 v0, v0, v1
	;; [unrolled: 3-line block ×3, first 2 shown]
	v_add3_u32 v0, v6, v8, v7
	v_mov_b32_e32 v1, 0
	v_lshlrev_b64 v[0:1], 2, v[0:1]
	v_mov_b32_e32 v3, s3
	v_add_co_u32_e32 v0, vcc, s2, v0
	v_addc_co_u32_e32 v1, vcc, v3, v1, vcc
	global_store_dword v[0:1], v2, off
.LBB139_198:
	s_endpgm
	.section	.rodata,"a",@progbits
	.p2align	6, 0x0
	.amdhsa_kernel _ZL9mul_mat_fI15__hip_bfloat162Li64ELi13ELi6ELb1EEvPKT_PKfPKiPfiiiiiiiiiiiiiiii
		.amdhsa_group_segment_fixed_size 256
		.amdhsa_private_segment_fixed_size 0
		.amdhsa_kernarg_size 352
		.amdhsa_user_sgpr_count 6
		.amdhsa_user_sgpr_private_segment_buffer 1
		.amdhsa_user_sgpr_dispatch_ptr 0
		.amdhsa_user_sgpr_queue_ptr 0
		.amdhsa_user_sgpr_kernarg_segment_ptr 1
		.amdhsa_user_sgpr_dispatch_id 0
		.amdhsa_user_sgpr_flat_scratch_init 0
		.amdhsa_user_sgpr_kernarg_preload_length 0
		.amdhsa_user_sgpr_kernarg_preload_offset 0
		.amdhsa_user_sgpr_private_segment_size 0
		.amdhsa_uses_dynamic_stack 0
		.amdhsa_system_sgpr_private_segment_wavefront_offset 0
		.amdhsa_system_sgpr_workgroup_id_x 1
		.amdhsa_system_sgpr_workgroup_id_y 1
		.amdhsa_system_sgpr_workgroup_id_z 1
		.amdhsa_system_sgpr_workgroup_info 0
		.amdhsa_system_vgpr_workitem_id 2
		.amdhsa_next_free_vgpr 105
		.amdhsa_next_free_sgpr 96
		.amdhsa_accum_offset 108
		.amdhsa_reserve_vcc 1
		.amdhsa_reserve_flat_scratch 0
		.amdhsa_float_round_mode_32 0
		.amdhsa_float_round_mode_16_64 0
		.amdhsa_float_denorm_mode_32 3
		.amdhsa_float_denorm_mode_16_64 3
		.amdhsa_dx10_clamp 1
		.amdhsa_ieee_mode 1
		.amdhsa_fp16_overflow 0
		.amdhsa_tg_split 0
		.amdhsa_exception_fp_ieee_invalid_op 0
		.amdhsa_exception_fp_denorm_src 0
		.amdhsa_exception_fp_ieee_div_zero 0
		.amdhsa_exception_fp_ieee_overflow 0
		.amdhsa_exception_fp_ieee_underflow 0
		.amdhsa_exception_fp_ieee_inexact 0
		.amdhsa_exception_int_div_zero 0
	.end_amdhsa_kernel
	.section	.text._ZL9mul_mat_fI15__hip_bfloat162Li64ELi13ELi6ELb1EEvPKT_PKfPKiPfiiiiiiiiiiiiiiii,"axG",@progbits,_ZL9mul_mat_fI15__hip_bfloat162Li64ELi13ELi6ELb1EEvPKT_PKfPKiPfiiiiiiiiiiiiiiii,comdat
.Lfunc_end139:
	.size	_ZL9mul_mat_fI15__hip_bfloat162Li64ELi13ELi6ELb1EEvPKT_PKfPKiPfiiiiiiiiiiiiiiii, .Lfunc_end139-_ZL9mul_mat_fI15__hip_bfloat162Li64ELi13ELi6ELb1EEvPKT_PKfPKiPfiiiiiiiiiiiiiiii
                                        ; -- End function
	.section	.AMDGPU.csdata,"",@progbits
; Kernel info:
; codeLenInByte = 10500
; NumSgprs: 100
; NumVgprs: 105
; NumAgprs: 0
; TotalNumVgprs: 105
; ScratchSize: 0
; MemoryBound: 0
; FloatMode: 240
; IeeeMode: 1
; LDSByteSize: 256 bytes/workgroup (compile time only)
; SGPRBlocks: 12
; VGPRBlocks: 13
; NumSGPRsForWavesPerEU: 100
; NumVGPRsForWavesPerEU: 105
; AccumOffset: 108
; Occupancy: 4
; WaveLimiterHint : 0
; COMPUTE_PGM_RSRC2:SCRATCH_EN: 0
; COMPUTE_PGM_RSRC2:USER_SGPR: 6
; COMPUTE_PGM_RSRC2:TRAP_HANDLER: 0
; COMPUTE_PGM_RSRC2:TGID_X_EN: 1
; COMPUTE_PGM_RSRC2:TGID_Y_EN: 1
; COMPUTE_PGM_RSRC2:TGID_Z_EN: 1
; COMPUTE_PGM_RSRC2:TIDIG_COMP_CNT: 2
; COMPUTE_PGM_RSRC3_GFX90A:ACCUM_OFFSET: 26
; COMPUTE_PGM_RSRC3_GFX90A:TG_SPLIT: 0
	.section	.text._ZL9mul_mat_fI15__hip_bfloat162Li64ELi13ELi6ELb0EEvPKT_PKfPKiPfiiiiiiiiiiiiiiii,"axG",@progbits,_ZL9mul_mat_fI15__hip_bfloat162Li64ELi13ELi6ELb0EEvPKT_PKfPKiPfiiiiiiiiiiiiiiii,comdat
	.globl	_ZL9mul_mat_fI15__hip_bfloat162Li64ELi13ELi6ELb0EEvPKT_PKfPKiPfiiiiiiiiiiiiiiii ; -- Begin function _ZL9mul_mat_fI15__hip_bfloat162Li64ELi13ELi6ELb0EEvPKT_PKfPKiPfiiiiiiiiiiiiiiii
	.p2align	8
	.type	_ZL9mul_mat_fI15__hip_bfloat162Li64ELi13ELi6ELb0EEvPKT_PKfPKiPfiiiiiiiiiiiiiiii,@function
_ZL9mul_mat_fI15__hip_bfloat162Li64ELi13ELi6ELb0EEvPKT_PKfPKiPfiiiiiiiiiiiiiiii: ; @_ZL9mul_mat_fI15__hip_bfloat162Li64ELi13ELi6ELb0EEvPKT_PKfPKiPfiiiiiiiiiiiiiiii
; %bb.0:
	s_load_dwordx8 s[12:19], s[4:5], 0x40
	s_load_dword s9, s[4:5], 0x20
	s_load_dwordx4 s[0:3], s[4:5], 0x2c
	v_bfe_u32 v86, v0, 10, 10
	v_lshlrev_b32_e32 v88, 6, v86
	v_and_b32_e32 v87, 0x3ff, v0
	s_waitcnt lgkmcnt(0)
	s_abs_i32 s27, s12
	s_abs_i32 s26, s16
	v_cvt_f32_u32_e32 v1, s27
	v_cvt_f32_u32_e32 v2, s26
	v_add_u32_e32 v90, v88, v87
	s_mov_b32 s22, 0
	v_rcp_iflag_f32_e32 v1, v1
	v_rcp_iflag_f32_e32 v2, v2
	s_ashr_i32 s28, s8, 31
	v_cmp_le_i32_e32 vcc, s9, v90
	v_mul_f32_e32 v1, 0x4f7ffffe, v1
	v_mul_f32_e32 v2, 0x4f7ffffe, v2
	v_cvt_u32_f32_e32 v1, v1
	v_cvt_u32_f32_e32 v2, v2
	v_and_b32_e32 v89, 15, v87
	v_readfirstlane_b32 s21, v1
	v_readfirstlane_b32 s20, v2
	s_and_saveexec_b64 s[10:11], vcc
	s_xor_b64 s[10:11], exec, s[10:11]
; %bb.1:
	v_and_b32_e32 v89, 15, v87
                                        ; implicit-def: $vgpr90
; %bb.2:
	s_or_saveexec_b64 s[24:25], s[10:11]
	s_load_dwordx2 s[10:11], s[4:5], 0x18
	s_lshl_b32 s3, s6, 6
	v_mov_b32_e32 v7, s22
	v_mov_b32_e32 v6, s22
	;; [unrolled: 1-line block ×16, first 2 shown]
	s_xor_b64 exec, exec, s[24:25]
	s_cbranch_execz .LBB140_110
; %bb.3:
                                        ; implicit-def: $vgpr104 : SGPR spill to VGPR lane
	s_sub_i32 s6, 0, s27
	s_waitcnt lgkmcnt(0)
	v_writelane_b32 v104, s10, 0
	v_writelane_b32 v104, s11, 1
	s_sub_i32 s10, 0, s26
	s_mul_i32 s6, s6, s21
	s_mul_i32 s10, s10, s20
	s_mul_hi_u32 s6, s21, s6
	s_mul_hi_u32 s10, s20, s10
	s_abs_i32 s11, s7
	s_add_i32 s6, s21, s6
	s_abs_i32 s29, s8
	s_add_i32 s10, s20, s10
	s_load_dwordx4 s[20:23], s[4:5], 0x0
	s_mul_hi_u32 s4, s11, s6
	s_mul_hi_u32 s5, s29, s10
	s_ashr_i32 s6, s7, 31
	s_ashr_i32 s10, s12, 31
	s_xor_b32 s6, s6, s10
	s_mul_i32 s10, s4, s27
	s_sub_i32 s10, s11, s10
	s_ashr_i32 s12, s16, 31
	s_add_i32 s11, s4, 1
	s_sub_i32 s16, s10, s27
	s_cmp_ge_u32 s10, s27
	s_cselect_b32 s4, s11, s4
	s_cselect_b32 s10, s16, s10
	s_add_i32 s11, s4, 1
	s_cmp_ge_u32 s10, s27
	s_cselect_b32 s4, s11, s4
	s_mul_i32 s10, s5, s26
	s_xor_b32 s4, s4, s6
	s_sub_i32 s10, s29, s10
	s_sub_i32 s6, s4, s6
	s_xor_b32 s4, s28, s12
	s_add_i32 s11, s5, 1
	s_sub_i32 s12, s10, s26
	s_cmp_ge_u32 s10, s26
	s_cselect_b32 s5, s11, s5
	s_cselect_b32 s10, s12, s10
	s_add_i32 s11, s5, 1
	s_cmp_ge_u32 s10, s26
	s_cselect_b32 s5, s11, s5
	s_xor_b32 s5, s5, s4
	s_sub_i32 s4, s5, s4
	s_mul_hi_i32 s5, s4, s17
	s_mul_i32 s4, s4, s17
	s_mul_i32 s10, s6, s13
	s_ashr_i32 s11, s10, 31
	s_lshl_b64 s[16:17], s[4:5], 2
	s_mul_i32 s12, s3, s0
	s_waitcnt lgkmcnt(0)
	s_add_u32 s6, s20, s16
	s_addc_u32 s27, s21, s17
	s_ashr_i32 s13, s12, 31
	s_lshl_b64 s[12:13], s[12:13], 2
	s_lshl_b64 s[10:11], s[10:11], 2
	s_add_u32 s28, s10, s12
	s_addc_u32 s29, s11, s13
	s_mul_i32 s26, s7, s14
	s_add_u32 s6, s28, s6
	s_mul_hi_i32 s5, s18, s8
	s_mul_i32 s4, s18, s8
	s_addc_u32 s76, s29, s27
	s_ashr_i32 s27, s26, 31
	s_lshl_b64 s[10:11], s[4:5], 2
	s_lshl_b64 s[4:5], s[26:27], 2
	s_add_u32 s22, s22, s4
	s_addc_u32 s23, s23, s5
	s_add_u32 s14, s22, s10
	s_movk_i32 s4, 0x1080
	s_addc_u32 s18, s23, s11
	v_mad_u32_u24 v0, v86, s4, 0
	s_ashr_i32 s5, s0, 31
	s_mov_b32 s4, s0
	v_lshrrev_b32_e32 v3, 1, v87
	s_ashr_i32 s13, s1, 31
	s_lshl_b64 s[4:5], s[4:5], 2
	v_lshlrev_b32_e32 v1, 2, v87
	v_mul_u32_u24_e32 v2, 0x108, v89
	v_and_b32_e32 v3, 0x1f8, v3
	s_add_u32 s16, s28, s16
	v_add_u32_e32 v91, v0, v1
	v_add3_u32 v92, v0, v2, v3
	v_lshlrev_b32_e32 v0, 8, v86
	s_addc_u32 s17, s29, s17
	v_mov_b32_e32 v2, s17
	v_add_co_u32_e32 v0, vcc, s16, v0
	v_addc_co_u32_e32 v2, vcc, 0, v2, vcc
	v_add_co_u32_e32 v0, vcc, v0, v1
	v_addc_co_u32_e32 v1, vcc, 0, v2, vcc
	v_mov_b32_e32 v2, s21
	v_add_co_u32_e32 v16, vcc, s20, v0
	v_addc_co_u32_e32 v17, vcc, v2, v1, vcc
	v_lshlrev_b32_e32 v0, 9, v86
	v_mov_b32_e32 v1, s11
	v_add_co_u32_e32 v0, vcc, s10, v0
	v_addc_co_u32_e32 v1, vcc, 0, v1, vcc
	v_lshlrev_b32_e32 v2, 3, v87
	v_add_co_u32_e32 v0, vcc, v0, v2
	v_addc_co_u32_e32 v1, vcc, 0, v1, vcc
	s_mov_b32 s12, s1
	v_mov_b32_e32 v2, s23
	v_add_co_u32_e32 v18, vcc, s22, v0
	v_mov_b32_e32 v94, 0
	s_lshl_b64 s[12:13], s[12:13], 3
	v_addc_co_u32_e32 v19, vcc, v2, v1, vcc
	s_mul_i32 s20, s0, 63
	s_lshl_b32 s21, s1, 1
	s_mul_i32 s22, s1, 3
	s_lshl_b32 s23, s1, 2
	s_mul_i32 s26, s1, 5
	s_mul_i32 s27, s1, 6
	;; [unrolled: 1-line block ×3, first 2 shown]
	s_lshl_b32 s29, s1, 3
	s_mul_i32 s30, s1, 9
	s_mul_i32 s31, s1, 10
	s_mul_i32 s33, s1, 11
	s_mul_i32 s34, s1, 12
	s_lshl_b32 s35, s0, 1
	s_mul_i32 s36, s0, 3
	s_lshl_b32 s37, s0, 2
	s_mul_i32 s38, s0, 5
	s_mul_i32 s39, s0, 6
	;; [unrolled: 1-line block ×3, first 2 shown]
	s_lshl_b32 s41, s0, 3
	s_mul_i32 s42, s0, 9
	s_mul_i32 s43, s0, 10
	;; [unrolled: 1-line block ×7, first 2 shown]
	s_lshl_b32 s49, s0, 4
	s_mul_i32 s50, s0, 17
	s_mul_i32 s51, s0, 18
	s_mul_i32 s52, s0, 19
	s_mul_i32 s53, s0, 20
	s_mul_i32 s54, s0, 21
	s_mul_i32 s55, s0, 22
	s_mul_i32 s56, s0, 23
	s_mul_i32 s57, s0, 24
	s_mul_i32 s58, s0, 25
	s_mul_i32 s59, s0, 26
	s_mul_i32 s60, s0, 27
	s_mul_i32 s61, s0, 28
	s_mul_i32 s62, s0, 29
	s_mul_i32 s63, s0, 30
	s_mul_i32 s64, s0, 31
	s_lshl_b32 s65, s0, 5
	s_mul_i32 s66, s0, 33
	s_mul_i32 s67, s0, 34
	;; [unrolled: 1-line block ×10, first 2 shown]
	v_mov_b32_e32 v93, s76
	s_mul_i32 s76, s0, 43
	v_mov_b32_e32 v95, s5
	v_mov_b32_e32 v12, 0
	;; [unrolled: 1-line block ×17, first 2 shown]
	s_mul_i32 s5, s0, 44
	s_mul_i32 s77, s0, 45
	;; [unrolled: 1-line block ×19, first 2 shown]
	s_mov_b32 s95, 0x7f800000
	s_movk_i32 s10, 0x7fff
	s_mov_b32 s11, 0x7060302
	s_mov_b64 s[0:1], 0
	s_branch .LBB140_5
.LBB140_4:                              ;   in Loop: Header=BB140_5 Depth=1
	s_or_b64 exec, exec, s[16:17]
	v_perm_b32 v84, v97, v96, s11
	v_add_u32_e32 v85, 0xc00, v91
	ds_write2_b32 v85, v84, v94 offset0:24 offset1:90
	ds_write2_b32 v85, v94, v94 offset0:156 offset1:222
	ds_read2_b64 v[96:99], v92 offset1:4
	v_add_co_u32_e32 v16, vcc, 0x600, v16
	v_addc_co_u32_e32 v17, vcc, 0, v17, vcc
	s_waitcnt lgkmcnt(0)
	v_mfma_f32_16x16x16bf16_1k v[4:7], v[36:37], v[96:97], v[4:7]
	v_add_co_u32_e32 v18, vcc, 0xc00, v18
	v_add_u32_e32 v90, 0x180, v90
	v_addc_co_u32_e32 v19, vcc, 0, v19, vcc
	v_cmp_le_i32_e32 vcc, s9, v90
	s_or_b64 s[0:1], vcc, s[0:1]
	v_mfma_f32_16x16x16bf16_1k v[0:3], v[54:55], v[96:97], v[0:3]
	v_mfma_f32_16x16x16bf16_1k v[8:11], v[68:69], v[96:97], v[8:11]
	;; [unrolled: 1-line block ×5, first 2 shown]
	ds_read2_b64 v[52:55], v92 offset0:8 offset1:12
	v_mfma_f32_16x16x16bf16_1k v[8:11], v[66:67], v[98:99], v[8:11]
	v_mfma_f32_16x16x16bf16_1k v[12:15], v[80:81], v[98:99], v[12:15]
	s_waitcnt lgkmcnt(0)
	v_mfma_f32_16x16x16bf16_1k v[4:7], v[30:31], v[52:53], v[4:7]
	v_mfma_f32_16x16x16bf16_1k v[0:3], v[50:51], v[52:53], v[0:3]
	;; [unrolled: 1-line block ×5, first 2 shown]
	ds_read2_b64 v[28:31], v92 offset0:16 offset1:20
	v_mfma_f32_16x16x16bf16_1k v[0:3], v[48:49], v[54:55], v[0:3]
	v_mfma_f32_16x16x16bf16_1k v[8:11], v[62:63], v[54:55], v[8:11]
	;; [unrolled: 1-line block ×3, first 2 shown]
	s_waitcnt lgkmcnt(0)
	v_mfma_f32_16x16x16bf16_1k v[4:7], v[26:27], v[28:29], v[4:7]
	v_mfma_f32_16x16x16bf16_1k v[0:3], v[44:45], v[28:29], v[0:3]
	;; [unrolled: 1-line block ×5, first 2 shown]
	ds_read2_b64 v[24:27], v92 offset0:24 offset1:28
	v_mfma_f32_16x16x16bf16_1k v[0:3], v[42:43], v[30:31], v[0:3]
	v_mfma_f32_16x16x16bf16_1k v[8:11], v[58:59], v[30:31], v[8:11]
	;; [unrolled: 1-line block ×3, first 2 shown]
	s_waitcnt lgkmcnt(0)
	v_mfma_f32_16x16x16bf16_1k v[4:7], v[22:23], v[24:25], v[4:7]
	v_mfma_f32_16x16x16bf16_1k v[0:3], v[40:41], v[24:25], v[0:3]
	;; [unrolled: 1-line block ×8, first 2 shown]
	s_andn2_b64 exec, exec, s[0:1]
	s_cbranch_execz .LBB140_109
.LBB140_5:                              ; =>This Inner Loop Header: Depth=1
	v_add_co_u32_e32 v20, vcc, s4, v16
	v_addc_co_u32_e32 v21, vcc, v17, v95, vcc
	global_load_dword v34, v[16:17], off
	global_load_dword v35, v[20:21], off
	v_add_u32_e32 v20, s35, v90
	v_ashrrev_i32_e32 v21, 31, v20
	v_lshlrev_b64 v[20:21], 2, v[20:21]
	v_add_u32_e32 v22, s36, v90
	v_add_co_u32_e32 v20, vcc, s6, v20
	v_ashrrev_i32_e32 v23, 31, v22
	v_addc_co_u32_e32 v21, vcc, v93, v21, vcc
	v_lshlrev_b64 v[22:23], 2, v[22:23]
	v_add_u32_e32 v24, s37, v90
	v_add_co_u32_e32 v22, vcc, s6, v22
	v_ashrrev_i32_e32 v25, 31, v24
	v_addc_co_u32_e32 v23, vcc, v93, v23, vcc
	;; [unrolled: 5-line block ×6, first 2 shown]
	v_lshlrev_b64 v[32:33], 2, v[32:33]
	v_add_co_u32_e32 v32, vcc, s6, v32
	v_addc_co_u32_e32 v33, vcc, v93, v33, vcc
	global_load_dword v36, v[20:21], off
	global_load_dword v37, v[22:23], off
	s_nop 0
	global_load_dword v24, v[24:25], off
	s_nop 0
	global_load_dword v25, v[26:27], off
	s_nop 0
	global_load_dword v26, v[28:29], off
	global_load_dword v27, v[30:31], off
	s_nop 0
	global_load_dword v28, v[32:33], off
	v_add_u32_e32 v20, s42, v90
	v_ashrrev_i32_e32 v21, 31, v20
	v_lshlrev_b64 v[20:21], 2, v[20:21]
	v_add_u32_e32 v22, s43, v90
	v_add_co_u32_e32 v20, vcc, s6, v20
	v_ashrrev_i32_e32 v23, 31, v22
	v_addc_co_u32_e32 v21, vcc, v93, v21, vcc
	v_lshlrev_b64 v[22:23], 2, v[22:23]
	global_load_dword v20, v[20:21], off
	v_add_co_u32_e32 v22, vcc, s6, v22
	v_addc_co_u32_e32 v23, vcc, v93, v23, vcc
	v_add_u32_e32 v30, s47, v90
	v_ashrrev_i32_e32 v31, 31, v30
	v_lshlrev_b64 v[30:31], 2, v[30:31]
	v_add_u32_e32 v32, s48, v90
	v_ashrrev_i32_e32 v33, 31, v32
	v_lshlrev_b64 v[32:33], 2, v[32:33]
	;; [unrolled: 3-line block ×6, first 2 shown]
	s_waitcnt vmcnt(9)
	ds_write_b32 v91, v34
	s_waitcnt vmcnt(8)
	ds_write_b32 v91, v35 offset:264
	s_waitcnt vmcnt(7)
	ds_write_b32 v91, v36 offset:528
	;; [unrolled: 2-line block ×8, first 2 shown]
	v_add_u32_e32 v24, s44, v90
	v_ashrrev_i32_e32 v25, 31, v24
	v_lshlrev_b64 v[24:25], 2, v[24:25]
	v_add_u32_e32 v26, s45, v90
	v_add_co_u32_e32 v24, vcc, s6, v24
	v_ashrrev_i32_e32 v27, 31, v26
	v_addc_co_u32_e32 v25, vcc, v93, v25, vcc
	v_lshlrev_b64 v[26:27], 2, v[26:27]
	v_add_u32_e32 v28, s46, v90
	v_add_co_u32_e32 v26, vcc, s6, v26
	v_ashrrev_i32_e32 v29, 31, v28
	v_addc_co_u32_e32 v27, vcc, v93, v27, vcc
	v_lshlrev_b64 v[28:29], 2, v[28:29]
	v_add_co_u32_e32 v28, vcc, s6, v28
	v_addc_co_u32_e32 v29, vcc, v93, v29, vcc
	v_add_co_u32_e32 v30, vcc, s6, v30
	v_addc_co_u32_e32 v31, vcc, v93, v31, vcc
	v_add_u32_e32 v34, s49, v90
	v_add_co_u32_e32 v32, vcc, s6, v32
	v_ashrrev_i32_e32 v35, 31, v34
	v_addc_co_u32_e32 v33, vcc, v93, v33, vcc
	v_lshlrev_b64 v[34:35], 2, v[34:35]
	v_add_u32_e32 v36, s50, v90
	v_add_co_u32_e32 v34, vcc, s6, v34
	v_ashrrev_i32_e32 v37, 31, v36
	v_addc_co_u32_e32 v35, vcc, v93, v35, vcc
	v_lshlrev_b64 v[36:37], 2, v[36:37]
	v_add_co_u32_e32 v36, vcc, s6, v36
	v_addc_co_u32_e32 v37, vcc, v93, v37, vcc
	global_load_dword v21, v[22:23], off
	s_nop 0
	global_load_dword v22, v[24:25], off
	global_load_dword v23, v[26:27], off
	s_nop 0
	global_load_dword v24, v[28:29], off
	global_load_dword v25, v[30:31], off
	;; [unrolled: 1-line block ×3, first 2 shown]
	s_nop 0
	global_load_dword v34, v[34:35], off
	s_nop 0
	global_load_dword v35, v[36:37], off
	v_add_u32_e32 v28, s51, v90
	v_ashrrev_i32_e32 v29, 31, v28
	v_lshlrev_b64 v[28:29], 2, v[28:29]
	v_add_u32_e32 v30, s52, v90
	v_add_co_u32_e32 v28, vcc, s6, v28
	v_ashrrev_i32_e32 v31, 31, v30
	v_addc_co_u32_e32 v29, vcc, v93, v29, vcc
	v_lshlrev_b64 v[30:31], 2, v[30:31]
	v_add_u32_e32 v32, s53, v90
	v_add_co_u32_e32 v30, vcc, s6, v30
	v_ashrrev_i32_e32 v33, 31, v32
	v_addc_co_u32_e32 v31, vcc, v93, v31, vcc
	;; [unrolled: 5-line block ×3, first 2 shown]
	v_lshlrev_b64 v[36:37], 2, v[36:37]
	v_add_co_u32_e32 v36, vcc, s6, v36
	v_addc_co_u32_e32 v37, vcc, v93, v37, vcc
	v_add_co_u32_e32 v38, vcc, s6, v38
	v_addc_co_u32_e32 v39, vcc, v93, v39, vcc
	;; [unrolled: 2-line block ×5, first 2 shown]
	global_load_dword v46, v[28:29], off
	global_load_dword v47, v[30:31], off
	global_load_dword v48, v[32:33], off
	global_load_dword v49, v[36:37], off
	global_load_dword v50, v[38:39], off
	global_load_dword v51, v[40:41], off
	global_load_dword v52, v[42:43], off
	global_load_dword v53, v[44:45], off
	v_add_u32_e32 v28, s59, v90
	v_ashrrev_i32_e32 v29, 31, v28
	v_lshlrev_b64 v[28:29], 2, v[28:29]
	v_add_u32_e32 v30, s60, v90
	v_add_co_u32_e32 v28, vcc, s6, v28
	v_ashrrev_i32_e32 v31, 31, v30
	v_addc_co_u32_e32 v29, vcc, v93, v29, vcc
	v_lshlrev_b64 v[30:31], 2, v[30:31]
	v_add_u32_e32 v32, s61, v90
	v_add_co_u32_e32 v30, vcc, s6, v30
	v_ashrrev_i32_e32 v33, 31, v32
	v_addc_co_u32_e32 v31, vcc, v93, v31, vcc
	v_lshlrev_b64 v[32:33], 2, v[32:33]
	v_add_u32_e32 v36, s62, v90
	v_add_co_u32_e32 v32, vcc, s6, v32
	v_ashrrev_i32_e32 v37, 31, v36
	v_addc_co_u32_e32 v33, vcc, v93, v33, vcc
	v_lshlrev_b64 v[36:37], 2, v[36:37]
	v_add_u32_e32 v38, s63, v90
	v_add_co_u32_e32 v36, vcc, s6, v36
	v_ashrrev_i32_e32 v39, 31, v38
	v_addc_co_u32_e32 v37, vcc, v93, v37, vcc
	v_lshlrev_b64 v[38:39], 2, v[38:39]
	v_add_u32_e32 v40, s64, v90
	v_add_co_u32_e32 v38, vcc, s6, v38
	v_ashrrev_i32_e32 v41, 31, v40
	v_addc_co_u32_e32 v39, vcc, v93, v39, vcc
	v_lshlrev_b64 v[40:41], 2, v[40:41]
	v_add_u32_e32 v42, s65, v90
	v_add_co_u32_e32 v40, vcc, s6, v40
	v_ashrrev_i32_e32 v43, 31, v42
	v_addc_co_u32_e32 v41, vcc, v93, v41, vcc
	v_lshlrev_b64 v[42:43], 2, v[42:43]
	v_add_u32_e32 v44, s66, v90
	v_add_co_u32_e32 v42, vcc, s6, v42
	v_ashrrev_i32_e32 v45, 31, v44
	v_addc_co_u32_e32 v43, vcc, v93, v43, vcc
	v_lshlrev_b64 v[44:45], 2, v[44:45]
	v_add_co_u32_e32 v44, vcc, s6, v44
	v_addc_co_u32_e32 v45, vcc, v93, v45, vcc
	global_load_dword v54, v[28:29], off
	global_load_dword v55, v[30:31], off
	global_load_dword v56, v[32:33], off
	global_load_dword v57, v[36:37], off
	global_load_dword v58, v[38:39], off
	global_load_dword v59, v[40:41], off
	global_load_dword v60, v[42:43], off
	global_load_dword v61, v[44:45], off
	v_add_u32_e32 v28, s67, v90
	v_ashrrev_i32_e32 v29, 31, v28
	v_lshlrev_b64 v[28:29], 2, v[28:29]
	v_add_u32_e32 v30, s68, v90
	v_add_co_u32_e32 v28, vcc, s6, v28
	v_ashrrev_i32_e32 v31, 31, v30
	v_addc_co_u32_e32 v29, vcc, v93, v29, vcc
	v_lshlrev_b64 v[30:31], 2, v[30:31]
	v_add_u32_e32 v32, s69, v90
	v_add_co_u32_e32 v30, vcc, s6, v30
	v_ashrrev_i32_e32 v33, 31, v32
	v_addc_co_u32_e32 v31, vcc, v93, v31, vcc
	v_lshlrev_b64 v[32:33], 2, v[32:33]
	v_add_u32_e32 v36, s70, v90
	v_add_co_u32_e32 v32, vcc, s6, v32
	v_ashrrev_i32_e32 v37, 31, v36
	v_addc_co_u32_e32 v33, vcc, v93, v33, vcc
	v_lshlrev_b64 v[36:37], 2, v[36:37]
	v_add_u32_e32 v38, s71, v90
	v_add_co_u32_e32 v36, vcc, s6, v36
	v_ashrrev_i32_e32 v39, 31, v38
	v_addc_co_u32_e32 v37, vcc, v93, v37, vcc
	v_lshlrev_b64 v[38:39], 2, v[38:39]
	v_add_u32_e32 v40, s72, v90
	v_add_co_u32_e32 v38, vcc, s6, v38
	v_ashrrev_i32_e32 v41, 31, v40
	v_addc_co_u32_e32 v39, vcc, v93, v39, vcc
	v_lshlrev_b64 v[40:41], 2, v[40:41]
	v_add_u32_e32 v42, s73, v90
	v_add_co_u32_e32 v40, vcc, s6, v40
	v_ashrrev_i32_e32 v43, 31, v42
	v_addc_co_u32_e32 v41, vcc, v93, v41, vcc
	v_lshlrev_b64 v[42:43], 2, v[42:43]
	v_add_u32_e32 v44, s74, v90
	v_add_co_u32_e32 v42, vcc, s6, v42
	v_ashrrev_i32_e32 v45, 31, v44
	v_addc_co_u32_e32 v43, vcc, v93, v43, vcc
	v_lshlrev_b64 v[44:45], 2, v[44:45]
	v_add_co_u32_e32 v44, vcc, s6, v44
	v_addc_co_u32_e32 v45, vcc, v93, v45, vcc
	;; [unrolled: 48-line block ×4, first 2 shown]
	global_load_dword v78, v[28:29], off
	global_load_dword v79, v[30:31], off
	;; [unrolled: 1-line block ×8, first 2 shown]
	v_add_u32_e32 v28, s90, v90
	v_ashrrev_i32_e32 v29, 31, v28
	v_lshlrev_b64 v[28:29], 2, v[28:29]
	v_add_u32_e32 v30, s91, v90
	v_add_co_u32_e32 v28, vcc, s6, v28
	v_ashrrev_i32_e32 v31, 31, v30
	v_addc_co_u32_e32 v29, vcc, v93, v29, vcc
	v_lshlrev_b64 v[30:31], 2, v[30:31]
	v_add_u32_e32 v32, s92, v90
	v_add_co_u32_e32 v30, vcc, s6, v30
	v_ashrrev_i32_e32 v33, 31, v32
	v_addc_co_u32_e32 v31, vcc, v93, v31, vcc
	;; [unrolled: 5-line block ×5, first 2 shown]
	v_lshlrev_b64 v[40:41], 2, v[40:41]
	v_add_co_u32_e32 v40, vcc, s6, v40
	v_addc_co_u32_e32 v41, vcc, v93, v41, vcc
	global_load_dword v98, v[28:29], off
	global_load_dword v99, v[30:31], off
	;; [unrolled: 1-line block ×6, first 2 shown]
	s_waitcnt vmcnt(54)
	ds_write_b32 v91, v20 offset:2376
	s_waitcnt vmcnt(53)
	ds_write_b32 v91, v21 offset:2640
	;; [unrolled: 2-line block ×7, first 2 shown]
	global_load_dwordx2 v[84:85], v[18:19], off
	ds_read_b64 v[36:37], v92
	ds_read_b64 v[32:33], v92 offset:32
	ds_read_b64 v[30:31], v92 offset:64
	ds_read_b64 v[28:29], v92 offset:96
	ds_read_b64 v[26:27], v92 offset:128
	ds_read_b64 v[24:25], v92 offset:160
	ds_read_b64 v[22:23], v92 offset:192
	ds_read_b64 v[20:21], v92 offset:224
	s_waitcnt vmcnt(48)
	ds_write_b32 v91, v34
	s_waitcnt vmcnt(47)
	ds_write_b32 v91, v35 offset:264
	s_waitcnt vmcnt(46)
	ds_write_b32 v91, v46 offset:528
	s_waitcnt vmcnt(45)
	ds_write_b32 v91, v47 offset:792
	s_waitcnt vmcnt(44)
	ds_write_b32 v91, v48 offset:1056
	s_waitcnt vmcnt(43)
	ds_write_b32 v91, v49 offset:1320
	s_waitcnt vmcnt(42)
	ds_write_b32 v91, v50 offset:1584
	s_waitcnt vmcnt(41)
	ds_write_b32 v91, v51 offset:1848
	s_waitcnt vmcnt(40)
	ds_write_b32 v91, v52 offset:2112
	s_waitcnt vmcnt(39)
	ds_write_b32 v91, v53 offset:2376
	s_waitcnt vmcnt(38)
	ds_write_b32 v91, v54 offset:2640
	s_waitcnt vmcnt(37)
	ds_write_b32 v91, v55 offset:2904
	s_waitcnt vmcnt(36)
	ds_write_b32 v91, v56 offset:3168
	s_waitcnt vmcnt(35)
	ds_write_b32 v91, v57 offset:3432
	s_waitcnt vmcnt(34)
	ds_write_b32 v91, v58 offset:3696
	s_waitcnt vmcnt(33)
	ds_write_b32 v91, v59 offset:3960
	ds_read_b64 v[54:55], v92
	ds_read_b64 v[52:53], v92 offset:32
	ds_read_b64 v[50:51], v92 offset:64
	ds_read_b64 v[48:49], v92 offset:96
	ds_read_b64 v[44:45], v92 offset:128
	ds_read_b64 v[42:43], v92 offset:160
	ds_read_b64 v[40:41], v92 offset:192
	ds_read_b64 v[34:35], v92 offset:224
	s_waitcnt vmcnt(32)
	ds_write_b32 v91, v60
	s_waitcnt vmcnt(31)
	ds_write_b32 v91, v61 offset:264
	s_waitcnt vmcnt(30)
	ds_write_b32 v91, v62 offset:528
	s_waitcnt vmcnt(29)
	ds_write_b32 v91, v63 offset:792
	s_waitcnt vmcnt(28)
	ds_write_b32 v91, v64 offset:1056
	s_waitcnt vmcnt(27)
	ds_write_b32 v91, v65 offset:1320
	s_waitcnt vmcnt(26)
	ds_write_b32 v91, v66 offset:1584
	s_waitcnt vmcnt(25)
	ds_write_b32 v91, v67 offset:1848
	s_waitcnt vmcnt(24)
	ds_write_b32 v91, v68 offset:2112
	s_waitcnt vmcnt(23)
	ds_write_b32 v91, v69 offset:2376
	s_waitcnt vmcnt(22)
	ds_write_b32 v91, v70 offset:2640
	s_waitcnt vmcnt(21)
	ds_write_b32 v91, v71 offset:2904
	s_waitcnt vmcnt(20)
	ds_write_b32 v91, v72 offset:3168
	s_waitcnt vmcnt(19)
	ds_write_b32 v91, v73 offset:3432
	s_waitcnt vmcnt(18)
	ds_write_b32 v91, v74 offset:3696
	s_waitcnt vmcnt(17)
	ds_write_b32 v91, v75 offset:3960
	;; [unrolled: 40-line block ×3, first 2 shown]
	ds_read_b64 v[82:83], v92
	ds_read_b64 v[80:81], v92 offset:32
	ds_read_b64 v[78:79], v92 offset:64
	;; [unrolled: 1-line block ×7, first 2 shown]
	s_waitcnt vmcnt(0)
	v_and_b32_e32 v96, 0x7f800000, v84
	v_cmp_ne_u32_e32 vcc, s95, v96
                                        ; implicit-def: $vgpr96
	s_and_saveexec_b64 s[16:17], vcc
	s_xor_b64 s[16:17], exec, s[16:17]
; %bb.6:                                ;   in Loop: Header=BB140_5 Depth=1
	v_bfe_u32 v96, v84, 16, 1
	v_add3_u32 v96, v84, v96, s10
; %bb.7:                                ;   in Loop: Header=BB140_5 Depth=1
	s_andn2_saveexec_b64 s[16:17], s[16:17]
; %bb.8:                                ;   in Loop: Header=BB140_5 Depth=1
	v_or_b32_e32 v96, 0x10000, v84
	v_cmp_eq_u32_sdwa vcc, v84, v94 src0_sel:WORD_0 src1_sel:DWORD
	v_cndmask_b32_e32 v96, v96, v84, vcc
; %bb.9:                                ;   in Loop: Header=BB140_5 Depth=1
	s_or_b64 exec, exec, s[16:17]
	v_and_b32_e32 v84, 0x7f800000, v85
	v_cmp_ne_u32_e32 vcc, s95, v84
                                        ; implicit-def: $vgpr97
	s_and_saveexec_b64 s[16:17], vcc
	s_xor_b64 s[16:17], exec, s[16:17]
; %bb.10:                               ;   in Loop: Header=BB140_5 Depth=1
	v_bfe_u32 v84, v85, 16, 1
	v_add3_u32 v97, v85, v84, s10
                                        ; implicit-def: $vgpr84_vgpr85
; %bb.11:                               ;   in Loop: Header=BB140_5 Depth=1
	s_andn2_saveexec_b64 s[16:17], s[16:17]
; %bb.12:                               ;   in Loop: Header=BB140_5 Depth=1
	v_or_b32_e32 v84, 0x10000, v85
	v_cmp_eq_u32_sdwa vcc, v85, v94 src0_sel:WORD_0 src1_sel:DWORD
	v_cndmask_b32_e32 v97, v84, v85, vcc
; %bb.13:                               ;   in Loop: Header=BB140_5 Depth=1
	s_or_b64 exec, exec, s[16:17]
	v_mov_b32_e32 v85, s13
	v_add_co_u32_e32 v84, vcc, s12, v18
	v_addc_co_u32_e32 v85, vcc, v19, v85, vcc
	global_load_dwordx2 v[84:85], v[84:85], off
	v_perm_b32 v96, v97, v96, s11
	ds_write_b32 v91, v96
	s_waitcnt vmcnt(0)
	v_and_b32_e32 v96, 0x7f800000, v84
	v_cmp_ne_u32_e32 vcc, s95, v96
                                        ; implicit-def: $vgpr96
	s_and_saveexec_b64 s[16:17], vcc
	s_xor_b64 s[16:17], exec, s[16:17]
; %bb.14:                               ;   in Loop: Header=BB140_5 Depth=1
	v_bfe_u32 v96, v84, 16, 1
	v_add3_u32 v96, v84, v96, s10
; %bb.15:                               ;   in Loop: Header=BB140_5 Depth=1
	s_andn2_saveexec_b64 s[16:17], s[16:17]
; %bb.16:                               ;   in Loop: Header=BB140_5 Depth=1
	v_or_b32_e32 v96, 0x10000, v84
	v_cmp_eq_u32_sdwa vcc, v84, v94 src0_sel:WORD_0 src1_sel:DWORD
	v_cndmask_b32_e32 v96, v96, v84, vcc
; %bb.17:                               ;   in Loop: Header=BB140_5 Depth=1
	s_or_b64 exec, exec, s[16:17]
	v_and_b32_e32 v84, 0x7f800000, v85
	v_cmp_ne_u32_e32 vcc, s95, v84
                                        ; implicit-def: $vgpr97
	s_and_saveexec_b64 s[16:17], vcc
	s_xor_b64 s[16:17], exec, s[16:17]
; %bb.18:                               ;   in Loop: Header=BB140_5 Depth=1
	v_bfe_u32 v84, v85, 16, 1
	v_add3_u32 v97, v85, v84, s10
                                        ; implicit-def: $vgpr84_vgpr85
; %bb.19:                               ;   in Loop: Header=BB140_5 Depth=1
	s_andn2_saveexec_b64 s[16:17], s[16:17]
; %bb.20:                               ;   in Loop: Header=BB140_5 Depth=1
	v_or_b32_e32 v84, 0x10000, v85
	v_cmp_eq_u32_sdwa vcc, v85, v94 src0_sel:WORD_0 src1_sel:DWORD
	v_cndmask_b32_e32 v97, v84, v85, vcc
; %bb.21:                               ;   in Loop: Header=BB140_5 Depth=1
	s_or_b64 exec, exec, s[16:17]
	v_add_u32_e32 v84, s21, v90
	v_ashrrev_i32_e32 v85, 31, v84
	v_lshlrev_b64 v[84:85], 3, v[84:85]
	v_mov_b32_e32 v98, s18
	v_add_co_u32_e32 v84, vcc, s14, v84
	v_addc_co_u32_e32 v85, vcc, v98, v85, vcc
	global_load_dwordx2 v[84:85], v[84:85], off
	v_perm_b32 v96, v97, v96, s11
	ds_write_b32 v91, v96 offset:264
	s_waitcnt vmcnt(0)
	v_and_b32_e32 v96, 0x7f800000, v84
	v_cmp_ne_u32_e32 vcc, s95, v96
                                        ; implicit-def: $vgpr96
	s_and_saveexec_b64 s[16:17], vcc
	s_xor_b64 s[16:17], exec, s[16:17]
; %bb.22:                               ;   in Loop: Header=BB140_5 Depth=1
	v_bfe_u32 v96, v84, 16, 1
	v_add3_u32 v96, v84, v96, s10
; %bb.23:                               ;   in Loop: Header=BB140_5 Depth=1
	s_andn2_saveexec_b64 s[16:17], s[16:17]
; %bb.24:                               ;   in Loop: Header=BB140_5 Depth=1
	v_or_b32_e32 v96, 0x10000, v84
	v_cmp_eq_u32_sdwa vcc, v84, v94 src0_sel:WORD_0 src1_sel:DWORD
	v_cndmask_b32_e32 v96, v96, v84, vcc
; %bb.25:                               ;   in Loop: Header=BB140_5 Depth=1
	s_or_b64 exec, exec, s[16:17]
	v_and_b32_e32 v84, 0x7f800000, v85
	v_cmp_ne_u32_e32 vcc, s95, v84
                                        ; implicit-def: $vgpr97
	s_and_saveexec_b64 s[16:17], vcc
	s_xor_b64 s[16:17], exec, s[16:17]
; %bb.26:                               ;   in Loop: Header=BB140_5 Depth=1
	v_bfe_u32 v84, v85, 16, 1
	v_add3_u32 v97, v85, v84, s10
                                        ; implicit-def: $vgpr84_vgpr85
; %bb.27:                               ;   in Loop: Header=BB140_5 Depth=1
	s_andn2_saveexec_b64 s[16:17], s[16:17]
; %bb.28:                               ;   in Loop: Header=BB140_5 Depth=1
	v_or_b32_e32 v84, 0x10000, v85
	v_cmp_eq_u32_sdwa vcc, v85, v94 src0_sel:WORD_0 src1_sel:DWORD
	v_cndmask_b32_e32 v97, v84, v85, vcc
; %bb.29:                               ;   in Loop: Header=BB140_5 Depth=1
	s_or_b64 exec, exec, s[16:17]
	v_add_u32_e32 v84, s22, v90
	v_ashrrev_i32_e32 v85, 31, v84
	v_lshlrev_b64 v[84:85], 3, v[84:85]
	v_mov_b32_e32 v98, s18
	v_add_co_u32_e32 v84, vcc, s14, v84
	v_addc_co_u32_e32 v85, vcc, v98, v85, vcc
	global_load_dwordx2 v[84:85], v[84:85], off
	v_perm_b32 v96, v97, v96, s11
	ds_write_b32 v91, v96 offset:528
	;; [unrolled: 43-line block ×10, first 2 shown]
	s_waitcnt vmcnt(0)
	v_and_b32_e32 v96, 0x7f800000, v84
	v_cmp_ne_u32_e32 vcc, s95, v96
                                        ; implicit-def: $vgpr96
	s_and_saveexec_b64 s[16:17], vcc
	s_xor_b64 s[16:17], exec, s[16:17]
; %bb.94:                               ;   in Loop: Header=BB140_5 Depth=1
	v_bfe_u32 v96, v84, 16, 1
	v_add3_u32 v96, v84, v96, s10
; %bb.95:                               ;   in Loop: Header=BB140_5 Depth=1
	s_andn2_saveexec_b64 s[16:17], s[16:17]
; %bb.96:                               ;   in Loop: Header=BB140_5 Depth=1
	v_or_b32_e32 v96, 0x10000, v84
	v_cmp_eq_u32_sdwa vcc, v84, v94 src0_sel:WORD_0 src1_sel:DWORD
	v_cndmask_b32_e32 v96, v96, v84, vcc
; %bb.97:                               ;   in Loop: Header=BB140_5 Depth=1
	s_or_b64 exec, exec, s[16:17]
	v_and_b32_e32 v84, 0x7f800000, v85
	v_cmp_ne_u32_e32 vcc, s95, v84
                                        ; implicit-def: $vgpr97
	s_and_saveexec_b64 s[16:17], vcc
	s_xor_b64 s[16:17], exec, s[16:17]
; %bb.98:                               ;   in Loop: Header=BB140_5 Depth=1
	v_bfe_u32 v84, v85, 16, 1
	v_add3_u32 v97, v85, v84, s10
                                        ; implicit-def: $vgpr84_vgpr85
; %bb.99:                               ;   in Loop: Header=BB140_5 Depth=1
	s_andn2_saveexec_b64 s[16:17], s[16:17]
; %bb.100:                              ;   in Loop: Header=BB140_5 Depth=1
	v_or_b32_e32 v84, 0x10000, v85
	v_cmp_eq_u32_sdwa vcc, v85, v94 src0_sel:WORD_0 src1_sel:DWORD
	v_cndmask_b32_e32 v97, v84, v85, vcc
; %bb.101:                              ;   in Loop: Header=BB140_5 Depth=1
	s_or_b64 exec, exec, s[16:17]
	v_add_u32_e32 v84, s34, v90
	v_ashrrev_i32_e32 v85, 31, v84
	v_lshlrev_b64 v[84:85], 3, v[84:85]
	v_mov_b32_e32 v98, s18
	v_add_co_u32_e32 v84, vcc, s14, v84
	v_addc_co_u32_e32 v85, vcc, v98, v85, vcc
	global_load_dwordx2 v[84:85], v[84:85], off
	v_perm_b32 v96, v97, v96, s11
	ds_write_b32 v91, v96 offset:2904
	s_waitcnt vmcnt(0)
	v_and_b32_e32 v96, 0x7f800000, v84
	v_cmp_ne_u32_e32 vcc, s95, v96
                                        ; implicit-def: $vgpr96
	s_and_saveexec_b64 s[16:17], vcc
	s_xor_b64 s[16:17], exec, s[16:17]
; %bb.102:                              ;   in Loop: Header=BB140_5 Depth=1
	v_bfe_u32 v96, v84, 16, 1
	v_add3_u32 v96, v84, v96, s10
; %bb.103:                              ;   in Loop: Header=BB140_5 Depth=1
	s_andn2_saveexec_b64 s[16:17], s[16:17]
; %bb.104:                              ;   in Loop: Header=BB140_5 Depth=1
	v_or_b32_e32 v96, 0x10000, v84
	v_cmp_eq_u32_sdwa vcc, v84, v94 src0_sel:WORD_0 src1_sel:DWORD
	v_cndmask_b32_e32 v96, v96, v84, vcc
; %bb.105:                              ;   in Loop: Header=BB140_5 Depth=1
	s_or_b64 exec, exec, s[16:17]
	v_and_b32_e32 v84, 0x7f800000, v85
	v_cmp_ne_u32_e32 vcc, s95, v84
                                        ; implicit-def: $vgpr97
	s_and_saveexec_b64 s[16:17], vcc
	s_xor_b64 s[16:17], exec, s[16:17]
; %bb.106:                              ;   in Loop: Header=BB140_5 Depth=1
	v_bfe_u32 v84, v85, 16, 1
	v_add3_u32 v97, v85, v84, s10
                                        ; implicit-def: $vgpr84_vgpr85
; %bb.107:                              ;   in Loop: Header=BB140_5 Depth=1
	s_andn2_saveexec_b64 s[16:17], s[16:17]
	s_cbranch_execz .LBB140_4
; %bb.108:                              ;   in Loop: Header=BB140_5 Depth=1
	v_or_b32_e32 v84, 0x10000, v85
	v_cmp_eq_u32_sdwa vcc, v85, v94 src0_sel:WORD_0 src1_sel:DWORD
	v_cndmask_b32_e32 v97, v84, v85, vcc
	s_branch .LBB140_4
.LBB140_109:
	s_or_b64 exec, exec, s[0:1]
	v_readlane_b32 s10, v104, 0
	v_readlane_b32 s11, v104, 1
.LBB140_110:
	s_or_b64 exec, exec, s[24:25]
	v_mul_u32_u24_e32 v16, 0x608, v89
	v_lshlrev_b32_e32 v17, 2, v88
	v_add3_u32 v16, 0, v16, v17
	v_and_b32_e32 v17, 0x3f0, v87
	s_mul_hi_i32 s1, s19, s8
	s_mul_i32 s0, s19, s8
	v_add_u32_e32 v17, v16, v17
	s_lshl_b64 s[0:1], s[0:1], 2
	s_waitcnt lgkmcnt(0)
	s_barrier
	ds_write2_b32 v17, v4, v5 offset1:1
	ds_write_b32 v17, v6 offset:8
	v_or_b32_e32 v4, 12, v87
	s_mul_i32 s4, s7, s15
	s_add_u32 s6, s10, s0
	v_and_b32_e32 v4, 0x3fc, v4
	s_addc_u32 s7, s11, s1
	s_ashr_i32 s5, s4, 31
	v_add_u32_e32 v4, v16, v4
	s_lshl_b64 s[0:1], s[4:5], 2
	s_movk_i32 s4, 0x608
	ds_write_b32 v4, v7
	ds_write2_b32 v17, v0, v1 offset0:16 offset1:17
	ds_write_b32 v17, v2 offset:72
	ds_write_b32 v4, v3 offset:64
	ds_write2_b32 v17, v8, v9 offset0:32 offset1:33
	ds_write_b32 v17, v10 offset:136
	ds_write_b32 v4, v11 offset:128
	;; [unrolled: 3-line block ×3, first 2 shown]
	v_lshl_add_u32 v1, v87, 2, 0
	v_mad_u32_u24 v8, v86, s4, v1
	s_waitcnt lgkmcnt(0)
	s_barrier
	ds_read2st64_b32 v[2:3], v8 offset1:1
	ds_read2st64_b32 v[4:5], v8 offset0:2 offset1:3
	ds_read2st64_b32 v[6:7], v8 offset0:4 offset1:5
	v_add_u32_e32 v0, s3, v87
	s_add_u32 s0, s6, s0
	s_waitcnt lgkmcnt(2)
	v_add_f32_e32 v2, 0, v2
	v_add_f32_e32 v2, v2, v3
	s_waitcnt lgkmcnt(1)
	v_add_f32_e32 v2, v2, v4
	v_add_f32_e32 v2, v2, v5
	;; [unrolled: 3-line block ×3, first 2 shown]
	v_mad_u64_u32 v[2:3], s[4:5], v86, s2, v[0:1]
	v_mov_b32_e32 v3, 0
	v_add_u32_e32 v11, 48, v8
	s_addc_u32 s1, s7, s1
	v_lshlrev_b64 v[4:5], 2, v[2:3]
	ds_read2st64_b32 v[6:7], v11 offset0:36 offset1:37
	v_mov_b32_e32 v9, s1
	v_add_co_u32_e32 v4, vcc, s0, v4
	v_addc_co_u32_e32 v5, vcc, v9, v5, vcc
	ds_read2st64_b32 v[8:9], v11 offset0:38 offset1:39
	global_store_dword v[4:5], v10, off
	ds_read2st64_b32 v[4:5], v11 offset0:40 offset1:41
	s_waitcnt lgkmcnt(2)
	v_add_f32_e32 v6, 0, v6
	v_add_f32_e32 v6, v6, v7
	s_waitcnt lgkmcnt(1)
	v_add_f32_e32 v6, v6, v8
	v_add_f32_e32 v6, v6, v9
	;; [unrolled: 3-line block ×3, first 2 shown]
	v_mad_u64_u32 v[4:5], s[4:5], s2, 6, v[2:3]
	v_mov_b32_e32 v5, v3
	v_lshlrev_b64 v[4:5], 2, v[4:5]
	v_mov_b32_e32 v2, s1
	v_add_co_u32_e32 v4, vcc, s0, v4
	v_addc_co_u32_e32 v5, vcc, v2, v5, vcc
	v_cmp_eq_u32_e32 vcc, 0, v86
	global_store_dword v[4:5], v6, off
	s_and_saveexec_b64 s[4:5], vcc
	s_cbranch_execz .LBB140_112
; %bb.111:
	v_add_u32_e32 v2, 0x60, v1
	ds_read2st64_b32 v[4:5], v2 offset0:72 offset1:73
	ds_read2st64_b32 v[6:7], v2 offset0:74 offset1:75
	v_mad_u64_u32 v[0:1], s[2:3], s2, 12, v[0:1]
	ds_read2st64_b32 v[8:9], v2 offset0:76 offset1:77
	s_waitcnt lgkmcnt(2)
	v_add_f32_e32 v1, 0, v4
	v_add_f32_e32 v1, v1, v5
	s_waitcnt lgkmcnt(1)
	v_add_f32_e32 v1, v1, v6
	v_add_f32_e32 v1, v1, v7
	;; [unrolled: 3-line block ×3, first 2 shown]
	v_mov_b32_e32 v1, v3
	v_lshlrev_b64 v[0:1], 2, v[0:1]
	v_mov_b32_e32 v3, s1
	v_add_co_u32_e32 v0, vcc, s0, v0
	v_addc_co_u32_e32 v1, vcc, v3, v1, vcc
	global_store_dword v[0:1], v2, off
.LBB140_112:
	s_endpgm
	.section	.rodata,"a",@progbits
	.p2align	6, 0x0
	.amdhsa_kernel _ZL9mul_mat_fI15__hip_bfloat162Li64ELi13ELi6ELb0EEvPKT_PKfPKiPfiiiiiiiiiiiiiiii
		.amdhsa_group_segment_fixed_size 0
		.amdhsa_private_segment_fixed_size 0
		.amdhsa_kernarg_size 96
		.amdhsa_user_sgpr_count 6
		.amdhsa_user_sgpr_private_segment_buffer 1
		.amdhsa_user_sgpr_dispatch_ptr 0
		.amdhsa_user_sgpr_queue_ptr 0
		.amdhsa_user_sgpr_kernarg_segment_ptr 1
		.amdhsa_user_sgpr_dispatch_id 0
		.amdhsa_user_sgpr_flat_scratch_init 0
		.amdhsa_user_sgpr_kernarg_preload_length 0
		.amdhsa_user_sgpr_kernarg_preload_offset 0
		.amdhsa_user_sgpr_private_segment_size 0
		.amdhsa_uses_dynamic_stack 0
		.amdhsa_system_sgpr_private_segment_wavefront_offset 0
		.amdhsa_system_sgpr_workgroup_id_x 1
		.amdhsa_system_sgpr_workgroup_id_y 1
		.amdhsa_system_sgpr_workgroup_id_z 1
		.amdhsa_system_sgpr_workgroup_info 0
		.amdhsa_system_vgpr_workitem_id 1
		.amdhsa_next_free_vgpr 105
		.amdhsa_next_free_sgpr 96
		.amdhsa_accum_offset 108
		.amdhsa_reserve_vcc 1
		.amdhsa_reserve_flat_scratch 0
		.amdhsa_float_round_mode_32 0
		.amdhsa_float_round_mode_16_64 0
		.amdhsa_float_denorm_mode_32 3
		.amdhsa_float_denorm_mode_16_64 3
		.amdhsa_dx10_clamp 1
		.amdhsa_ieee_mode 1
		.amdhsa_fp16_overflow 0
		.amdhsa_tg_split 0
		.amdhsa_exception_fp_ieee_invalid_op 0
		.amdhsa_exception_fp_denorm_src 0
		.amdhsa_exception_fp_ieee_div_zero 0
		.amdhsa_exception_fp_ieee_overflow 0
		.amdhsa_exception_fp_ieee_underflow 0
		.amdhsa_exception_fp_ieee_inexact 0
		.amdhsa_exception_int_div_zero 0
	.end_amdhsa_kernel
	.section	.text._ZL9mul_mat_fI15__hip_bfloat162Li64ELi13ELi6ELb0EEvPKT_PKfPKiPfiiiiiiiiiiiiiiii,"axG",@progbits,_ZL9mul_mat_fI15__hip_bfloat162Li64ELi13ELi6ELb0EEvPKT_PKfPKiPfiiiiiiiiiiiiiiii,comdat
.Lfunc_end140:
	.size	_ZL9mul_mat_fI15__hip_bfloat162Li64ELi13ELi6ELb0EEvPKT_PKfPKiPfiiiiiiiiiiiiiiii, .Lfunc_end140-_ZL9mul_mat_fI15__hip_bfloat162Li64ELi13ELi6ELb0EEvPKT_PKfPKiPfiiiiiiiiiiiiiiii
                                        ; -- End function
	.section	.AMDGPU.csdata,"",@progbits
; Kernel info:
; codeLenInByte = 7436
; NumSgprs: 100
; NumVgprs: 105
; NumAgprs: 0
; TotalNumVgprs: 105
; ScratchSize: 0
; MemoryBound: 0
; FloatMode: 240
; IeeeMode: 1
; LDSByteSize: 0 bytes/workgroup (compile time only)
; SGPRBlocks: 12
; VGPRBlocks: 13
; NumSGPRsForWavesPerEU: 100
; NumVGPRsForWavesPerEU: 105
; AccumOffset: 108
; Occupancy: 4
; WaveLimiterHint : 0
; COMPUTE_PGM_RSRC2:SCRATCH_EN: 0
; COMPUTE_PGM_RSRC2:USER_SGPR: 6
; COMPUTE_PGM_RSRC2:TRAP_HANDLER: 0
; COMPUTE_PGM_RSRC2:TGID_X_EN: 1
; COMPUTE_PGM_RSRC2:TGID_Y_EN: 1
; COMPUTE_PGM_RSRC2:TGID_Z_EN: 1
; COMPUTE_PGM_RSRC2:TIDIG_COMP_CNT: 1
; COMPUTE_PGM_RSRC3_GFX90A:ACCUM_OFFSET: 26
; COMPUTE_PGM_RSRC3_GFX90A:TG_SPLIT: 0
	.section	.text._ZL13mul_mat_f_idsI15__hip_bfloat162Li64ELi13ELi7EEvPKT_PKfPKiS7_S7_Pfiiiiiiiiiiiiii15HIP_vector_typeIjLj3EESA_,"axG",@progbits,_ZL13mul_mat_f_idsI15__hip_bfloat162Li64ELi13ELi7EEvPKT_PKfPKiS7_S7_Pfiiiiiiiiiiiiii15HIP_vector_typeIjLj3EESA_,comdat
	.globl	_ZL13mul_mat_f_idsI15__hip_bfloat162Li64ELi13ELi7EEvPKT_PKfPKiS7_S7_Pfiiiiiiiiiiiiii15HIP_vector_typeIjLj3EESA_ ; -- Begin function _ZL13mul_mat_f_idsI15__hip_bfloat162Li64ELi13ELi7EEvPKT_PKfPKiS7_S7_Pfiiiiiiiiiiiiii15HIP_vector_typeIjLj3EESA_
	.p2align	8
	.type	_ZL13mul_mat_f_idsI15__hip_bfloat162Li64ELi13ELi7EEvPKT_PKfPKiS7_S7_Pfiiiiiiiiiiiiii15HIP_vector_typeIjLj3EESA_,@function
_ZL13mul_mat_f_idsI15__hip_bfloat162Li64ELi13ELi7EEvPKT_PKfPKiS7_S7_Pfiiiiiiiiiiiiii15HIP_vector_typeIjLj3EESA_: ; @_ZL13mul_mat_f_idsI15__hip_bfloat162Li64ELi13ELi7EEvPKT_PKfPKiS7_S7_Pfiiiiiiiiiiiiii15HIP_vector_typeIjLj3EESA_
; %bb.0:
	s_load_dwordx2 s[0:1], s[4:5], 0x20
	s_mov_b32 s34, s7
	s_ashr_i32 s35, s7, 31
	s_lshl_b64 s[2:3], s[34:35], 2
	s_waitcnt lgkmcnt(0)
	s_add_u32 s0, s0, s2
	s_addc_u32 s1, s1, s3
	s_load_dwordx2 s[28:29], s[0:1], 0x0
	s_waitcnt lgkmcnt(0)
	s_sub_i32 s33, s29, s28
	s_add_i32 s0, s33, 12
	s_mul_hi_i32 s0, s0, 0x4ec4ec4f
	s_lshr_b32 s1, s0, 31
	s_ashr_i32 s0, s0, 2
	s_add_i32 s0, s0, s1
	s_cmp_ge_i32 s8, s0
	s_cbranch_scc1 .LBB141_157
; %bb.1:
	v_bfe_u32 v108, v0, 10, 10
	v_lshlrev_b32_e32 v110, 6, v108
	v_and_b32_e32 v109, 0x3ff, v0
	s_load_dwordx4 s[12:15], s[4:5], 0x30
	s_load_dwordx2 s[20:21], s[4:5], 0x40
	s_load_dwordx4 s[0:3], s[4:5], 0x4c
	s_load_dwordx4 s[16:19], s[4:5], 0x68
	s_load_dwordx2 s[24:25], s[4:5], 0x78
	v_add_u32_e32 v112, v110, v109
	s_ashr_i32 s29, s28, 31
	s_waitcnt lgkmcnt(0)
	v_cmp_le_i32_e32 vcc, s12, v112
	v_and_b32_e32 v111, 15, v109
                                        ; implicit-def: $sgpr3
	s_and_saveexec_b64 s[10:11], vcc
	s_xor_b64 s[10:11], exec, s[10:11]
; %bb.2:
	v_and_b32_e32 v111, 15, v109
	s_mov_b32 s3, 0
                                        ; implicit-def: $vgpr112
; %bb.3:
	s_or_saveexec_b64 s[22:23], s[10:11]
	s_load_dwordx2 s[10:11], s[4:5], 0x18
                                        ; implicit-def: $vgpr119 : SGPR spill to VGPR lane
	s_lshl_b32 s26, s6, 6
	s_mul_i32 s6, s8, 13
	v_mov_b32_e32 v15, s3
	v_mov_b32_e32 v14, s3
	s_waitcnt lgkmcnt(0)
	v_writelane_b32 v119, s10, 0
	v_writelane_b32 v119, s11, 1
	s_load_dwordx2 s[10:11], s[4:5], 0x28
	v_mov_b32_e32 v13, s3
	v_mov_b32_e32 v12, s3
	;; [unrolled: 1-line block ×4, first 2 shown]
	s_waitcnt lgkmcnt(0)
	v_writelane_b32 v119, s10, 2
	v_writelane_b32 v119, s11, 3
	v_mov_b32_e32 v1, s3
	v_mov_b32_e32 v0, s3
	;; [unrolled: 1-line block ×10, first 2 shown]
	v_writelane_b32 v119, s22, 4
	v_writelane_b32 v119, s23, 5
	s_xor_b64 exec, exec, s[22:23]
	s_cbranch_execz .LBB141_150
; %bb.4:
	v_writelane_b32 v119, s24, 6
	v_writelane_b32 v119, s25, 7
	s_load_dwordx4 s[8:11], s[4:5], 0x0
	s_load_dwordx2 s[22:23], s[4:5], 0x10
	s_mul_i32 s4, s34, s0
	s_mul_i32 s24, s26, s15
	s_ashr_i32 s5, s4, 31
	s_ashr_i32 s25, s24, 31
	s_lshl_b64 s[24:25], s[24:25], 2
	s_lshl_b64 s[4:5], s[4:5], 2
	s_add_u32 s3, s4, s24
	s_addc_u32 s24, s5, s25
	v_writelane_b32 v119, s26, 8
	s_waitcnt lgkmcnt(0)
	s_add_u32 s0, s3, s8
	s_addc_u32 s26, s24, s9
	v_writelane_b32 v119, s28, 9
	s_lshl_b64 s[4:5], s[28:29], 2
	s_add_u32 s25, s22, s4
	s_addc_u32 s27, s23, s5
	s_movk_i32 s4, 0x1080
	s_cmp_lt_i32 s6, s33
	v_mad_u32_u24 v0, v108, s4, 0
	s_cselect_b64 s[4:5], -1, 0
	s_ashr_i32 s7, s6, 31
	s_lshl_b64 s[22:23], s[6:7], 2
	s_add_u32 s34, s25, s22
	s_addc_u32 s35, s27, s23
	s_add_i32 s7, s6, 1
	s_cmp_lt_i32 s7, s33
	s_cselect_b64 s[36:37], -1, 0
	s_add_i32 s7, s6, 2
	s_cmp_lt_i32 s7, s33
	v_lshrrev_b32_e32 v3, 1, v109
	s_cselect_b64 s[38:39], -1, 0
	s_add_i32 s7, s6, 3
	v_lshlrev_b32_e32 v1, 2, v109
	v_mul_u32_u24_e32 v2, 0x108, v111
	v_and_b32_e32 v3, 0x1f8, v3
	s_cmp_lt_i32 s7, s33
	v_add_u32_e32 v113, v0, v1
	v_add3_u32 v114, v0, v2, v3
	s_cselect_b64 s[40:41], -1, 0
	s_add_i32 s7, s6, 4
	v_lshlrev_b32_e32 v0, 8, v108
	v_writelane_b32 v119, s29, 10
	s_cmp_lt_i32 s7, s33
	v_add_co_u32_e32 v0, vcc, s3, v0
	s_mul_i32 s3, s15, 3
	s_cselect_b64 s[42:43], -1, 0
	s_add_i32 s7, s6, 5
	v_writelane_b32 v119, s3, 11
	s_mul_i32 s3, s15, 5
	s_cmp_lt_i32 s7, s33
	v_writelane_b32 v119, s3, 12
	s_mul_i32 s3, s15, 6
	s_cselect_b64 s[44:45], -1, 0
	s_add_i32 s7, s6, 6
	v_writelane_b32 v119, s3, 13
	s_mul_i32 s3, s15, 7
	s_cmp_lt_i32 s7, s33
	v_writelane_b32 v119, s3, 14
	;; [unrolled: 7-line block ×6, first 2 shown]
	s_mul_i32 s3, s15, 18
	s_cselect_b64 s[54:55], -1, 0
	s_add_i32 s7, s6, 11
	v_writelane_b32 v119, s3, 23
	s_mul_i32 s3, s15, 19
	s_cmp_lt_i32 s7, s33
	v_mov_b32_e32 v2, s24
	v_writelane_b32 v119, s3, 24
	s_mul_i32 s3, s15, 20
	s_cselect_b64 s[56:57], -1, 0
	s_add_i32 s7, s6, 12
	v_addc_co_u32_e32 v2, vcc, 0, v2, vcc
	v_writelane_b32 v119, s3, 25
	s_mul_i32 s3, s15, 21
	s_cmp_lt_i32 s7, s33
	v_add_co_u32_e32 v0, vcc, v0, v1
	v_writelane_b32 v119, s3, 26
	s_mul_i32 s3, s15, 22
	s_cselect_b64 s[58:59], -1, 0
	s_ashr_i32 s23, s15, 31
	s_mov_b32 s22, s15
	v_addc_co_u32_e32 v1, vcc, 0, v2, vcc
	v_writelane_b32 v119, s3, 27
	s_mul_i32 s3, s15, 23
	s_lshl_b64 s[60:61], s[22:23], 2
	v_mov_b32_e32 v2, s9
	v_add_co_u32_e32 v16, vcc, s8, v0
	v_writelane_b32 v119, s3, 28
	s_mul_i32 s3, s15, 24
	v_mov_b32_e32 v116, 0
	v_addc_co_u32_e32 v17, vcc, v2, v1, vcc
	s_lshl_b32 s7, s15, 1
	s_lshl_b32 s65, s15, 2
	;; [unrolled: 1-line block ×4, first 2 shown]
	v_writelane_b32 v119, s3, 29
	s_mul_i32 s86, s15, 25
	s_mul_i32 s87, s15, 26
	;; [unrolled: 1-line block ×7, first 2 shown]
	s_lshl_b32 s93, s15, 5
	s_mul_i32 s94, s15, 33
	s_mul_i32 s95, s15, 34
	;; [unrolled: 1-line block ×5, first 2 shown]
	v_mov_b32_e32 v115, s26
	s_mul_i32 s23, s15, 38
	v_mov_b32_e32 v117, s61
	v_mov_b32_e32 v8, 0
	;; [unrolled: 1-line block ×17, first 2 shown]
	s_mul_i32 s61, s15, 39
	s_mul_i32 s28, s15, 40
	;; [unrolled: 1-line block ×25, first 2 shown]
	s_mov_b32 s83, 0x7f800000
	s_movk_i32 s84, 0x7fff
	s_mov_b32 s85, 0x7060302
	s_mov_b64 s[8:9], 0
	s_branch .LBB141_6
.LBB141_5:                              ;   in Loop: Header=BB141_6 Depth=1
	s_or_b64 exec, exec, s[62:63]
	v_perm_b32 v82, v82, v84, s85
	v_add_u32_e32 v83, 0xc00, v113
	ds_write2_b32 v83, v82, v116 offset0:24 offset1:90
	ds_write2_b32 v83, v116, v116 offset0:156 offset1:222
	ds_read2_b64 v[82:85], v114 offset1:4
	v_add_co_u32_e32 v16, vcc, 0x700, v16
	v_add_u32_e32 v112, 0x1c0, v112
	s_waitcnt lgkmcnt(0)
	v_mfma_f32_16x16x16bf16_1k v[8:11], v[34:35], v[82:83], v[8:11]
	v_addc_co_u32_e32 v17, vcc, 0, v17, vcc
	v_cmp_le_i32_e32 vcc, s12, v112
	s_or_b64 s[8:9], vcc, s[8:9]
	v_mfma_f32_16x16x16bf16_1k v[4:7], v[50:51], v[82:83], v[4:7]
	v_mfma_f32_16x16x16bf16_1k v[0:3], v[64:65], v[82:83], v[0:3]
	;; [unrolled: 1-line block ×6, first 2 shown]
	ds_read2_b64 v[62:65], v114 offset0:8 offset1:12
	v_mfma_f32_16x16x16bf16_1k v[12:15], v[78:79], v[84:85], v[12:15]
	s_waitcnt lgkmcnt(0)
	v_mfma_f32_16x16x16bf16_1k v[8:11], v[28:29], v[62:63], v[8:11]
	v_mfma_f32_16x16x16bf16_1k v[4:7], v[44:45], v[62:63], v[4:7]
	;; [unrolled: 1-line block ×5, first 2 shown]
	ds_read2_b64 v[26:29], v114 offset0:16 offset1:20
	v_mfma_f32_16x16x16bf16_1k v[4:7], v[42:43], v[64:65], v[4:7]
	v_mfma_f32_16x16x16bf16_1k v[0:3], v[58:59], v[64:65], v[0:3]
	;; [unrolled: 1-line block ×3, first 2 shown]
	s_waitcnt lgkmcnt(0)
	v_mfma_f32_16x16x16bf16_1k v[8:11], v[24:25], v[26:27], v[8:11]
	v_mfma_f32_16x16x16bf16_1k v[4:7], v[40:41], v[26:27], v[4:7]
	;; [unrolled: 1-line block ×5, first 2 shown]
	ds_read2_b64 v[22:25], v114 offset0:24 offset1:28
	v_mfma_f32_16x16x16bf16_1k v[4:7], v[38:39], v[28:29], v[4:7]
	v_mfma_f32_16x16x16bf16_1k v[0:3], v[54:55], v[28:29], v[0:3]
	;; [unrolled: 1-line block ×3, first 2 shown]
	s_waitcnt lgkmcnt(0)
	v_mfma_f32_16x16x16bf16_1k v[8:11], v[20:21], v[22:23], v[8:11]
	v_mfma_f32_16x16x16bf16_1k v[4:7], v[36:37], v[22:23], v[4:7]
	;; [unrolled: 1-line block ×8, first 2 shown]
	s_andn2_b64 exec, exec, s[8:9]
	s_cbranch_execz .LBB141_149
.LBB141_6:                              ; =>This Inner Loop Header: Depth=1
	v_add_co_u32_e32 v18, vcc, s60, v16
	v_addc_co_u32_e32 v19, vcc, v17, v117, vcc
	global_load_dword v30, v[16:17], off
	global_load_dword v31, v[18:19], off
	v_add_u32_e32 v18, s7, v112
	v_ashrrev_i32_e32 v19, 31, v18
	v_readlane_b32 s62, v119, 11
	v_lshlrev_b64 v[18:19], 2, v[18:19]
	v_add_u32_e32 v20, s62, v112
	v_add_co_u32_e32 v18, vcc, s0, v18
	v_ashrrev_i32_e32 v21, 31, v20
	v_addc_co_u32_e32 v19, vcc, v115, v19, vcc
	v_lshlrev_b64 v[20:21], 2, v[20:21]
	v_add_u32_e32 v22, s65, v112
	v_add_co_u32_e32 v20, vcc, s0, v20
	v_ashrrev_i32_e32 v23, 31, v22
	v_readlane_b32 s62, v119, 12
	v_addc_co_u32_e32 v21, vcc, v115, v21, vcc
	v_lshlrev_b64 v[22:23], 2, v[22:23]
	v_add_u32_e32 v24, s62, v112
	v_add_co_u32_e32 v22, vcc, s0, v22
	v_ashrrev_i32_e32 v25, 31, v24
	v_readlane_b32 s62, v119, 13
	;; [unrolled: 6-line block ×3, first 2 shown]
	v_addc_co_u32_e32 v25, vcc, v115, v25, vcc
	v_lshlrev_b64 v[26:27], 2, v[26:27]
	v_add_u32_e32 v28, s62, v112
	v_add_co_u32_e32 v26, vcc, s0, v26
	v_ashrrev_i32_e32 v29, 31, v28
	v_addc_co_u32_e32 v27, vcc, v115, v27, vcc
	v_lshlrev_b64 v[28:29], 2, v[28:29]
	v_add_co_u32_e32 v28, vcc, s0, v28
	v_addc_co_u32_e32 v29, vcc, v115, v29, vcc
	global_load_dword v32, v[18:19], off
	global_load_dword v33, v[20:21], off
	;; [unrolled: 1-line block ×3, first 2 shown]
	s_nop 0
	global_load_dword v24, v[24:25], off
	s_nop 0
	global_load_dword v25, v[26:27], off
	;; [unrolled: 2-line block ×3, first 2 shown]
	v_add_u32_e32 v18, s69, v112
	v_readlane_b32 s62, v119, 15
	v_ashrrev_i32_e32 v19, 31, v18
	v_add_u32_e32 v20, s62, v112
	v_lshlrev_b64 v[18:19], 2, v[18:19]
	v_readlane_b32 s62, v119, 16
	v_ashrrev_i32_e32 v21, 31, v20
	v_add_co_u32_e32 v18, vcc, s0, v18
	v_add_u32_e32 v22, s62, v112
	v_lshlrev_b64 v[20:21], 2, v[20:21]
	v_addc_co_u32_e32 v19, vcc, v115, v19, vcc
	v_ashrrev_i32_e32 v23, 31, v22
	v_add_co_u32_e32 v20, vcc, s0, v20
	v_readlane_b32 s62, v119, 17
	v_lshlrev_b64 v[22:23], 2, v[22:23]
	v_addc_co_u32_e32 v21, vcc, v115, v21, vcc
	global_load_dword v18, v[18:19], off
	s_nop 0
	global_load_dword v19, v[20:21], off
	v_add_u32_e32 v20, s62, v112
	v_add_co_u32_e32 v22, vcc, s0, v22
	v_ashrrev_i32_e32 v21, 31, v20
	v_addc_co_u32_e32 v23, vcc, v115, v23, vcc
	v_lshlrev_b64 v[20:21], 2, v[20:21]
	v_readlane_b32 s62, v119, 18
	v_add_u32_e32 v58, s29, v112
	v_ashrrev_i32_e32 v59, 31, v58
	v_lshlrev_b64 v[58:59], 2, v[58:59]
	v_mov_b32_e32 v106, 0
	v_mov_b32_e32 v107, 0
	s_waitcnt vmcnt(9)
	ds_write_b32 v113, v30
	s_waitcnt vmcnt(8)
	ds_write_b32 v113, v31 offset:264
	s_waitcnt vmcnt(7)
	ds_write_b32 v113, v32 offset:528
	;; [unrolled: 2-line block ×7, first 2 shown]
	v_add_co_u32_e32 v24, vcc, s0, v20
	v_add_u32_e32 v20, s62, v112
	v_addc_co_u32_e32 v25, vcc, v115, v21, vcc
	v_ashrrev_i32_e32 v21, 31, v20
	v_lshlrev_b64 v[20:21], 2, v[20:21]
	v_readlane_b32 s62, v119, 19
	v_add_co_u32_e32 v26, vcc, s0, v20
	v_add_u32_e32 v20, s62, v112
	v_addc_co_u32_e32 v27, vcc, v115, v21, vcc
	v_ashrrev_i32_e32 v21, 31, v20
	v_lshlrev_b64 v[20:21], 2, v[20:21]
	v_readlane_b32 s62, v119, 20
	;; [unrolled: 6-line block ×3, first 2 shown]
	v_add_co_u32_e32 v30, vcc, s0, v20
	v_add_u32_e32 v20, s62, v112
	v_addc_co_u32_e32 v31, vcc, v115, v21, vcc
	v_ashrrev_i32_e32 v21, 31, v20
	v_lshlrev_b64 v[20:21], 2, v[20:21]
	v_add_co_u32_e32 v32, vcc, s0, v20
	v_add_u32_e32 v20, s77, v112
	v_addc_co_u32_e32 v33, vcc, v115, v21, vcc
	v_ashrrev_i32_e32 v21, 31, v20
	v_lshlrev_b64 v[20:21], 2, v[20:21]
	v_readlane_b32 s62, v119, 22
	v_add_co_u32_e32 v34, vcc, s0, v20
	v_add_u32_e32 v20, s62, v112
	v_addc_co_u32_e32 v35, vcc, v115, v21, vcc
	v_ashrrev_i32_e32 v21, 31, v20
	v_lshlrev_b64 v[20:21], 2, v[20:21]
	v_add_co_u32_e32 v36, vcc, s0, v20
	v_readlane_b32 s62, v119, 23
	v_addc_co_u32_e32 v37, vcc, v115, v21, vcc
	global_load_dword v20, v[22:23], off
	global_load_dword v21, v[24:25], off
	s_nop 0
	global_load_dword v22, v[26:27], off
	global_load_dword v23, v[28:29], off
	;; [unrolled: 1-line block ×4, first 2 shown]
	s_nop 0
	global_load_dword v32, v[34:35], off
	global_load_dword v33, v[36:37], off
	v_add_u32_e32 v26, s62, v112
	v_ashrrev_i32_e32 v27, 31, v26
	v_readlane_b32 s62, v119, 24
	v_lshlrev_b64 v[26:27], 2, v[26:27]
	v_add_u32_e32 v28, s62, v112
	v_add_co_u32_e32 v26, vcc, s0, v26
	v_ashrrev_i32_e32 v29, 31, v28
	v_readlane_b32 s62, v119, 25
	v_addc_co_u32_e32 v27, vcc, v115, v27, vcc
	v_lshlrev_b64 v[28:29], 2, v[28:29]
	v_add_u32_e32 v30, s62, v112
	v_add_co_u32_e32 v28, vcc, s0, v28
	v_ashrrev_i32_e32 v31, 31, v30
	v_readlane_b32 s62, v119, 26
	v_addc_co_u32_e32 v29, vcc, v115, v29, vcc
	;; [unrolled: 6-line block ×3, first 2 shown]
	v_lshlrev_b64 v[34:35], 2, v[34:35]
	v_add_u32_e32 v36, s62, v112
	v_add_co_u32_e32 v34, vcc, s0, v34
	v_ashrrev_i32_e32 v37, 31, v36
	v_addc_co_u32_e32 v35, vcc, v115, v35, vcc
	v_lshlrev_b64 v[36:37], 2, v[36:37]
	v_readlane_b32 s62, v119, 28
	v_add_co_u32_e32 v40, vcc, s0, v36
	v_add_u32_e32 v36, s62, v112
	v_addc_co_u32_e32 v41, vcc, v115, v37, vcc
	v_ashrrev_i32_e32 v37, 31, v36
	v_lshlrev_b64 v[36:37], 2, v[36:37]
	v_readlane_b32 s62, v119, 29
	v_add_co_u32_e32 v42, vcc, s0, v36
	v_add_u32_e32 v36, s62, v112
	v_addc_co_u32_e32 v43, vcc, v115, v37, vcc
	v_ashrrev_i32_e32 v37, 31, v36
	v_lshlrev_b64 v[36:37], 2, v[36:37]
	v_add_co_u32_e32 v44, vcc, s0, v36
	v_add_u32_e32 v36, s86, v112
	v_addc_co_u32_e32 v45, vcc, v115, v37, vcc
	v_ashrrev_i32_e32 v37, 31, v36
	v_lshlrev_b64 v[36:37], 2, v[36:37]
	v_add_co_u32_e32 v46, vcc, s0, v36
	v_addc_co_u32_e32 v47, vcc, v115, v37, vcc
	global_load_dword v36, v[26:27], off
	global_load_dword v37, v[28:29], off
	;; [unrolled: 1-line block ×4, first 2 shown]
	s_nop 0
	global_load_dword v40, v[40:41], off
	s_nop 0
	global_load_dword v41, v[42:43], off
	;; [unrolled: 2-line block ×3, first 2 shown]
	global_load_dword v43, v[46:47], off
	v_add_u32_e32 v26, s87, v112
	v_ashrrev_i32_e32 v27, 31, v26
	v_lshlrev_b64 v[26:27], 2, v[26:27]
	v_add_u32_e32 v28, s88, v112
	v_add_co_u32_e32 v26, vcc, s0, v26
	v_ashrrev_i32_e32 v29, 31, v28
	v_addc_co_u32_e32 v27, vcc, v115, v27, vcc
	v_lshlrev_b64 v[28:29], 2, v[28:29]
	v_add_u32_e32 v30, s89, v112
	v_add_co_u32_e32 v28, vcc, s0, v28
	v_ashrrev_i32_e32 v31, 31, v30
	v_addc_co_u32_e32 v29, vcc, v115, v29, vcc
	;; [unrolled: 5-line block ×4, first 2 shown]
	v_lshlrev_b64 v[44:45], 2, v[44:45]
	v_add_co_u32_e32 v48, vcc, s0, v44
	v_add_u32_e32 v44, s92, v112
	v_addc_co_u32_e32 v49, vcc, v115, v45, vcc
	v_ashrrev_i32_e32 v45, 31, v44
	v_lshlrev_b64 v[44:45], 2, v[44:45]
	v_add_co_u32_e32 v52, vcc, s0, v44
	v_add_u32_e32 v44, s93, v112
	v_addc_co_u32_e32 v53, vcc, v115, v45, vcc
	v_ashrrev_i32_e32 v45, 31, v44
	;; [unrolled: 5-line block ×3, first 2 shown]
	v_lshlrev_b64 v[44:45], 2, v[44:45]
	v_add_co_u32_e32 v56, vcc, s0, v44
	v_addc_co_u32_e32 v57, vcc, v115, v45, vcc
	global_load_dword v44, v[26:27], off
	global_load_dword v45, v[28:29], off
	;; [unrolled: 1-line block ×6, first 2 shown]
	s_nop 0
	global_load_dword v48, v[54:55], off
	global_load_dword v49, v[56:57], off
	v_add_u32_e32 v26, s95, v112
	v_ashrrev_i32_e32 v27, 31, v26
	v_lshlrev_b64 v[26:27], 2, v[26:27]
	v_add_u32_e32 v28, s24, v112
	v_add_co_u32_e32 v26, vcc, s0, v26
	v_ashrrev_i32_e32 v29, 31, v28
	v_addc_co_u32_e32 v27, vcc, v115, v27, vcc
	v_lshlrev_b64 v[28:29], 2, v[28:29]
	v_add_u32_e32 v30, s25, v112
	v_add_co_u32_e32 v28, vcc, s0, v28
	v_ashrrev_i32_e32 v31, 31, v30
	v_addc_co_u32_e32 v29, vcc, v115, v29, vcc
	;; [unrolled: 5-line block ×6, first 2 shown]
	v_lshlrev_b64 v[56:57], 2, v[56:57]
	v_add_co_u32_e32 v56, vcc, s0, v56
	v_addc_co_u32_e32 v57, vcc, v115, v57, vcc
	v_add_co_u32_e32 v58, vcc, s0, v58
	v_addc_co_u32_e32 v59, vcc, v115, v59, vcc
	global_load_dword v60, v[26:27], off
	global_load_dword v61, v[28:29], off
	;; [unrolled: 1-line block ×8, first 2 shown]
	v_add_u32_e32 v26, s3, v112
	v_ashrrev_i32_e32 v27, 31, v26
	v_lshlrev_b64 v[26:27], 2, v[26:27]
	v_add_u32_e32 v28, s30, v112
	v_add_co_u32_e32 v26, vcc, s0, v26
	v_ashrrev_i32_e32 v29, 31, v28
	v_addc_co_u32_e32 v27, vcc, v115, v27, vcc
	v_lshlrev_b64 v[28:29], 2, v[28:29]
	v_add_u32_e32 v30, s31, v112
	v_add_co_u32_e32 v28, vcc, s0, v28
	v_ashrrev_i32_e32 v31, 31, v30
	v_addc_co_u32_e32 v29, vcc, v115, v29, vcc
	;; [unrolled: 5-line block ×7, first 2 shown]
	v_lshlrev_b64 v[58:59], 2, v[58:59]
	v_add_co_u32_e32 v58, vcc, s0, v58
	v_addc_co_u32_e32 v59, vcc, v115, v59, vcc
	global_load_dword v68, v[26:27], off
	global_load_dword v69, v[28:29], off
	;; [unrolled: 1-line block ×8, first 2 shown]
	v_add_u32_e32 v26, s68, v112
	v_ashrrev_i32_e32 v27, 31, v26
	v_lshlrev_b64 v[26:27], 2, v[26:27]
	v_add_u32_e32 v28, s70, v112
	v_add_co_u32_e32 v26, vcc, s0, v26
	v_ashrrev_i32_e32 v29, 31, v28
	v_addc_co_u32_e32 v27, vcc, v115, v27, vcc
	v_lshlrev_b64 v[28:29], 2, v[28:29]
	v_add_u32_e32 v30, s71, v112
	v_add_co_u32_e32 v28, vcc, s0, v28
	v_ashrrev_i32_e32 v31, 31, v30
	v_addc_co_u32_e32 v29, vcc, v115, v29, vcc
	;; [unrolled: 5-line block ×7, first 2 shown]
	v_lshlrev_b64 v[58:59], 2, v[58:59]
	v_add_co_u32_e32 v58, vcc, s0, v58
	v_addc_co_u32_e32 v59, vcc, v115, v59, vcc
	global_load_dword v76, v[26:27], off
	global_load_dword v77, v[28:29], off
	;; [unrolled: 1-line block ×8, first 2 shown]
	v_add_u32_e32 v26, s78, v112
	v_ashrrev_i32_e32 v27, 31, v26
	v_lshlrev_b64 v[26:27], 2, v[26:27]
	v_add_u32_e32 v28, s79, v112
	v_add_co_u32_e32 v26, vcc, s0, v26
	v_ashrrev_i32_e32 v29, 31, v28
	v_addc_co_u32_e32 v27, vcc, v115, v27, vcc
	v_lshlrev_b64 v[28:29], 2, v[28:29]
	v_add_u32_e32 v30, s80, v112
	v_add_co_u32_e32 v28, vcc, s0, v28
	v_ashrrev_i32_e32 v31, 31, v30
	v_addc_co_u32_e32 v29, vcc, v115, v29, vcc
	;; [unrolled: 5-line block ×5, first 2 shown]
	v_lshlrev_b64 v[54:55], 2, v[54:55]
	v_add_co_u32_e32 v54, vcc, s0, v54
	v_addc_co_u32_e32 v55, vcc, v115, v55, vcc
	global_load_dword v84, v[26:27], off
	global_load_dword v85, v[28:29], off
	;; [unrolled: 1-line block ×6, first 2 shown]
	s_waitcnt vmcnt(55)
	ds_write_b32 v113, v18 offset:2112
	s_waitcnt vmcnt(54)
	ds_write_b32 v113, v19 offset:2376
	s_waitcnt vmcnt(53)
	ds_write_b32 v113, v20 offset:2640
	s_waitcnt vmcnt(52)
	ds_write_b32 v113, v21 offset:2904
	s_waitcnt vmcnt(51)
	ds_write_b32 v113, v22 offset:3168
	s_waitcnt vmcnt(50)
	ds_write_b32 v113, v23 offset:3432
	s_waitcnt vmcnt(49)
	ds_write_b32 v113, v24 offset:3696
	s_waitcnt vmcnt(48)
	ds_write_b32 v113, v25 offset:3960
	ds_read_b64 v[34:35], v114
	ds_read_b64 v[30:31], v114 offset:32
	ds_read_b64 v[28:29], v114 offset:64
	ds_read_b64 v[26:27], v114 offset:96
	ds_read_b64 v[24:25], v114 offset:128
	ds_read_b64 v[22:23], v114 offset:160
	ds_read_b64 v[20:21], v114 offset:192
	ds_read_b64 v[18:19], v114 offset:224
	s_waitcnt vmcnt(47)
	ds_write_b32 v113, v32
	s_waitcnt vmcnt(46)
	ds_write_b32 v113, v33 offset:264
	s_waitcnt vmcnt(45)
	ds_write_b32 v113, v36 offset:528
	s_waitcnt vmcnt(44)
	ds_write_b32 v113, v37 offset:792
	s_waitcnt vmcnt(43)
	ds_write_b32 v113, v38 offset:1056
	s_waitcnt vmcnt(42)
	ds_write_b32 v113, v39 offset:1320
	s_waitcnt vmcnt(41)
	ds_write_b32 v113, v40 offset:1584
	s_waitcnt vmcnt(40)
	ds_write_b32 v113, v41 offset:1848
	s_waitcnt vmcnt(39)
	ds_write_b32 v113, v42 offset:2112
	s_waitcnt vmcnt(38)
	ds_write_b32 v113, v43 offset:2376
	s_waitcnt vmcnt(37)
	ds_write_b32 v113, v44 offset:2640
	s_waitcnt vmcnt(36)
	ds_write_b32 v113, v45 offset:2904
	s_waitcnt vmcnt(35)
	ds_write_b32 v113, v46 offset:3168
	s_waitcnt vmcnt(34)
	ds_write_b32 v113, v47 offset:3432
	s_waitcnt vmcnt(33)
	ds_write_b32 v113, v50 offset:3696
	s_waitcnt vmcnt(32)
	ds_write_b32 v113, v51 offset:3960
	ds_read_b64 v[50:51], v114
	ds_read_b64 v[46:47], v114 offset:32
	ds_read_b64 v[44:45], v114 offset:64
	ds_read_b64 v[42:43], v114 offset:96
	ds_read_b64 v[40:41], v114 offset:128
	ds_read_b64 v[38:39], v114 offset:160
	ds_read_b64 v[36:37], v114 offset:192
	ds_read_b64 v[32:33], v114 offset:224
	s_waitcnt vmcnt(31)
	ds_write_b32 v113, v48
	s_waitcnt vmcnt(30)
	ds_write_b32 v113, v49 offset:264
	s_waitcnt vmcnt(29)
	ds_write_b32 v113, v60 offset:528
	s_waitcnt vmcnt(28)
	ds_write_b32 v113, v61 offset:792
	s_waitcnt vmcnt(27)
	ds_write_b32 v113, v62 offset:1056
	s_waitcnt vmcnt(26)
	ds_write_b32 v113, v63 offset:1320
	s_waitcnt vmcnt(25)
	ds_write_b32 v113, v64 offset:1584
	s_waitcnt vmcnt(24)
	ds_write_b32 v113, v65 offset:1848
	s_waitcnt vmcnt(23)
	ds_write_b32 v113, v66 offset:2112
	s_waitcnt vmcnt(22)
	ds_write_b32 v113, v67 offset:2376
	s_waitcnt vmcnt(21)
	ds_write_b32 v113, v68 offset:2640
	s_waitcnt vmcnt(20)
	ds_write_b32 v113, v69 offset:2904
	s_waitcnt vmcnt(19)
	ds_write_b32 v113, v70 offset:3168
	s_waitcnt vmcnt(18)
	ds_write_b32 v113, v71 offset:3432
	s_waitcnt vmcnt(17)
	ds_write_b32 v113, v72 offset:3696
	s_waitcnt vmcnt(16)
	ds_write_b32 v113, v73 offset:3960
	ds_read_b64 v[64:65], v114
	ds_read_b64 v[62:63], v114 offset:32
	ds_read_b64 v[60:61], v114 offset:64
	ds_read_b64 v[58:59], v114 offset:96
	ds_read_b64 v[56:57], v114 offset:128
	ds_read_b64 v[54:55], v114 offset:160
	ds_read_b64 v[52:53], v114 offset:192
	ds_read_b64 v[48:49], v114 offset:224
	s_waitcnt vmcnt(15)
	ds_write_b32 v113, v74
	s_waitcnt vmcnt(14)
	ds_write_b32 v113, v75 offset:264
	s_waitcnt vmcnt(13)
	ds_write_b32 v113, v76 offset:528
	s_waitcnt vmcnt(12)
	ds_write_b32 v113, v77 offset:792
	s_waitcnt vmcnt(11)
	ds_write_b32 v113, v78 offset:1056
	s_waitcnt vmcnt(10)
	ds_write_b32 v113, v79 offset:1320
	s_waitcnt vmcnt(9)
	ds_write_b32 v113, v80 offset:1584
	s_waitcnt vmcnt(8)
	ds_write_b32 v113, v81 offset:1848
	s_waitcnt vmcnt(7)
	ds_write_b32 v113, v82 offset:2112
	s_waitcnt vmcnt(6)
	ds_write_b32 v113, v83 offset:2376
	;; [unrolled: 2-line block ×8, first 2 shown]
	ds_read_b64 v[80:81], v114
	ds_read_b64 v[78:79], v114 offset:32
	ds_read_b64 v[76:77], v114 offset:64
	ds_read_b64 v[74:75], v114 offset:96
	ds_read_b64 v[72:73], v114 offset:128
	ds_read_b64 v[70:71], v114 offset:160
	ds_read_b64 v[68:69], v114 offset:192
	ds_read_b64 v[66:67], v114 offset:224
	s_andn2_b64 vcc, exec, s[4:5]
	s_cbranch_vccnz .LBB141_9
; %bb.7:                                ;   in Loop: Header=BB141_6 Depth=1
	s_load_dword s62, s[34:35], 0x0
	v_mov_b32_e32 v107, 0
	v_mov_b32_e32 v106, 0
	s_waitcnt lgkmcnt(0)
	s_mul_hi_u32 s63, s62, s16
	s_add_i32 s63, s62, s63
	s_lshr_b32 s63, s63, s17
	s_cmp_ge_i32 s63, s13
	s_cbranch_scc1 .LBB141_9
; %bb.8:                                ;   in Loop: Header=BB141_6 Depth=1
	s_mul_i32 vcc_lo, s63, s18
	s_sub_i32 s62, s62, vcc_lo
	s_mul_i32 s63, s63, s20
	s_mul_i32 s62, s62, s1
	v_add_u32_e32 v82, s63, v112
	v_lshl_add_u32 v82, v82, 1, s62
	v_ashrrev_i32_e32 v83, 31, v82
	v_lshlrev_b64 v[82:83], 2, v[82:83]
	v_mov_b32_e32 v84, s11
	v_add_co_u32_e32 v82, vcc, s10, v82
	v_addc_co_u32_e32 v83, vcc, v84, v83, vcc
	global_load_dwordx2 v[106:107], v[82:83], off
.LBB141_9:                              ;   in Loop: Header=BB141_6 Depth=1
	s_andn2_b64 vcc, exec, s[36:37]
	v_mov_b32_e32 v100, 0
	v_mov_b32_e32 v104, 0
	v_mov_b32_e32 v105, 0
	s_cbranch_vccnz .LBB141_12
; %bb.10:                               ;   in Loop: Header=BB141_6 Depth=1
	s_load_dword s62, s[34:35], 0x4
	v_mov_b32_e32 v105, 0
	v_mov_b32_e32 v104, 0
	s_waitcnt lgkmcnt(0)
	s_mul_hi_u32 s63, s62, s16
	s_add_i32 s63, s62, s63
	s_lshr_b32 s63, s63, s17
	s_cmp_ge_i32 s63, s13
	s_cbranch_scc1 .LBB141_12
; %bb.11:                               ;   in Loop: Header=BB141_6 Depth=1
	s_mul_i32 vcc_lo, s63, s18
	s_sub_i32 s62, s62, vcc_lo
	s_mul_i32 s63, s63, s20
	s_mul_i32 s62, s62, s1
	v_add_u32_e32 v82, s63, v112
	v_lshl_add_u32 v82, v82, 1, s62
	v_ashrrev_i32_e32 v83, 31, v82
	v_lshlrev_b64 v[82:83], 2, v[82:83]
	v_mov_b32_e32 v84, s11
	v_add_co_u32_e32 v82, vcc, s10, v82
	v_addc_co_u32_e32 v83, vcc, v84, v83, vcc
	global_load_dwordx2 v[104:105], v[82:83], off
.LBB141_12:                             ;   in Loop: Header=BB141_6 Depth=1
	s_andn2_b64 vcc, exec, s[38:39]
	v_mov_b32_e32 v101, 0
	s_cbranch_vccnz .LBB141_15
; %bb.13:                               ;   in Loop: Header=BB141_6 Depth=1
	s_load_dword s62, s[34:35], 0x8
	v_mov_b32_e32 v101, 0
	v_mov_b32_e32 v100, 0
	s_waitcnt lgkmcnt(0)
	s_mul_hi_u32 s63, s62, s16
	s_add_i32 s63, s62, s63
	s_lshr_b32 s63, s63, s17
	s_cmp_ge_i32 s63, s13
	s_cbranch_scc1 .LBB141_15
; %bb.14:                               ;   in Loop: Header=BB141_6 Depth=1
	s_mul_i32 vcc_lo, s63, s18
	s_sub_i32 s62, s62, vcc_lo
	s_mul_i32 s63, s63, s20
	s_mul_i32 s62, s62, s1
	v_add_u32_e32 v82, s63, v112
	v_lshl_add_u32 v82, v82, 1, s62
	v_ashrrev_i32_e32 v83, 31, v82
	v_lshlrev_b64 v[82:83], 2, v[82:83]
	v_mov_b32_e32 v84, s11
	v_add_co_u32_e32 v82, vcc, s10, v82
	v_addc_co_u32_e32 v83, vcc, v84, v83, vcc
	global_load_dwordx2 v[100:101], v[82:83], off
.LBB141_15:                             ;   in Loop: Header=BB141_6 Depth=1
	s_andn2_b64 vcc, exec, s[40:41]
	v_mov_b32_e32 v96, 0
	v_mov_b32_e32 v102, 0
	v_mov_b32_e32 v103, 0
	s_cbranch_vccnz .LBB141_18
; %bb.16:                               ;   in Loop: Header=BB141_6 Depth=1
	s_load_dword s62, s[34:35], 0xc
	v_mov_b32_e32 v103, 0
	v_mov_b32_e32 v102, 0
	s_waitcnt lgkmcnt(0)
	s_mul_hi_u32 s63, s62, s16
	s_add_i32 s63, s62, s63
	s_lshr_b32 s63, s63, s17
	s_cmp_ge_i32 s63, s13
	s_cbranch_scc1 .LBB141_18
; %bb.17:                               ;   in Loop: Header=BB141_6 Depth=1
	s_mul_i32 vcc_lo, s63, s18
	s_sub_i32 s62, s62, vcc_lo
	s_mul_i32 s63, s63, s20
	s_mul_i32 s62, s62, s1
	v_add_u32_e32 v82, s63, v112
	v_lshl_add_u32 v82, v82, 1, s62
	v_ashrrev_i32_e32 v83, 31, v82
	v_lshlrev_b64 v[82:83], 2, v[82:83]
	v_mov_b32_e32 v84, s11
	v_add_co_u32_e32 v82, vcc, s10, v82
	v_addc_co_u32_e32 v83, vcc, v84, v83, vcc
	global_load_dwordx2 v[102:103], v[82:83], off
.LBB141_18:                             ;   in Loop: Header=BB141_6 Depth=1
	s_andn2_b64 vcc, exec, s[42:43]
	v_mov_b32_e32 v97, 0
	s_cbranch_vccnz .LBB141_21
; %bb.19:                               ;   in Loop: Header=BB141_6 Depth=1
	s_load_dword s62, s[34:35], 0x10
	v_mov_b32_e32 v97, 0
	v_mov_b32_e32 v96, 0
	s_waitcnt lgkmcnt(0)
	s_mul_hi_u32 s63, s62, s16
	s_add_i32 s63, s62, s63
	s_lshr_b32 s63, s63, s17
	s_cmp_ge_i32 s63, s13
	s_cbranch_scc1 .LBB141_21
; %bb.20:                               ;   in Loop: Header=BB141_6 Depth=1
	s_mul_i32 vcc_lo, s63, s18
	s_sub_i32 s62, s62, vcc_lo
	s_mul_i32 s63, s63, s20
	s_mul_i32 s62, s62, s1
	v_add_u32_e32 v82, s63, v112
	v_lshl_add_u32 v82, v82, 1, s62
	v_ashrrev_i32_e32 v83, 31, v82
	v_lshlrev_b64 v[82:83], 2, v[82:83]
	v_mov_b32_e32 v84, s11
	v_add_co_u32_e32 v82, vcc, s10, v82
	v_addc_co_u32_e32 v83, vcc, v84, v83, vcc
	global_load_dwordx2 v[96:97], v[82:83], off
.LBB141_21:                             ;   in Loop: Header=BB141_6 Depth=1
	;; [unrolled: 56-line block ×6, first 2 shown]
	s_waitcnt vmcnt(0)
	v_and_b32_e32 v118, 0x7f800000, v106
	v_cmp_ne_u32_e32 vcc, s83, v118
                                        ; implicit-def: $vgpr118
	s_and_saveexec_b64 s[62:63], vcc
	s_xor_b64 s[62:63], exec, s[62:63]
; %bb.46:                               ;   in Loop: Header=BB141_6 Depth=1
	v_bfe_u32 v118, v106, 16, 1
	v_add3_u32 v118, v106, v118, s84
; %bb.47:                               ;   in Loop: Header=BB141_6 Depth=1
	s_andn2_saveexec_b64 s[62:63], s[62:63]
; %bb.48:                               ;   in Loop: Header=BB141_6 Depth=1
	v_or_b32_e32 v118, 0x10000, v106
	v_cmp_eq_u32_sdwa vcc, v106, v116 src0_sel:WORD_0 src1_sel:DWORD
	v_cndmask_b32_e32 v118, v118, v106, vcc
; %bb.49:                               ;   in Loop: Header=BB141_6 Depth=1
	s_or_b64 exec, exec, s[62:63]
	v_and_b32_e32 v106, 0x7f800000, v107
	v_cmp_ne_u32_e32 vcc, s83, v106
                                        ; implicit-def: $vgpr106
	s_and_saveexec_b64 s[62:63], vcc
	s_xor_b64 s[62:63], exec, s[62:63]
; %bb.50:                               ;   in Loop: Header=BB141_6 Depth=1
	v_bfe_u32 v106, v107, 16, 1
	v_add3_u32 v106, v107, v106, s84
                                        ; implicit-def: $vgpr107
; %bb.51:                               ;   in Loop: Header=BB141_6 Depth=1
	s_andn2_saveexec_b64 s[62:63], s[62:63]
; %bb.52:                               ;   in Loop: Header=BB141_6 Depth=1
	v_or_b32_e32 v106, 0x10000, v107
	v_cmp_eq_u32_sdwa vcc, v107, v116 src0_sel:WORD_0 src1_sel:DWORD
	v_cndmask_b32_e32 v106, v106, v107, vcc
; %bb.53:                               ;   in Loop: Header=BB141_6 Depth=1
	s_or_b64 exec, exec, s[62:63]
	v_perm_b32 v106, v106, v118, s85
	ds_write_b32 v113, v106
	v_and_b32_e32 v106, 0x7f800000, v104
	v_cmp_ne_u32_e32 vcc, s83, v106
                                        ; implicit-def: $vgpr106
	s_and_saveexec_b64 s[62:63], vcc
	s_xor_b64 s[62:63], exec, s[62:63]
; %bb.54:                               ;   in Loop: Header=BB141_6 Depth=1
	v_bfe_u32 v106, v104, 16, 1
	v_add3_u32 v106, v104, v106, s84
; %bb.55:                               ;   in Loop: Header=BB141_6 Depth=1
	s_andn2_saveexec_b64 s[62:63], s[62:63]
; %bb.56:                               ;   in Loop: Header=BB141_6 Depth=1
	v_or_b32_e32 v106, 0x10000, v104
	v_cmp_eq_u32_sdwa vcc, v104, v116 src0_sel:WORD_0 src1_sel:DWORD
	v_cndmask_b32_e32 v106, v106, v104, vcc
; %bb.57:                               ;   in Loop: Header=BB141_6 Depth=1
	s_or_b64 exec, exec, s[62:63]
	v_and_b32_e32 v104, 0x7f800000, v105
	v_cmp_ne_u32_e32 vcc, s83, v104
                                        ; implicit-def: $vgpr104
	s_and_saveexec_b64 s[62:63], vcc
	s_xor_b64 s[62:63], exec, s[62:63]
; %bb.58:                               ;   in Loop: Header=BB141_6 Depth=1
	v_bfe_u32 v104, v105, 16, 1
	v_add3_u32 v104, v105, v104, s84
                                        ; implicit-def: $vgpr105
; %bb.59:                               ;   in Loop: Header=BB141_6 Depth=1
	s_andn2_saveexec_b64 s[62:63], s[62:63]
; %bb.60:                               ;   in Loop: Header=BB141_6 Depth=1
	v_or_b32_e32 v104, 0x10000, v105
	v_cmp_eq_u32_sdwa vcc, v105, v116 src0_sel:WORD_0 src1_sel:DWORD
	v_cndmask_b32_e32 v104, v104, v105, vcc
; %bb.61:                               ;   in Loop: Header=BB141_6 Depth=1
	s_or_b64 exec, exec, s[62:63]
	v_perm_b32 v104, v104, v106, s85
	ds_write_b32 v113, v104 offset:264
	v_and_b32_e32 v104, 0x7f800000, v100
	v_cmp_ne_u32_e32 vcc, s83, v104
                                        ; implicit-def: $vgpr104
	s_and_saveexec_b64 s[62:63], vcc
	s_xor_b64 s[62:63], exec, s[62:63]
; %bb.62:                               ;   in Loop: Header=BB141_6 Depth=1
	v_bfe_u32 v104, v100, 16, 1
	v_add3_u32 v104, v100, v104, s84
; %bb.63:                               ;   in Loop: Header=BB141_6 Depth=1
	s_andn2_saveexec_b64 s[62:63], s[62:63]
; %bb.64:                               ;   in Loop: Header=BB141_6 Depth=1
	v_or_b32_e32 v104, 0x10000, v100
	v_cmp_eq_u32_sdwa vcc, v100, v116 src0_sel:WORD_0 src1_sel:DWORD
	v_cndmask_b32_e32 v104, v104, v100, vcc
; %bb.65:                               ;   in Loop: Header=BB141_6 Depth=1
	s_or_b64 exec, exec, s[62:63]
	v_and_b32_e32 v100, 0x7f800000, v101
	v_cmp_ne_u32_e32 vcc, s83, v100
                                        ; implicit-def: $vgpr100
	s_and_saveexec_b64 s[62:63], vcc
	s_xor_b64 s[62:63], exec, s[62:63]
; %bb.66:                               ;   in Loop: Header=BB141_6 Depth=1
	v_bfe_u32 v100, v101, 16, 1
	v_add3_u32 v100, v101, v100, s84
                                        ; implicit-def: $vgpr101
; %bb.67:                               ;   in Loop: Header=BB141_6 Depth=1
	s_andn2_saveexec_b64 s[62:63], s[62:63]
; %bb.68:                               ;   in Loop: Header=BB141_6 Depth=1
	v_or_b32_e32 v100, 0x10000, v101
	v_cmp_eq_u32_sdwa vcc, v101, v116 src0_sel:WORD_0 src1_sel:DWORD
	v_cndmask_b32_e32 v100, v100, v101, vcc
; %bb.69:                               ;   in Loop: Header=BB141_6 Depth=1
	s_or_b64 exec, exec, s[62:63]
	v_perm_b32 v100, v100, v104, s85
	ds_write_b32 v113, v100 offset:528
	v_and_b32_e32 v100, 0x7f800000, v102
	v_cmp_ne_u32_e32 vcc, s83, v100
                                        ; implicit-def: $vgpr100
	s_and_saveexec_b64 s[62:63], vcc
	s_xor_b64 s[62:63], exec, s[62:63]
; %bb.70:                               ;   in Loop: Header=BB141_6 Depth=1
	v_bfe_u32 v100, v102, 16, 1
	v_add3_u32 v100, v102, v100, s84
; %bb.71:                               ;   in Loop: Header=BB141_6 Depth=1
	s_andn2_saveexec_b64 s[62:63], s[62:63]
; %bb.72:                               ;   in Loop: Header=BB141_6 Depth=1
	v_or_b32_e32 v100, 0x10000, v102
	v_cmp_eq_u32_sdwa vcc, v102, v116 src0_sel:WORD_0 src1_sel:DWORD
	v_cndmask_b32_e32 v100, v100, v102, vcc
; %bb.73:                               ;   in Loop: Header=BB141_6 Depth=1
	s_or_b64 exec, exec, s[62:63]
	v_and_b32_e32 v101, 0x7f800000, v103
	v_cmp_ne_u32_e32 vcc, s83, v101
                                        ; implicit-def: $vgpr101
	s_and_saveexec_b64 s[62:63], vcc
	s_xor_b64 s[62:63], exec, s[62:63]
; %bb.74:                               ;   in Loop: Header=BB141_6 Depth=1
	v_bfe_u32 v101, v103, 16, 1
	v_add3_u32 v101, v103, v101, s84
                                        ; implicit-def: $vgpr103
; %bb.75:                               ;   in Loop: Header=BB141_6 Depth=1
	s_andn2_saveexec_b64 s[62:63], s[62:63]
; %bb.76:                               ;   in Loop: Header=BB141_6 Depth=1
	v_or_b32_e32 v101, 0x10000, v103
	v_cmp_eq_u32_sdwa vcc, v103, v116 src0_sel:WORD_0 src1_sel:DWORD
	v_cndmask_b32_e32 v101, v101, v103, vcc
; %bb.77:                               ;   in Loop: Header=BB141_6 Depth=1
	s_or_b64 exec, exec, s[62:63]
	v_perm_b32 v100, v101, v100, s85
	ds_write_b32 v113, v100 offset:792
	v_and_b32_e32 v100, 0x7f800000, v96
	v_cmp_ne_u32_e32 vcc, s83, v100
                                        ; implicit-def: $vgpr100
	s_and_saveexec_b64 s[62:63], vcc
	s_xor_b64 s[62:63], exec, s[62:63]
; %bb.78:                               ;   in Loop: Header=BB141_6 Depth=1
	v_bfe_u32 v100, v96, 16, 1
	v_add3_u32 v100, v96, v100, s84
; %bb.79:                               ;   in Loop: Header=BB141_6 Depth=1
	s_andn2_saveexec_b64 s[62:63], s[62:63]
; %bb.80:                               ;   in Loop: Header=BB141_6 Depth=1
	v_or_b32_e32 v100, 0x10000, v96
	v_cmp_eq_u32_sdwa vcc, v96, v116 src0_sel:WORD_0 src1_sel:DWORD
	v_cndmask_b32_e32 v100, v100, v96, vcc
; %bb.81:                               ;   in Loop: Header=BB141_6 Depth=1
	s_or_b64 exec, exec, s[62:63]
	v_and_b32_e32 v96, 0x7f800000, v97
	v_cmp_ne_u32_e32 vcc, s83, v96
                                        ; implicit-def: $vgpr96
	s_and_saveexec_b64 s[62:63], vcc
	s_xor_b64 s[62:63], exec, s[62:63]
; %bb.82:                               ;   in Loop: Header=BB141_6 Depth=1
	v_bfe_u32 v96, v97, 16, 1
	v_add3_u32 v96, v97, v96, s84
                                        ; implicit-def: $vgpr97
; %bb.83:                               ;   in Loop: Header=BB141_6 Depth=1
	s_andn2_saveexec_b64 s[62:63], s[62:63]
; %bb.84:                               ;   in Loop: Header=BB141_6 Depth=1
	v_or_b32_e32 v96, 0x10000, v97
	v_cmp_eq_u32_sdwa vcc, v97, v116 src0_sel:WORD_0 src1_sel:DWORD
	v_cndmask_b32_e32 v96, v96, v97, vcc
; %bb.85:                               ;   in Loop: Header=BB141_6 Depth=1
	s_or_b64 exec, exec, s[62:63]
	v_perm_b32 v96, v96, v100, s85
	ds_write_b32 v113, v96 offset:1056
	v_and_b32_e32 v96, 0x7f800000, v98
	v_cmp_ne_u32_e32 vcc, s83, v96
                                        ; implicit-def: $vgpr96
	s_and_saveexec_b64 s[62:63], vcc
	s_xor_b64 s[62:63], exec, s[62:63]
; %bb.86:                               ;   in Loop: Header=BB141_6 Depth=1
	v_bfe_u32 v96, v98, 16, 1
	v_add3_u32 v96, v98, v96, s84
; %bb.87:                               ;   in Loop: Header=BB141_6 Depth=1
	s_andn2_saveexec_b64 s[62:63], s[62:63]
; %bb.88:                               ;   in Loop: Header=BB141_6 Depth=1
	v_or_b32_e32 v96, 0x10000, v98
	v_cmp_eq_u32_sdwa vcc, v98, v116 src0_sel:WORD_0 src1_sel:DWORD
	v_cndmask_b32_e32 v96, v96, v98, vcc
; %bb.89:                               ;   in Loop: Header=BB141_6 Depth=1
	s_or_b64 exec, exec, s[62:63]
	v_and_b32_e32 v97, 0x7f800000, v99
	v_cmp_ne_u32_e32 vcc, s83, v97
                                        ; implicit-def: $vgpr97
	s_and_saveexec_b64 s[62:63], vcc
	s_xor_b64 s[62:63], exec, s[62:63]
; %bb.90:                               ;   in Loop: Header=BB141_6 Depth=1
	v_bfe_u32 v97, v99, 16, 1
	v_add3_u32 v97, v99, v97, s84
                                        ; implicit-def: $vgpr99
; %bb.91:                               ;   in Loop: Header=BB141_6 Depth=1
	s_andn2_saveexec_b64 s[62:63], s[62:63]
; %bb.92:                               ;   in Loop: Header=BB141_6 Depth=1
	v_or_b32_e32 v97, 0x10000, v99
	v_cmp_eq_u32_sdwa vcc, v99, v116 src0_sel:WORD_0 src1_sel:DWORD
	v_cndmask_b32_e32 v97, v97, v99, vcc
; %bb.93:                               ;   in Loop: Header=BB141_6 Depth=1
	s_or_b64 exec, exec, s[62:63]
	v_perm_b32 v96, v97, v96, s85
	ds_write_b32 v113, v96 offset:1320
	v_and_b32_e32 v96, 0x7f800000, v92
	v_cmp_ne_u32_e32 vcc, s83, v96
                                        ; implicit-def: $vgpr96
	s_and_saveexec_b64 s[62:63], vcc
	s_xor_b64 s[62:63], exec, s[62:63]
; %bb.94:                               ;   in Loop: Header=BB141_6 Depth=1
	v_bfe_u32 v96, v92, 16, 1
	v_add3_u32 v96, v92, v96, s84
; %bb.95:                               ;   in Loop: Header=BB141_6 Depth=1
	s_andn2_saveexec_b64 s[62:63], s[62:63]
; %bb.96:                               ;   in Loop: Header=BB141_6 Depth=1
	v_or_b32_e32 v96, 0x10000, v92
	v_cmp_eq_u32_sdwa vcc, v92, v116 src0_sel:WORD_0 src1_sel:DWORD
	v_cndmask_b32_e32 v96, v96, v92, vcc
; %bb.97:                               ;   in Loop: Header=BB141_6 Depth=1
	s_or_b64 exec, exec, s[62:63]
	v_and_b32_e32 v92, 0x7f800000, v93
	v_cmp_ne_u32_e32 vcc, s83, v92
                                        ; implicit-def: $vgpr92
	s_and_saveexec_b64 s[62:63], vcc
	s_xor_b64 s[62:63], exec, s[62:63]
; %bb.98:                               ;   in Loop: Header=BB141_6 Depth=1
	v_bfe_u32 v92, v93, 16, 1
	v_add3_u32 v92, v93, v92, s84
                                        ; implicit-def: $vgpr93
; %bb.99:                               ;   in Loop: Header=BB141_6 Depth=1
	s_andn2_saveexec_b64 s[62:63], s[62:63]
; %bb.100:                              ;   in Loop: Header=BB141_6 Depth=1
	v_or_b32_e32 v92, 0x10000, v93
	v_cmp_eq_u32_sdwa vcc, v93, v116 src0_sel:WORD_0 src1_sel:DWORD
	v_cndmask_b32_e32 v92, v92, v93, vcc
; %bb.101:                              ;   in Loop: Header=BB141_6 Depth=1
	s_or_b64 exec, exec, s[62:63]
	v_perm_b32 v92, v92, v96, s85
	ds_write_b32 v113, v92 offset:1584
	v_and_b32_e32 v92, 0x7f800000, v94
	v_cmp_ne_u32_e32 vcc, s83, v92
                                        ; implicit-def: $vgpr92
	s_and_saveexec_b64 s[62:63], vcc
	s_xor_b64 s[62:63], exec, s[62:63]
; %bb.102:                              ;   in Loop: Header=BB141_6 Depth=1
	v_bfe_u32 v92, v94, 16, 1
	v_add3_u32 v92, v94, v92, s84
; %bb.103:                              ;   in Loop: Header=BB141_6 Depth=1
	s_andn2_saveexec_b64 s[62:63], s[62:63]
; %bb.104:                              ;   in Loop: Header=BB141_6 Depth=1
	v_or_b32_e32 v92, 0x10000, v94
	v_cmp_eq_u32_sdwa vcc, v94, v116 src0_sel:WORD_0 src1_sel:DWORD
	v_cndmask_b32_e32 v92, v92, v94, vcc
; %bb.105:                              ;   in Loop: Header=BB141_6 Depth=1
	s_or_b64 exec, exec, s[62:63]
	v_and_b32_e32 v93, 0x7f800000, v95
	v_cmp_ne_u32_e32 vcc, s83, v93
                                        ; implicit-def: $vgpr93
	s_and_saveexec_b64 s[62:63], vcc
	s_xor_b64 s[62:63], exec, s[62:63]
; %bb.106:                              ;   in Loop: Header=BB141_6 Depth=1
	v_bfe_u32 v93, v95, 16, 1
	v_add3_u32 v93, v95, v93, s84
                                        ; implicit-def: $vgpr95
; %bb.107:                              ;   in Loop: Header=BB141_6 Depth=1
	s_andn2_saveexec_b64 s[62:63], s[62:63]
; %bb.108:                              ;   in Loop: Header=BB141_6 Depth=1
	v_or_b32_e32 v93, 0x10000, v95
	v_cmp_eq_u32_sdwa vcc, v95, v116 src0_sel:WORD_0 src1_sel:DWORD
	v_cndmask_b32_e32 v93, v93, v95, vcc
; %bb.109:                              ;   in Loop: Header=BB141_6 Depth=1
	s_or_b64 exec, exec, s[62:63]
	v_perm_b32 v92, v93, v92, s85
	ds_write_b32 v113, v92 offset:1848
	v_and_b32_e32 v92, 0x7f800000, v88
	v_cmp_ne_u32_e32 vcc, s83, v92
                                        ; implicit-def: $vgpr92
	s_and_saveexec_b64 s[62:63], vcc
	s_xor_b64 s[62:63], exec, s[62:63]
; %bb.110:                              ;   in Loop: Header=BB141_6 Depth=1
	v_bfe_u32 v92, v88, 16, 1
	v_add3_u32 v92, v88, v92, s84
; %bb.111:                              ;   in Loop: Header=BB141_6 Depth=1
	s_andn2_saveexec_b64 s[62:63], s[62:63]
; %bb.112:                              ;   in Loop: Header=BB141_6 Depth=1
	v_or_b32_e32 v92, 0x10000, v88
	v_cmp_eq_u32_sdwa vcc, v88, v116 src0_sel:WORD_0 src1_sel:DWORD
	v_cndmask_b32_e32 v92, v92, v88, vcc
; %bb.113:                              ;   in Loop: Header=BB141_6 Depth=1
	s_or_b64 exec, exec, s[62:63]
	v_and_b32_e32 v88, 0x7f800000, v89
	v_cmp_ne_u32_e32 vcc, s83, v88
                                        ; implicit-def: $vgpr88
	s_and_saveexec_b64 s[62:63], vcc
	s_xor_b64 s[62:63], exec, s[62:63]
; %bb.114:                              ;   in Loop: Header=BB141_6 Depth=1
	v_bfe_u32 v88, v89, 16, 1
	v_add3_u32 v88, v89, v88, s84
                                        ; implicit-def: $vgpr89
; %bb.115:                              ;   in Loop: Header=BB141_6 Depth=1
	s_andn2_saveexec_b64 s[62:63], s[62:63]
; %bb.116:                              ;   in Loop: Header=BB141_6 Depth=1
	v_or_b32_e32 v88, 0x10000, v89
	v_cmp_eq_u32_sdwa vcc, v89, v116 src0_sel:WORD_0 src1_sel:DWORD
	v_cndmask_b32_e32 v88, v88, v89, vcc
; %bb.117:                              ;   in Loop: Header=BB141_6 Depth=1
	s_or_b64 exec, exec, s[62:63]
	v_perm_b32 v88, v88, v92, s85
	ds_write_b32 v113, v88 offset:2112
	v_and_b32_e32 v88, 0x7f800000, v90
	v_cmp_ne_u32_e32 vcc, s83, v88
                                        ; implicit-def: $vgpr88
	s_and_saveexec_b64 s[62:63], vcc
	s_xor_b64 s[62:63], exec, s[62:63]
; %bb.118:                              ;   in Loop: Header=BB141_6 Depth=1
	v_bfe_u32 v88, v90, 16, 1
	v_add3_u32 v88, v90, v88, s84
; %bb.119:                              ;   in Loop: Header=BB141_6 Depth=1
	s_andn2_saveexec_b64 s[62:63], s[62:63]
; %bb.120:                              ;   in Loop: Header=BB141_6 Depth=1
	v_or_b32_e32 v88, 0x10000, v90
	v_cmp_eq_u32_sdwa vcc, v90, v116 src0_sel:WORD_0 src1_sel:DWORD
	v_cndmask_b32_e32 v88, v88, v90, vcc
; %bb.121:                              ;   in Loop: Header=BB141_6 Depth=1
	s_or_b64 exec, exec, s[62:63]
	v_and_b32_e32 v89, 0x7f800000, v91
	v_cmp_ne_u32_e32 vcc, s83, v89
                                        ; implicit-def: $vgpr89
	s_and_saveexec_b64 s[62:63], vcc
	s_xor_b64 s[62:63], exec, s[62:63]
; %bb.122:                              ;   in Loop: Header=BB141_6 Depth=1
	v_bfe_u32 v89, v91, 16, 1
	v_add3_u32 v89, v91, v89, s84
                                        ; implicit-def: $vgpr91
; %bb.123:                              ;   in Loop: Header=BB141_6 Depth=1
	s_andn2_saveexec_b64 s[62:63], s[62:63]
; %bb.124:                              ;   in Loop: Header=BB141_6 Depth=1
	v_or_b32_e32 v89, 0x10000, v91
	v_cmp_eq_u32_sdwa vcc, v91, v116 src0_sel:WORD_0 src1_sel:DWORD
	v_cndmask_b32_e32 v89, v89, v91, vcc
; %bb.125:                              ;   in Loop: Header=BB141_6 Depth=1
	s_or_b64 exec, exec, s[62:63]
	v_perm_b32 v88, v89, v88, s85
	ds_write_b32 v113, v88 offset:2376
	v_and_b32_e32 v88, 0x7f800000, v84
	v_cmp_ne_u32_e32 vcc, s83, v88
                                        ; implicit-def: $vgpr88
	s_and_saveexec_b64 s[62:63], vcc
	s_xor_b64 s[62:63], exec, s[62:63]
; %bb.126:                              ;   in Loop: Header=BB141_6 Depth=1
	v_bfe_u32 v88, v84, 16, 1
	v_add3_u32 v88, v84, v88, s84
; %bb.127:                              ;   in Loop: Header=BB141_6 Depth=1
	s_andn2_saveexec_b64 s[62:63], s[62:63]
; %bb.128:                              ;   in Loop: Header=BB141_6 Depth=1
	v_or_b32_e32 v88, 0x10000, v84
	v_cmp_eq_u32_sdwa vcc, v84, v116 src0_sel:WORD_0 src1_sel:DWORD
	v_cndmask_b32_e32 v88, v88, v84, vcc
; %bb.129:                              ;   in Loop: Header=BB141_6 Depth=1
	s_or_b64 exec, exec, s[62:63]
	v_and_b32_e32 v84, 0x7f800000, v85
	v_cmp_ne_u32_e32 vcc, s83, v84
                                        ; implicit-def: $vgpr84
	s_and_saveexec_b64 s[62:63], vcc
	s_xor_b64 s[62:63], exec, s[62:63]
; %bb.130:                              ;   in Loop: Header=BB141_6 Depth=1
	v_bfe_u32 v84, v85, 16, 1
	v_add3_u32 v84, v85, v84, s84
                                        ; implicit-def: $vgpr85
; %bb.131:                              ;   in Loop: Header=BB141_6 Depth=1
	s_andn2_saveexec_b64 s[62:63], s[62:63]
; %bb.132:                              ;   in Loop: Header=BB141_6 Depth=1
	v_or_b32_e32 v84, 0x10000, v85
	v_cmp_eq_u32_sdwa vcc, v85, v116 src0_sel:WORD_0 src1_sel:DWORD
	v_cndmask_b32_e32 v84, v84, v85, vcc
; %bb.133:                              ;   in Loop: Header=BB141_6 Depth=1
	s_or_b64 exec, exec, s[62:63]
	v_perm_b32 v84, v84, v88, s85
	ds_write_b32 v113, v84 offset:2640
	v_and_b32_e32 v84, 0x7f800000, v86
	v_cmp_ne_u32_e32 vcc, s83, v84
                                        ; implicit-def: $vgpr84
	s_and_saveexec_b64 s[62:63], vcc
	s_xor_b64 s[62:63], exec, s[62:63]
; %bb.134:                              ;   in Loop: Header=BB141_6 Depth=1
	v_bfe_u32 v84, v86, 16, 1
	v_add3_u32 v84, v86, v84, s84
; %bb.135:                              ;   in Loop: Header=BB141_6 Depth=1
	s_andn2_saveexec_b64 s[62:63], s[62:63]
; %bb.136:                              ;   in Loop: Header=BB141_6 Depth=1
	v_or_b32_e32 v84, 0x10000, v86
	v_cmp_eq_u32_sdwa vcc, v86, v116 src0_sel:WORD_0 src1_sel:DWORD
	v_cndmask_b32_e32 v84, v84, v86, vcc
; %bb.137:                              ;   in Loop: Header=BB141_6 Depth=1
	s_or_b64 exec, exec, s[62:63]
	v_and_b32_e32 v85, 0x7f800000, v87
	v_cmp_ne_u32_e32 vcc, s83, v85
                                        ; implicit-def: $vgpr85
	s_and_saveexec_b64 s[62:63], vcc
	s_xor_b64 s[62:63], exec, s[62:63]
; %bb.138:                              ;   in Loop: Header=BB141_6 Depth=1
	v_bfe_u32 v85, v87, 16, 1
	v_add3_u32 v85, v87, v85, s84
                                        ; implicit-def: $vgpr87
; %bb.139:                              ;   in Loop: Header=BB141_6 Depth=1
	s_andn2_saveexec_b64 s[62:63], s[62:63]
; %bb.140:                              ;   in Loop: Header=BB141_6 Depth=1
	v_or_b32_e32 v85, 0x10000, v87
	v_cmp_eq_u32_sdwa vcc, v87, v116 src0_sel:WORD_0 src1_sel:DWORD
	v_cndmask_b32_e32 v85, v85, v87, vcc
; %bb.141:                              ;   in Loop: Header=BB141_6 Depth=1
	s_or_b64 exec, exec, s[62:63]
	v_perm_b32 v84, v85, v84, s85
	ds_write_b32 v113, v84 offset:2904
	v_and_b32_e32 v84, 0x7f800000, v82
	v_cmp_ne_u32_e32 vcc, s83, v84
                                        ; implicit-def: $vgpr84
	s_and_saveexec_b64 s[62:63], vcc
	s_xor_b64 s[62:63], exec, s[62:63]
; %bb.142:                              ;   in Loop: Header=BB141_6 Depth=1
	v_bfe_u32 v84, v82, 16, 1
	v_add3_u32 v84, v82, v84, s84
; %bb.143:                              ;   in Loop: Header=BB141_6 Depth=1
	s_andn2_saveexec_b64 s[62:63], s[62:63]
; %bb.144:                              ;   in Loop: Header=BB141_6 Depth=1
	v_or_b32_e32 v84, 0x10000, v82
	v_cmp_eq_u32_sdwa vcc, v82, v116 src0_sel:WORD_0 src1_sel:DWORD
	v_cndmask_b32_e32 v84, v84, v82, vcc
; %bb.145:                              ;   in Loop: Header=BB141_6 Depth=1
	s_or_b64 exec, exec, s[62:63]
	v_and_b32_e32 v82, 0x7f800000, v83
	v_cmp_ne_u32_e32 vcc, s83, v82
                                        ; implicit-def: $vgpr82
	s_and_saveexec_b64 s[62:63], vcc
	s_xor_b64 s[62:63], exec, s[62:63]
; %bb.146:                              ;   in Loop: Header=BB141_6 Depth=1
	v_bfe_u32 v82, v83, 16, 1
	v_add3_u32 v82, v83, v82, s84
                                        ; implicit-def: $vgpr83
; %bb.147:                              ;   in Loop: Header=BB141_6 Depth=1
	s_andn2_saveexec_b64 s[62:63], s[62:63]
	s_cbranch_execz .LBB141_5
; %bb.148:                              ;   in Loop: Header=BB141_6 Depth=1
	v_or_b32_e32 v82, 0x10000, v83
	v_cmp_eq_u32_sdwa vcc, v83, v116 src0_sel:WORD_0 src1_sel:DWORD
	v_cndmask_b32_e32 v82, v82, v83, vcc
	s_branch .LBB141_5
.LBB141_149:
	s_or_b64 exec, exec, s[8:9]
	v_readlane_b32 s24, v119, 6
	v_readlane_b32 s28, v119, 9
	;; [unrolled: 1-line block ×5, first 2 shown]
.LBB141_150:
	v_readlane_b32 s0, v119, 4
	v_readlane_b32 s1, v119, 5
	s_or_b64 exec, exec, s[0:1]
	v_mul_u32_u24_e32 v16, 0x708, v111
	v_lshlrev_b32_e32 v17, 2, v110
	v_add3_u32 v16, 0, v16, v17
	v_and_b32_e32 v17, 0x3f0, v109
	v_add_u32_e32 v17, v16, v17
	s_lshl_b64 s[0:1], s[28:29], 2
	v_readlane_b32 s4, v119, 0
	s_barrier
	ds_write2_b32 v17, v8, v9 offset1:1
	ds_write_b32 v17, v10 offset:8
	v_or_b32_e32 v8, 12, v109
	v_readlane_b32 s5, v119, 1
	s_add_u32 s3, s4, s0
	v_and_b32_e32 v8, 0x3fc, v8
	s_addc_u32 s7, s5, s1
	v_add_u32_e32 v8, v16, v8
	ds_write_b32 v8, v11
	ds_write2_b32 v17, v4, v5 offset0:16 offset1:17
	ds_write_b32 v17, v6 offset:72
	ds_write_b32 v8, v7 offset:64
	ds_write2_b32 v17, v0, v1 offset0:32 offset1:33
	ds_write_b32 v17, v2 offset:136
	ds_write_b32 v8, v3 offset:128
	;; [unrolled: 3-line block ×3, first 2 shown]
	s_cmp_gt_i32 s14, 0
	v_add_u32_e32 v0, s6, v108
	s_cselect_b64 s[4:5], -1, 0
	v_cmp_gt_i32_e64 s[0:1], s33, v0
	v_cmp_gt_u32_e32 vcc, 13, v108
	s_and_b64 s[0:1], s[4:5], s[0:1]
	v_lshl_add_u32 v3, v109, 2, 0
	v_add_u32_e32 v2, s26, v109
	v_mul_u32_u24_e32 v4, 0x708, v108
	s_and_b64 s[8:9], vcc, s[0:1]
	s_waitcnt lgkmcnt(0)
	s_barrier
	s_and_saveexec_b64 s[0:1], s[8:9]
	s_cbranch_execz .LBB141_153
; %bb.151:
	v_ashrrev_i32_e32 v1, 31, v0
	v_lshlrev_b64 v[6:7], 2, v[0:1]
	v_mov_b32_e32 v1, s7
	v_add_co_u32_e32 v6, vcc, s3, v6
	v_addc_co_u32_e32 v7, vcc, v1, v7, vcc
	global_load_dword v1, v[6:7], off
	s_waitcnt vmcnt(0)
	v_mul_hi_u32 v5, v1, s19
	v_add_u32_e32 v5, v1, v5
	v_lshrrev_b32_e32 v5, s24, v5
	v_cmp_gt_i32_e32 vcc, s13, v5
	s_and_b64 exec, exec, vcc
	s_cbranch_execz .LBB141_153
; %bb.152:
	v_add_u32_e32 v12, v3, v4
	ds_read2st64_b32 v[6:7], v12 offset1:1
	ds_read2st64_b32 v[8:9], v12 offset0:2 offset1:3
	ds_read2st64_b32 v[10:11], v12 offset0:4 offset1:5
	ds_read_b32 v12, v12 offset:1536
	v_mul_lo_u32 v13, v5, s25
	v_sub_u32_e32 v1, v1, v13
	v_mul_lo_u32 v1, v1, s2
	s_waitcnt lgkmcnt(3)
	v_add_f32_e32 v6, 0, v6
	v_add_f32_e32 v6, v6, v7
	s_waitcnt lgkmcnt(2)
	v_add_f32_e32 v6, v6, v8
	v_add_f32_e32 v6, v6, v9
	;; [unrolled: 3-line block ×3, first 2 shown]
	v_mul_lo_u32 v5, v5, s21
	s_waitcnt lgkmcnt(0)
	v_add_f32_e32 v8, v6, v12
	v_add3_u32 v6, v2, v5, v1
	v_mov_b32_e32 v7, 0
	v_readlane_b32 s8, v119, 2
	v_lshlrev_b64 v[6:7], 2, v[6:7]
	v_readlane_b32 s9, v119, 3
	v_mov_b32_e32 v1, s9
	v_add_co_u32_e32 v6, vcc, s8, v6
	v_addc_co_u32_e32 v7, vcc, v1, v7, vcc
	global_store_dword v[6:7], v8, off
.LBB141_153:
	s_or_b64 exec, exec, s[0:1]
	v_cmp_gt_u32_e32 vcc, 6, v108
	s_and_saveexec_b64 s[0:1], vcc
	s_cbranch_execz .LBB141_157
; %bb.154:
	v_add_u32_e32 v0, 7, v0
	v_cmp_gt_i32_e32 vcc, s33, v0
	s_and_b64 s[0:1], s[4:5], vcc
	s_and_b64 exec, exec, s[0:1]
	s_cbranch_execz .LBB141_157
; %bb.155:
	s_ashr_i32 s0, s6, 31
	v_mov_b32_e32 v1, s0
	v_add_co_u32_e32 v0, vcc, s6, v108
	v_addc_co_u32_e32 v1, vcc, 0, v1, vcc
	v_lshlrev_b64 v[0:1], 2, v[0:1]
	v_mov_b32_e32 v5, s7
	v_add_co_u32_e32 v0, vcc, s3, v0
	v_addc_co_u32_e32 v1, vcc, v5, v1, vcc
	global_load_dword v0, v[0:1], off offset:28
	v_mov_b32_e32 v1, 0
	s_waitcnt vmcnt(0)
	v_mul_hi_u32 v5, v0, s19
	v_add_u32_e32 v5, v0, v5
	v_lshrrev_b32_e32 v5, s24, v5
	v_cmp_gt_i32_e32 vcc, s13, v5
	s_and_b64 exec, exec, vcc
	s_cbranch_execz .LBB141_157
; %bb.156:
	v_add_u32_e32 v3, v4, v3
	v_add_u32_e32 v4, 56, v3
	ds_read2st64_b32 v[6:7], v4 offset0:49 offset1:50
	ds_read2st64_b32 v[8:9], v4 offset0:51 offset1:52
	ds_read_b32 v3, v3 offset:14136
	ds_read2st64_b32 v[10:11], v4 offset0:53 offset1:54
	v_mul_lo_u32 v12, v5, s25
	v_sub_u32_e32 v0, v0, v12
	v_mul_lo_u32 v0, v0, s2
	s_waitcnt lgkmcnt(3)
	v_add_f32_e32 v4, 0, v6
	v_add_f32_e32 v4, v4, v7
	s_waitcnt lgkmcnt(2)
	v_add_f32_e32 v4, v4, v8
	v_add_f32_e32 v4, v4, v9
	;; [unrolled: 3-line block ×3, first 2 shown]
	v_add_f32_e32 v3, v4, v3
	v_mul_lo_u32 v4, v5, s21
	v_add3_u32 v0, v2, v4, v0
	v_readlane_b32 s0, v119, 2
	v_lshlrev_b64 v[0:1], 2, v[0:1]
	v_readlane_b32 s1, v119, 3
	v_mov_b32_e32 v2, s1
	v_add_co_u32_e32 v0, vcc, s0, v0
	v_addc_co_u32_e32 v1, vcc, v2, v1, vcc
	global_store_dword v[0:1], v3, off
.LBB141_157:
	s_endpgm
	.section	.rodata,"a",@progbits
	.p2align	6, 0x0
	.amdhsa_kernel _ZL13mul_mat_f_idsI15__hip_bfloat162Li64ELi13ELi7EEvPKT_PKfPKiS7_S7_Pfiiiiiiiiiiiiii15HIP_vector_typeIjLj3EESA_
		.amdhsa_group_segment_fixed_size 0
		.amdhsa_private_segment_fixed_size 0
		.amdhsa_kernarg_size 128
		.amdhsa_user_sgpr_count 6
		.amdhsa_user_sgpr_private_segment_buffer 1
		.amdhsa_user_sgpr_dispatch_ptr 0
		.amdhsa_user_sgpr_queue_ptr 0
		.amdhsa_user_sgpr_kernarg_segment_ptr 1
		.amdhsa_user_sgpr_dispatch_id 0
		.amdhsa_user_sgpr_flat_scratch_init 0
		.amdhsa_user_sgpr_kernarg_preload_length 0
		.amdhsa_user_sgpr_kernarg_preload_offset 0
		.amdhsa_user_sgpr_private_segment_size 0
		.amdhsa_uses_dynamic_stack 0
		.amdhsa_system_sgpr_private_segment_wavefront_offset 0
		.amdhsa_system_sgpr_workgroup_id_x 1
		.amdhsa_system_sgpr_workgroup_id_y 1
		.amdhsa_system_sgpr_workgroup_id_z 1
		.amdhsa_system_sgpr_workgroup_info 0
		.amdhsa_system_vgpr_workitem_id 1
		.amdhsa_next_free_vgpr 120
		.amdhsa_next_free_sgpr 96
		.amdhsa_accum_offset 120
		.amdhsa_reserve_vcc 1
		.amdhsa_reserve_flat_scratch 0
		.amdhsa_float_round_mode_32 0
		.amdhsa_float_round_mode_16_64 0
		.amdhsa_float_denorm_mode_32 3
		.amdhsa_float_denorm_mode_16_64 3
		.amdhsa_dx10_clamp 1
		.amdhsa_ieee_mode 1
		.amdhsa_fp16_overflow 0
		.amdhsa_tg_split 0
		.amdhsa_exception_fp_ieee_invalid_op 0
		.amdhsa_exception_fp_denorm_src 0
		.amdhsa_exception_fp_ieee_div_zero 0
		.amdhsa_exception_fp_ieee_overflow 0
		.amdhsa_exception_fp_ieee_underflow 0
		.amdhsa_exception_fp_ieee_inexact 0
		.amdhsa_exception_int_div_zero 0
	.end_amdhsa_kernel
	.section	.text._ZL13mul_mat_f_idsI15__hip_bfloat162Li64ELi13ELi7EEvPKT_PKfPKiS7_S7_Pfiiiiiiiiiiiiii15HIP_vector_typeIjLj3EESA_,"axG",@progbits,_ZL13mul_mat_f_idsI15__hip_bfloat162Li64ELi13ELi7EEvPKT_PKfPKiS7_S7_Pfiiiiiiiiiiiiii15HIP_vector_typeIjLj3EESA_,comdat
.Lfunc_end141:
	.size	_ZL13mul_mat_f_idsI15__hip_bfloat162Li64ELi13ELi7EEvPKT_PKfPKiS7_S7_Pfiiiiiiiiiiiiii15HIP_vector_typeIjLj3EESA_, .Lfunc_end141-_ZL13mul_mat_f_idsI15__hip_bfloat162Li64ELi13ELi7EEvPKT_PKfPKiS7_S7_Pfiiiiiiiiiiiiii15HIP_vector_typeIjLj3EESA_
                                        ; -- End function
	.section	.AMDGPU.csdata,"",@progbits
; Kernel info:
; codeLenInByte = 9000
; NumSgprs: 100
; NumVgprs: 120
; NumAgprs: 0
; TotalNumVgprs: 120
; ScratchSize: 0
; MemoryBound: 0
; FloatMode: 240
; IeeeMode: 1
; LDSByteSize: 0 bytes/workgroup (compile time only)
; SGPRBlocks: 12
; VGPRBlocks: 14
; NumSGPRsForWavesPerEU: 100
; NumVGPRsForWavesPerEU: 120
; AccumOffset: 120
; Occupancy: 4
; WaveLimiterHint : 1
; COMPUTE_PGM_RSRC2:SCRATCH_EN: 0
; COMPUTE_PGM_RSRC2:USER_SGPR: 6
; COMPUTE_PGM_RSRC2:TRAP_HANDLER: 0
; COMPUTE_PGM_RSRC2:TGID_X_EN: 1
; COMPUTE_PGM_RSRC2:TGID_Y_EN: 1
; COMPUTE_PGM_RSRC2:TGID_Z_EN: 1
; COMPUTE_PGM_RSRC2:TIDIG_COMP_CNT: 1
; COMPUTE_PGM_RSRC3_GFX90A:ACCUM_OFFSET: 29
; COMPUTE_PGM_RSRC3_GFX90A:TG_SPLIT: 0
	.section	.text._ZL9mul_mat_fI15__hip_bfloat162Li64ELi13ELi7ELb1EEvPKT_PKfPKiPfiiiiiiiiiiiiiiii,"axG",@progbits,_ZL9mul_mat_fI15__hip_bfloat162Li64ELi13ELi7ELb1EEvPKT_PKfPKiPfiiiiiiiiiiiiiiii,comdat
	.globl	_ZL9mul_mat_fI15__hip_bfloat162Li64ELi13ELi7ELb1EEvPKT_PKfPKiPfiiiiiiiiiiiiiiii ; -- Begin function _ZL9mul_mat_fI15__hip_bfloat162Li64ELi13ELi7ELb1EEvPKT_PKfPKiPfiiiiiiiiiiiiiiii
	.p2align	8
	.type	_ZL9mul_mat_fI15__hip_bfloat162Li64ELi13ELi7ELb1EEvPKT_PKfPKiPfiiiiiiiiiiiiiiii,@function
_ZL9mul_mat_fI15__hip_bfloat162Li64ELi13ELi7ELb1EEvPKT_PKfPKiPfiiiiiiiiiiiiiiii: ; @_ZL9mul_mat_fI15__hip_bfloat162Li64ELi13ELi7ELb1EEvPKT_PKfPKiPfiiiiiiiiiiiiiiii
; %bb.0:
	s_load_dwordx8 s[16:23], s[4:5], 0x20
	v_and_b32_e32 v16, 0x3ff, v0
	v_bfe_u32 v17, v0, 10, 10
	v_cmp_eq_u32_e32 vcc, 0, v16
	s_waitcnt lgkmcnt(0)
	s_add_i32 s0, s17, 12
	s_mul_hi_i32 s0, s0, 0x4ec4ec4f
	s_lshr_b32 s1, s0, 31
	s_ashr_i32 s0, s0, 2
	s_add_i32 s0, s0, s1
	v_cvt_f32_u32_e32 v1, s0
	s_load_dwordx4 s[24:27], s[4:5], 0x44
	s_load_dword s1, s[4:5], 0x64
	s_add_u32 s34, s4, 0x60
	s_addc_u32 s35, s5, 0
	v_rcp_iflag_f32_e32 v1, v1
	s_sub_i32 s2, 0, s0
	v_mul_f32_e32 v1, 0x4f7ffffe, v1
	v_cvt_u32_f32_e32 v1, v1
	v_readfirstlane_b32 s3, v1
	s_mul_i32 s2, s2, s3
	s_mul_hi_u32 s2, s3, s2
	s_add_i32 s3, s3, s2
	s_waitcnt lgkmcnt(0)
	s_mul_hi_u32 s2, s1, s3
	s_mul_i32 s3, s2, s0
	s_sub_i32 s1, s1, s3
	s_add_i32 s9, s2, 1
	s_sub_i32 s3, s1, s0
	s_cmp_ge_u32 s1, s0
	s_cselect_b32 s2, s9, s2
	s_cselect_b32 s1, s3, s1
	s_add_i32 s3, s2, 1
	s_cmp_ge_u32 s1, s0
	s_cselect_b32 s10, s3, s2
	v_cvt_f32_u32_e32 v1, s10
	s_abs_i32 s39, s27
	v_cvt_f32_u32_e32 v2, s39
	s_load_dwordx2 s[0:1], s[4:5], 0x10
	v_rcp_iflag_f32_e32 v1, v1
	s_sub_i32 s2, 0, s10
	v_rcp_iflag_f32_e32 v2, v2
	s_sub_i32 s38, 0, s39
	v_mul_f32_e32 v1, 0x4f7ffffe, v1
	v_cvt_u32_f32_e32 v1, v1
	v_mul_f32_e32 v2, 0x4f7ffffe, v2
	v_cvt_u32_f32_e32 v2, v2
	v_readfirstlane_b32 s3, v1
	s_mul_i32 s2, s2, s3
	s_mul_hi_u32 s2, s3, s2
	s_add_i32 s3, s3, s2
	v_readfirstlane_b32 s9, v2
	s_mul_hi_u32 s11, s7, s3
	s_and_saveexec_b64 s[2:3], vcc
	s_cbranch_execz .LBB142_2
; %bb.1:
	v_mov_b32_e32 v1, 0x100
	v_lshl_add_u32 v1, v17, 2, v1
	v_mov_b32_e32 v2, -1
	ds_write_b32 v1, v2
.LBB142_2:
	s_or_b64 exec, exec, s[2:3]
	s_mul_i32 s2, s11, s10
	s_sub_i32 s2, s7, s2
	s_add_i32 s3, s11, 1
	s_sub_i32 s12, s2, s10
	s_cmp_ge_u32 s2, s10
	s_cselect_b32 s3, s3, s11
	s_cselect_b32 s2, s12, s2
	s_add_i32 s11, s3, 1
	s_cmp_ge_u32 s2, s10
	s_cselect_b32 s2, s11, s3
	s_mul_i32 s3, s2, s10
	s_mul_i32 s50, s2, 13
	s_sub_i32 s7, s7, s3
	s_mul_hi_i32 s3, s50, s23
	s_mul_i32 s2, s50, s23
	s_lshl_b64 s[2:3], s[2:3], 2
	s_waitcnt lgkmcnt(0)
	s_add_u32 s33, s0, s2
	v_add_u32_e32 v1, s50, v17
	s_mul_i32 s38, s38, s9
	s_addc_u32 s1, s1, s3
	v_cmp_gt_i32_e64 s[10:11], s18, v16
	v_cmp_gt_i32_e64 s[40:41], s17, v1
	v_mov_b32_e32 v1, 0
	s_and_saveexec_b64 s[14:15], s[40:41]
	s_cbranch_execz .LBB142_10
; %bb.3:
	v_mov_b32_e32 v1, 0
	s_and_saveexec_b64 s[28:29], s[10:11]
	s_cbranch_execz .LBB142_9
; %bb.4:
	v_mul_lo_u32 v2, v17, s23
	v_ashrrev_i32_e32 v3, 31, v2
	v_lshlrev_b64 v[2:3], 2, v[2:3]
	v_mov_b32_e32 v1, s1
	v_add_co_u32_e64 v4, s[2:3], s33, v2
	v_addc_co_u32_e64 v5, s[2:3], v1, v3, s[2:3]
	v_mov_b32_e32 v1, 0x100
	v_lshl_add_u32 v6, v17, 2, v1
	v_mul_lo_u32 v2, v16, s22
	s_lshl_b32 s0, s22, 6
	s_mov_b64 s[30:31], 0
	v_mov_b32_e32 v1, 0
	v_mov_b32_e32 v7, v16
	s_branch .LBB142_6
.LBB142_5:                              ;   in Loop: Header=BB142_6 Depth=1
	s_or_b64 exec, exec, s[36:37]
	v_add_u32_e32 v7, 64, v7
	v_cmp_le_i32_e64 s[12:13], s18, v7
	s_xor_b64 s[2:3], s[2:3], -1
	s_or_b64 s[2:3], s[2:3], s[12:13]
	s_and_b64 s[2:3], exec, s[2:3]
	s_or_b64 s[30:31], s[2:3], s[30:31]
	v_add_u32_e32 v2, s0, v2
	s_andn2_b64 exec, exec, s[30:31]
	s_cbranch_execz .LBB142_8
.LBB142_6:                              ; =>This Inner Loop Header: Depth=1
	v_ashrrev_i32_e32 v3, 31, v2
	v_lshlrev_b64 v[8:9], 2, v[2:3]
	v_add_co_u32_e64 v8, s[2:3], v4, v8
	v_addc_co_u32_e64 v9, s[2:3], v5, v9, s[2:3]
	global_load_dword v3, v[8:9], off
	s_waitcnt vmcnt(0)
	v_cmp_ne_u32_e64 s[2:3], s7, v3
	v_cmp_eq_u32_e64 s[12:13], s7, v3
	s_and_saveexec_b64 s[36:37], s[12:13]
	s_cbranch_execz .LBB142_5
; %bb.7:                                ;   in Loop: Header=BB142_6 Depth=1
	v_mov_b32_e32 v1, 1
	ds_write_b32 v6, v7
	s_branch .LBB142_5
.LBB142_8:
	s_or_b64 exec, exec, s[30:31]
.LBB142_9:
	s_or_b64 exec, exec, s[28:29]
.LBB142_10:
	s_or_b64 exec, exec, s[14:15]
	s_mul_hi_u32 s12, s9, s38
	s_and_saveexec_b64 s[2:3], vcc
	s_cbranch_execz .LBB142_12
; %bb.11:
	v_mov_b32_e32 v2, 0x100
	v_lshl_add_u32 v2, v17, 2, v2
	v_mov_b32_e32 v3, -1
	ds_write_b32 v2, v3 offset:28
.LBB142_12:
	s_or_b64 exec, exec, s[2:3]
	s_load_dwordx4 s[44:47], s[4:5], 0x54
	v_add_u32_e32 v86, 7, v17
	s_abs_i32 s0, s8
	s_add_i32 s9, s9, s12
	v_add_u32_e32 v2, s50, v86
	v_cmp_gt_i32_e64 s[2:3], s17, v2
	s_mov_b64 s[28:29], exec
                                        ; implicit-def: $vgpr103 : SGPR spill to VGPR lane
	v_writelane_b32 v103, s2, 0
	v_writelane_b32 v103, s3, 1
	s_and_b64 s[2:3], s[28:29], s[2:3]
	s_mov_b64 exec, s[2:3]
	s_cbranch_execz .LBB142_20
; %bb.13:
	s_and_saveexec_b64 s[30:31], s[10:11]
	s_cbranch_execz .LBB142_19
; %bb.14:
	v_mul_lo_u32 v2, v86, s23
	v_ashrrev_i32_e32 v3, 31, v2
	v_lshlrev_b64 v[2:3], 2, v[2:3]
	v_mov_b32_e32 v5, s1
	v_add_co_u32_e32 v4, vcc, s33, v2
	v_mov_b32_e32 v2, 0x100
	v_addc_co_u32_e32 v5, vcc, v5, v3, vcc
	v_lshl_add_u32 v6, v17, 2, v2
	v_mul_lo_u32 v2, v16, s22
	s_lshl_b32 s1, s22, 6
	s_mov_b64 s[22:23], 0
	v_mov_b32_e32 v7, v16
	s_branch .LBB142_16
.LBB142_15:                             ;   in Loop: Header=BB142_16 Depth=1
	s_or_b64 exec, exec, s[36:37]
	v_add_u32_e32 v7, 64, v7
	v_cmp_le_i32_e64 s[10:11], s18, v7
	s_xor_b64 s[2:3], vcc, -1
	s_or_b64 s[2:3], s[2:3], s[10:11]
	s_and_b64 s[2:3], exec, s[2:3]
	s_or_b64 s[22:23], s[2:3], s[22:23]
	v_add_u32_e32 v2, s1, v2
	s_andn2_b64 exec, exec, s[22:23]
	s_cbranch_execz .LBB142_18
.LBB142_16:                             ; =>This Inner Loop Header: Depth=1
	v_ashrrev_i32_e32 v3, 31, v2
	v_lshlrev_b64 v[8:9], 2, v[2:3]
	v_add_co_u32_e32 v8, vcc, v4, v8
	v_addc_co_u32_e32 v9, vcc, v5, v9, vcc
	global_load_dword v3, v[8:9], off
	s_waitcnt vmcnt(0)
	v_cmp_ne_u32_e32 vcc, s7, v3
	v_cmp_eq_u32_e64 s[10:11], s7, v3
	s_and_saveexec_b64 s[36:37], s[10:11]
	s_cbranch_execz .LBB142_15
; %bb.17:                               ;   in Loop: Header=BB142_16 Depth=1
	v_mov_b32_e32 v1, 1
	ds_write_b32 v6, v7 offset:28
	s_branch .LBB142_15
.LBB142_18:
	s_or_b64 exec, exec, s[22:23]
.LBB142_19:
	s_or_b64 exec, exec, s[30:31]
.LBB142_20:
	s_or_b64 exec, exec, s[28:29]
	s_load_dwordx2 s[2:3], s[34:35], 0xc
	s_load_dwordx4 s[28:31], s[4:5], 0x0
	s_load_dwordx2 s[10:11], s[4:5], 0x18
	v_cmp_ne_u32_e32 vcc, 0, v1
	v_cndmask_b32_e64 v1, 0, 1, vcc
                                        ; kill: killed $sgpr4 killed $sgpr5
	s_waitcnt lgkmcnt(0)
	s_and_b32 s5, s3, 0xffff
	s_lshr_b32 s4, s2, 16
	v_or_b32_dpp v1, v1, v1 row_shl:1 row_mask:0xf bank_mask:0xf bound_ctrl:1
	s_and_b32 s3, s2, 0xffff
	s_mul_i32 s2, s4, s3
	v_or_b32_dpp v1, v1, v1 row_shl:2 row_mask:0xf bank_mask:0xf bound_ctrl:1
	s_bfe_i32 s2, s2, 0x180000
	s_mul_i32 s2, s2, s5
	v_or_b32_dpp v1, v1, v1 row_shl:4 row_mask:0xf bank_mask:0xf bound_ctrl:1
	s_add_i32 s5, s2, 63
	s_bitcmp1_b32 exec_hi, 0
	v_or_b32_dpp v1, v1, v1 row_shl:8 row_mask:0xf bank_mask:0xf bound_ctrl:1
	s_mul_hi_u32 s1, s0, s9
	v_writelane_b32 v103, s10, 2
	v_mov_b32_dpp v2, v1 wave_shl:1 row_mask:0xf bank_mask:0xf bound_ctrl:1
	v_writelane_b32 v103, s11, 3
                                        ; kill: killed $sgpr34 killed $sgpr35
	s_nop 0
	v_or_b32_dpp v1, v2, v1 row_mirror row_mask:0xf bank_mask:0xf bound_ctrl:1
	v_readlane_b32 s2, v1, 32
	s_cselect_b32 s2, s2, 0
	v_readlane_b32 s9, v1, 0
	s_or_b32 s2, s2, s9
	s_andn2_b32 s5, s5, 63
	s_cmp_lg_u32 s5, 64
	v_mov_b32_e32 v1, s2
	s_cbranch_scc0 .LBB142_27
; %bb.21:
	v_bfe_u32 v0, v0, 20, 10
	v_mbcnt_lo_u32_b32 v1, -1, 0
	v_mad_u32_u24 v0, v0, s4, v17
	v_mbcnt_hi_u32_b32 v2, -1, v1
	v_mad_u64_u32 v[0:1], s[4:5], v0, s3, v[16:17]
	v_lshrrev_b32_e32 v1, 6, v0
	v_or_b32_e32 v1, v2, v1
	v_cmp_eq_u32_e32 vcc, 0, v1
	s_and_saveexec_b64 s[4:5], vcc
	s_cbranch_execz .LBB142_23
; %bb.22:
	v_mov_b32_e32 v1, 0
	v_mov_b32_e32 v3, s2
	ds_write_b32 v1, v3
.LBB142_23:
	s_or_b64 exec, exec, s[4:5]
	v_cmp_eq_u32_e32 vcc, 0, v2
	v_cmp_lt_u32_e64 s[4:5], 63, v0
	s_and_b64 s[10:11], s[4:5], vcc
	s_waitcnt lgkmcnt(0)
	s_barrier
	s_and_saveexec_b64 s[4:5], s[10:11]
	s_cbranch_execz .LBB142_26
; %bb.24:
	v_mbcnt_lo_u32_b32 v0, exec_lo, 0
	v_mbcnt_hi_u32_b32 v0, exec_hi, v0
	v_cmp_eq_u32_e32 vcc, 0, v0
	s_and_b64 exec, exec, vcc
	s_cbranch_execz .LBB142_26
; %bb.25:
	v_mov_b32_e32 v0, 0
	v_mov_b32_e32 v1, s2
	ds_or_b32 v0, v1
.LBB142_26:
	s_or_b64 exec, exec, s[4:5]
	v_mov_b32_e32 v0, 0
	s_waitcnt lgkmcnt(0)
	s_barrier
	ds_read_b32 v1, v0
	s_waitcnt lgkmcnt(0)
	s_barrier
.LBB142_27:
	v_cmp_ne_u32_e32 vcc, 0, v1
	s_ashr_i32 s2, s8, 31
	s_ashr_i32 s3, s27, 31
	s_cbranch_vccz .LBB142_184
; %bb.28:
	v_lshlrev_b32_e32 v87, 6, v17
	v_add_u32_e32 v89, v87, v16
	v_cmp_le_i32_e32 vcc, s16, v89
	v_and_b32_e32 v88, 15, v16
                                        ; implicit-def: $sgpr9
	s_and_saveexec_b64 s[4:5], vcc
	s_xor_b64 s[4:5], exec, s[4:5]
; %bb.29:
	v_and_b32_e32 v88, 15, v16
	s_mov_b32 s9, 0
                                        ; implicit-def: $vgpr89
; %bb.30:
	s_or_saveexec_b64 s[4:5], s[4:5]
	s_lshl_b32 s6, s6, 6
	v_mov_b32_e32 v11, s9
	v_mov_b32_e32 v10, s9
	;; [unrolled: 1-line block ×16, first 2 shown]
	v_writelane_b32 v103, s4, 4
	v_writelane_b32 v103, s5, 5
	s_xor_b64 exec, exec, s[4:5]
	s_cbranch_execz .LBB142_177
; %bb.31:
	s_xor_b32 s2, s2, s3
	s_mul_i32 s3, s1, s39
	s_sub_i32 s0, s0, s3
	s_add_i32 s3, s1, 1
	s_sub_i32 s4, s0, s39
	s_cmp_ge_u32 s0, s39
	s_cselect_b32 s1, s3, s1
	s_cselect_b32 s0, s4, s0
	s_add_i32 s3, s1, 1
	s_cmp_ge_u32 s0, s39
	s_cselect_b32 s0, s3, s1
	s_xor_b32 s0, s0, s2
	s_sub_i32 s0, s0, s2
	s_mul_hi_i32 s1, s0, s44
	s_mul_i32 s0, s0, s44
	s_mul_i32 s2, s7, s24
	v_writelane_b32 v103, s40, 6
	s_ashr_i32 s3, s2, 31
	s_lshl_b64 s[0:1], s[0:1], 2
	v_writelane_b32 v103, s41, 7
	s_add_u32 s5, s28, s0
	v_writelane_b32 v103, s6, 8
	s_mul_i32 s4, s6, s19
	s_addc_u32 s6, s29, s1
	s_lshl_b64 s[2:3], s[2:3], 2
	s_add_u32 s7, s5, s2
	s_addc_u32 s6, s6, s3
	s_ashr_i32 s5, s4, 31
	s_lshl_b64 s[4:5], s[4:5], 2
	s_add_u32 s24, s7, s4
	s_addc_u32 s10, s6, s5
	s_movk_i32 s6, 0x1080
	v_mov_b32_e32 v90, 0x100
	v_writelane_b32 v103, s8, 9
	v_mad_u32_u24 v0, v17, s6, v90
	s_mul_hi_i32 s7, s45, s8
	v_writelane_b32 v103, s44, 10
	s_mul_i32 s6, s45, s8
	s_mul_hi_i32 s9, s20, s50
	s_mul_i32 s8, s20, s50
	s_lshl_b64 s[8:9], s[8:9], 3
	s_lshl_b64 s[6:7], s[6:7], 2
	s_add_u32 s6, s30, s6
	s_addc_u32 s7, s31, s7
	s_add_u32 s27, s6, s8
	s_addc_u32 s33, s7, s9
	s_cmp_lt_i32 s50, s17
	s_cselect_b64 s[6:7], -1, 0
	s_add_i32 s8, s50, 1
	s_cmp_lt_i32 s8, s17
	v_writelane_b32 v103, s45, 11
	s_cselect_b64 s[12:13], -1, 0
	s_add_i32 s8, s50, 2
	v_writelane_b32 v103, s46, 12
	s_cmp_lt_i32 s8, s17
	v_writelane_b32 v103, s47, 13
	s_cselect_b64 s[22:23], -1, 0
	s_lshl_b32 s8, s20, 2
	v_writelane_b32 v103, s8, 14
	s_add_i32 s8, s50, 3
	s_cmp_lt_i32 s8, s17
	s_cselect_b64 s[30:31], -1, 0
	s_add_i32 s8, s50, 4
	s_cmp_lt_i32 s8, s17
	s_cselect_b64 s[34:35], -1, 0
	s_lshl_b32 s8, s20, 3
	v_writelane_b32 v103, s8, 15
	s_add_i32 s8, s50, 5
	s_cmp_lt_i32 s8, s17
	s_cselect_b64 s[36:37], -1, 0
	s_add_i32 s8, s50, 6
	s_cmp_lt_i32 s8, s17
	s_mul_i32 s8, s20, 6
	s_cselect_b64 s[38:39], -1, 0
	v_writelane_b32 v103, s8, 16
	s_add_i32 s8, s50, 7
	s_cmp_lt_i32 s8, s17
	s_cselect_b64 s[40:41], -1, 0
	s_add_i32 s8, s50, 8
	s_cmp_lt_i32 s8, s17
	s_cselect_b64 s[42:43], -1, 0
	s_lshl_b32 s8, s20, 4
	v_writelane_b32 v103, s8, 17
	s_add_i32 s8, s50, 9
	s_cmp_lt_i32 s8, s17
	s_cselect_b64 s[44:45], -1, 0
	s_add_i32 s8, s50, 10
	s_cmp_lt_i32 s8, s17
	s_mul_i32 s8, s20, 10
	s_cselect_b64 s[46:47], -1, 0
	v_writelane_b32 v103, s8, 18
	s_add_i32 s8, s50, 11
	s_cmp_lt_i32 s8, s17
	s_cselect_b64 s[48:49], -1, 0
	s_add_i32 s8, s50, 12
	v_writelane_b32 v103, s50, 19
	s_cmp_lt_i32 s8, s17
	s_mul_i32 s8, s20, 12
	s_cselect_b64 s[50:51], -1, 0
	v_writelane_b32 v103, s8, 20
	s_ashr_i32 s9, s19, 31
	s_mov_b32 s8, s19
	s_lshl_b64 s[52:53], s[8:9], 2
	s_add_u32 s0, s0, s4
	v_lshrrev_b32_e32 v2, 1, v16
	s_addc_u32 s1, s1, s5
	v_mul_u32_u24_e32 v1, 0x108, v88
	v_and_b32_e32 v2, 0x1f8, v2
	s_add_u32 s0, s0, s2
	v_lshl_add_u32 v91, v16, 2, v0
	v_add3_u32 v92, v0, v1, v2
	v_lshlrev_b32_e32 v0, 1, v16
	s_addc_u32 s1, s1, s3
	v_lshl_add_u32 v93, v17, 7, v0
	v_lshlrev_b32_e32 v0, 2, v89
	s_add_u32 s0, s28, s0
	v_add_co_u32_e32 v18, vcc, s0, v0
	s_mul_i32 s0, s20, 24
	v_writelane_b32 v103, s0, 21
	s_mul_i32 s0, s20, 22
	v_writelane_b32 v103, s0, 22
	;; [unrolled: 2-line block ×4, first 2 shown]
	s_mul_i32 s0, s20, 14
	s_addc_u32 s1, s29, s1
	v_writelane_b32 v103, s0, 25
	s_lshl_b32 s0, s20, 1
	v_writelane_b32 v103, s0, 26
	s_mul_i32 s0, s19, 3
	v_writelane_b32 v103, s0, 27
	s_mul_i32 s0, s19, 5
	;; [unrolled: 2-line block ×7, first 2 shown]
	v_mov_b32_e32 v1, s1
	v_writelane_b32 v103, s0, 33
	s_mul_i32 s0, s19, 12
	v_mov_b32_e32 v95, 0
	v_addc_co_u32_e32 v19, vcc, 0, v1, vcc
	s_lshl_b32 s64, s19, 1
	s_lshl_b32 s66, s19, 2
	;; [unrolled: 1-line block ×3, first 2 shown]
	v_writelane_b32 v103, s0, 34
	s_mul_i32 s75, s19, 13
	s_mul_i32 s76, s19, 14
	;; [unrolled: 1-line block ×3, first 2 shown]
	s_lshl_b32 s78, s19, 4
	s_mul_i32 s79, s19, 17
	s_mul_i32 s80, s19, 18
	;; [unrolled: 1-line block ×8, first 2 shown]
	v_mov_b32_e32 v94, s10
	s_mul_i32 s87, s19, 25
	v_mov_b32_e32 v96, s53
	v_mov_b32_e32 v12, 0
	;; [unrolled: 1-line block ×17, first 2 shown]
	s_mul_i32 s53, s19, 26
	s_mul_i32 s88, s19, 27
	;; [unrolled: 1-line block ×6, first 2 shown]
	s_lshl_b32 s93, s19, 5
	s_mul_i32 s94, s19, 33
	s_mul_i32 s95, s19, 34
	;; [unrolled: 1-line block ×31, first 2 shown]
	s_mov_b32 s72, 0x7f800000
	s_movk_i32 s73, 0x7fff
	s_mov_b32 s74, 0x7060302
	s_mov_b64 s[18:19], 0
	s_branch .LBB142_33
.LBB142_32:                             ;   in Loop: Header=BB142_33 Depth=1
	s_or_b64 exec, exec, s[28:29]
	v_perm_b32 v84, v84, v97, s74
	v_add_u32_e32 v85, 0xc00, v91
	ds_write2_b32 v85, v84, v95 offset0:40 offset1:106
	ds_write2_b32 v85, v95, v95 offset0:172 offset1:238
	ds_read2_b64 v[98:101], v92 offset0:8 offset1:12
	v_add_co_u32_e32 v18, vcc, 0x700, v18
	v_add_u32_e32 v89, 0x1c0, v89
	s_waitcnt lgkmcnt(0)
	v_mfma_f32_16x16x16bf16_1k v[8:11], v[36:37], v[98:99], v[8:11]
	v_addc_co_u32_e32 v19, vcc, 0, v19, vcc
	v_cmp_le_i32_e32 vcc, s16, v89
	v_add_u32_e32 v93, 0x380, v93
	s_or_b64 s[18:19], vcc, s[18:19]
	v_mfma_f32_16x16x16bf16_1k v[4:7], v[52:53], v[98:99], v[4:7]
	v_mfma_f32_16x16x16bf16_1k v[0:3], v[66:67], v[98:99], v[0:3]
	;; [unrolled: 1-line block ×5, first 2 shown]
	ds_read2_b64 v[50:53], v92 offset0:16 offset1:20
	v_mfma_f32_16x16x16bf16_1k v[0:3], v[64:65], v[100:101], v[0:3]
	v_mfma_f32_16x16x16bf16_1k v[12:15], v[80:81], v[100:101], v[12:15]
	s_waitcnt lgkmcnt(0)
	v_mfma_f32_16x16x16bf16_1k v[8:11], v[30:31], v[50:51], v[8:11]
	v_mfma_f32_16x16x16bf16_1k v[4:7], v[46:47], v[50:51], v[4:7]
	;; [unrolled: 1-line block ×5, first 2 shown]
	ds_read2_b64 v[28:31], v92 offset0:24 offset1:28
	v_mfma_f32_16x16x16bf16_1k v[4:7], v[44:45], v[52:53], v[4:7]
	v_mfma_f32_16x16x16bf16_1k v[0:3], v[60:61], v[52:53], v[0:3]
	v_mfma_f32_16x16x16bf16_1k v[12:15], v[76:77], v[52:53], v[12:15]
	s_waitcnt lgkmcnt(0)
	v_mfma_f32_16x16x16bf16_1k v[8:11], v[26:27], v[28:29], v[8:11]
	v_mfma_f32_16x16x16bf16_1k v[4:7], v[42:43], v[28:29], v[4:7]
	;; [unrolled: 1-line block ×5, first 2 shown]
	ds_read2_b64 v[24:27], v92 offset0:32 offset1:36
	v_mfma_f32_16x16x16bf16_1k v[4:7], v[40:41], v[30:31], v[4:7]
	v_mfma_f32_16x16x16bf16_1k v[0:3], v[56:57], v[30:31], v[0:3]
	;; [unrolled: 1-line block ×3, first 2 shown]
	s_waitcnt lgkmcnt(0)
	v_mfma_f32_16x16x16bf16_1k v[8:11], v[22:23], v[24:25], v[8:11]
	v_mfma_f32_16x16x16bf16_1k v[4:7], v[38:39], v[24:25], v[4:7]
	;; [unrolled: 1-line block ×8, first 2 shown]
	s_andn2_b64 exec, exec, s[18:19]
	s_cbranch_execz .LBB142_176
.LBB142_33:                             ; =>This Inner Loop Header: Depth=1
	v_add_co_u32_e32 v20, vcc, s52, v18
	v_addc_co_u32_e32 v21, vcc, v19, v96, vcc
	global_load_dword v32, v[18:19], off
	global_load_dword v33, v[20:21], off
	v_add_u32_e32 v20, s64, v89
	v_ashrrev_i32_e32 v21, 31, v20
	v_readlane_b32 s28, v103, 27
	v_lshlrev_b64 v[20:21], 2, v[20:21]
	v_add_u32_e32 v22, s28, v89
	v_add_co_u32_e32 v20, vcc, s24, v20
	v_ashrrev_i32_e32 v23, 31, v22
	v_addc_co_u32_e32 v21, vcc, v94, v21, vcc
	v_lshlrev_b64 v[22:23], 2, v[22:23]
	v_add_u32_e32 v24, s66, v89
	v_add_co_u32_e32 v22, vcc, s24, v22
	v_ashrrev_i32_e32 v25, 31, v24
	v_readlane_b32 s28, v103, 28
	v_addc_co_u32_e32 v23, vcc, v94, v23, vcc
	v_lshlrev_b64 v[24:25], 2, v[24:25]
	v_add_u32_e32 v26, s28, v89
	v_add_co_u32_e32 v24, vcc, s24, v24
	v_ashrrev_i32_e32 v27, 31, v26
	v_readlane_b32 s28, v103, 29
	;; [unrolled: 6-line block ×3, first 2 shown]
	v_addc_co_u32_e32 v27, vcc, v94, v27, vcc
	v_lshlrev_b64 v[28:29], 2, v[28:29]
	v_add_u32_e32 v30, s28, v89
	v_add_co_u32_e32 v28, vcc, s24, v28
	v_ashrrev_i32_e32 v31, 31, v30
	v_addc_co_u32_e32 v29, vcc, v94, v29, vcc
	v_lshlrev_b64 v[30:31], 2, v[30:31]
	v_add_co_u32_e32 v30, vcc, s24, v30
	v_addc_co_u32_e32 v31, vcc, v94, v31, vcc
	global_load_dword v34, v[20:21], off
	global_load_dword v35, v[22:23], off
	;; [unrolled: 1-line block ×3, first 2 shown]
	s_nop 0
	global_load_dword v26, v[26:27], off
	s_nop 0
	global_load_dword v27, v[28:29], off
	;; [unrolled: 2-line block ×3, first 2 shown]
	v_add_u32_e32 v20, s70, v89
	v_readlane_b32 s28, v103, 31
	v_ashrrev_i32_e32 v21, 31, v20
	v_add_u32_e32 v22, s28, v89
	v_lshlrev_b64 v[20:21], 2, v[20:21]
	v_readlane_b32 s28, v103, 32
	v_ashrrev_i32_e32 v23, 31, v22
	v_add_co_u32_e32 v20, vcc, s24, v20
	v_add_u32_e32 v24, s28, v89
	v_lshlrev_b64 v[22:23], 2, v[22:23]
	v_addc_co_u32_e32 v21, vcc, v94, v21, vcc
	v_ashrrev_i32_e32 v25, 31, v24
	v_add_co_u32_e32 v22, vcc, s24, v22
	v_readlane_b32 s28, v103, 33
	v_lshlrev_b64 v[24:25], 2, v[24:25]
	v_addc_co_u32_e32 v23, vcc, v94, v23, vcc
	global_load_dword v20, v[20:21], off
	s_nop 0
	global_load_dword v21, v[22:23], off
	v_add_u32_e32 v22, s28, v89
	v_add_co_u32_e32 v24, vcc, s24, v24
	v_ashrrev_i32_e32 v23, 31, v22
	v_addc_co_u32_e32 v25, vcc, v94, v25, vcc
	v_lshlrev_b64 v[22:23], 2, v[22:23]
	v_readlane_b32 s28, v103, 34
	v_add_u32_e32 v60, s17, v89
	v_ashrrev_i32_e32 v61, 31, v60
	v_lshlrev_b64 v[60:61], 2, v[60:61]
	s_waitcnt vmcnt(9)
	ds_write_b32 v91, v32 offset:64
	s_waitcnt vmcnt(8)
	ds_write_b32 v91, v33 offset:328
	;; [unrolled: 2-line block ×8, first 2 shown]
	v_add_co_u32_e32 v26, vcc, s24, v22
	v_add_u32_e32 v22, s28, v89
	v_addc_co_u32_e32 v27, vcc, v94, v23, vcc
	v_ashrrev_i32_e32 v23, 31, v22
	v_lshlrev_b64 v[22:23], 2, v[22:23]
	v_add_co_u32_e32 v28, vcc, s24, v22
	v_add_u32_e32 v22, s75, v89
	v_addc_co_u32_e32 v29, vcc, v94, v23, vcc
	v_ashrrev_i32_e32 v23, 31, v22
	v_lshlrev_b64 v[22:23], 2, v[22:23]
	;; [unrolled: 5-line block ×6, first 2 shown]
	v_add_co_u32_e32 v38, vcc, s24, v22
	v_addc_co_u32_e32 v39, vcc, v94, v23, vcc
	global_load_dword v22, v[24:25], off
	global_load_dword v23, v[26:27], off
	s_nop 0
	global_load_dword v24, v[28:29], off
	global_load_dword v25, v[30:31], off
	;; [unrolled: 1-line block ×4, first 2 shown]
	s_nop 0
	global_load_dword v34, v[36:37], off
	global_load_dword v35, v[38:39], off
	v_add_u32_e32 v28, s80, v89
	v_ashrrev_i32_e32 v29, 31, v28
	v_lshlrev_b64 v[28:29], 2, v[28:29]
	v_add_u32_e32 v30, s81, v89
	v_add_co_u32_e32 v28, vcc, s24, v28
	v_ashrrev_i32_e32 v31, 31, v30
	v_addc_co_u32_e32 v29, vcc, v94, v29, vcc
	v_lshlrev_b64 v[30:31], 2, v[30:31]
	v_add_u32_e32 v32, s82, v89
	v_add_co_u32_e32 v30, vcc, s24, v30
	v_ashrrev_i32_e32 v33, 31, v32
	v_addc_co_u32_e32 v31, vcc, v94, v31, vcc
	;; [unrolled: 5-line block ×4, first 2 shown]
	v_lshlrev_b64 v[38:39], 2, v[38:39]
	v_add_co_u32_e32 v42, vcc, s24, v38
	v_add_u32_e32 v38, s85, v89
	v_addc_co_u32_e32 v43, vcc, v94, v39, vcc
	v_ashrrev_i32_e32 v39, 31, v38
	v_lshlrev_b64 v[38:39], 2, v[38:39]
	v_add_co_u32_e32 v44, vcc, s24, v38
	v_add_u32_e32 v38, s86, v89
	v_addc_co_u32_e32 v45, vcc, v94, v39, vcc
	v_ashrrev_i32_e32 v39, 31, v38
	;; [unrolled: 5-line block ×3, first 2 shown]
	v_lshlrev_b64 v[38:39], 2, v[38:39]
	v_add_co_u32_e32 v48, vcc, s24, v38
	v_addc_co_u32_e32 v49, vcc, v94, v39, vcc
	global_load_dword v38, v[28:29], off
	global_load_dword v39, v[30:31], off
	;; [unrolled: 1-line block ×4, first 2 shown]
	s_nop 0
	global_load_dword v42, v[42:43], off
	s_nop 0
	global_load_dword v43, v[44:45], off
	;; [unrolled: 2-line block ×3, first 2 shown]
	global_load_dword v45, v[48:49], off
	v_add_u32_e32 v28, s53, v89
	v_ashrrev_i32_e32 v29, 31, v28
	v_lshlrev_b64 v[28:29], 2, v[28:29]
	v_add_u32_e32 v30, s88, v89
	v_add_co_u32_e32 v28, vcc, s24, v28
	v_ashrrev_i32_e32 v31, 31, v30
	v_addc_co_u32_e32 v29, vcc, v94, v29, vcc
	v_lshlrev_b64 v[30:31], 2, v[30:31]
	v_add_u32_e32 v32, s89, v89
	v_add_co_u32_e32 v30, vcc, s24, v30
	v_ashrrev_i32_e32 v33, 31, v32
	v_addc_co_u32_e32 v31, vcc, v94, v31, vcc
	;; [unrolled: 5-line block ×4, first 2 shown]
	v_lshlrev_b64 v[46:47], 2, v[46:47]
	v_add_co_u32_e32 v48, vcc, s24, v46
	v_add_u32_e32 v46, s92, v89
	v_addc_co_u32_e32 v49, vcc, v94, v47, vcc
	v_ashrrev_i32_e32 v47, 31, v46
	v_lshlrev_b64 v[46:47], 2, v[46:47]
	v_add_co_u32_e32 v54, vcc, s24, v46
	v_add_u32_e32 v46, s93, v89
	v_addc_co_u32_e32 v55, vcc, v94, v47, vcc
	v_ashrrev_i32_e32 v47, 31, v46
	;; [unrolled: 5-line block ×3, first 2 shown]
	v_lshlrev_b64 v[46:47], 2, v[46:47]
	v_add_co_u32_e32 v58, vcc, s24, v46
	v_addc_co_u32_e32 v59, vcc, v94, v47, vcc
	global_load_dword v46, v[28:29], off
	global_load_dword v47, v[30:31], off
	;; [unrolled: 1-line block ×6, first 2 shown]
	s_nop 0
	global_load_dword v48, v[56:57], off
	global_load_dword v49, v[58:59], off
	v_add_u32_e32 v28, s95, v89
	v_ashrrev_i32_e32 v29, 31, v28
	v_lshlrev_b64 v[28:29], 2, v[28:29]
	v_add_u32_e32 v30, s10, v89
	v_add_co_u32_e32 v28, vcc, s24, v28
	v_ashrrev_i32_e32 v31, 31, v30
	v_addc_co_u32_e32 v29, vcc, v94, v29, vcc
	v_lshlrev_b64 v[30:31], 2, v[30:31]
	v_add_u32_e32 v32, s11, v89
	v_add_co_u32_e32 v30, vcc, s24, v30
	v_ashrrev_i32_e32 v33, 31, v32
	v_addc_co_u32_e32 v31, vcc, v94, v31, vcc
	;; [unrolled: 5-line block ×6, first 2 shown]
	v_lshlrev_b64 v[58:59], 2, v[58:59]
	v_add_co_u32_e32 v58, vcc, s24, v58
	v_addc_co_u32_e32 v59, vcc, v94, v59, vcc
	v_add_co_u32_e32 v60, vcc, s24, v60
	v_addc_co_u32_e32 v61, vcc, v94, v61, vcc
	global_load_dword v62, v[28:29], off
	global_load_dword v63, v[30:31], off
	;; [unrolled: 1-line block ×8, first 2 shown]
	v_add_u32_e32 v28, s59, v89
	v_ashrrev_i32_e32 v29, 31, v28
	v_lshlrev_b64 v[28:29], 2, v[28:29]
	v_add_u32_e32 v30, s60, v89
	v_add_co_u32_e32 v28, vcc, s24, v28
	v_ashrrev_i32_e32 v31, 31, v30
	v_addc_co_u32_e32 v29, vcc, v94, v29, vcc
	v_lshlrev_b64 v[30:31], 2, v[30:31]
	v_add_u32_e32 v32, s61, v89
	v_add_co_u32_e32 v30, vcc, s24, v30
	v_ashrrev_i32_e32 v33, 31, v32
	v_addc_co_u32_e32 v31, vcc, v94, v31, vcc
	v_lshlrev_b64 v[32:33], 2, v[32:33]
	v_add_u32_e32 v36, s62, v89
	v_add_co_u32_e32 v32, vcc, s24, v32
	v_ashrrev_i32_e32 v37, 31, v36
	v_addc_co_u32_e32 v33, vcc, v94, v33, vcc
	v_lshlrev_b64 v[36:37], 2, v[36:37]
	v_add_u32_e32 v54, s63, v89
	v_add_co_u32_e32 v36, vcc, s24, v36
	v_ashrrev_i32_e32 v55, 31, v54
	v_addc_co_u32_e32 v37, vcc, v94, v37, vcc
	v_lshlrev_b64 v[54:55], 2, v[54:55]
	v_add_u32_e32 v56, s4, v89
	v_add_co_u32_e32 v54, vcc, s24, v54
	v_ashrrev_i32_e32 v57, 31, v56
	v_addc_co_u32_e32 v55, vcc, v94, v55, vcc
	v_lshlrev_b64 v[56:57], 2, v[56:57]
	v_add_u32_e32 v58, s5, v89
	v_add_co_u32_e32 v56, vcc, s24, v56
	v_ashrrev_i32_e32 v59, 31, v58
	v_addc_co_u32_e32 v57, vcc, v94, v57, vcc
	v_lshlrev_b64 v[58:59], 2, v[58:59]
	v_add_u32_e32 v60, s2, v89
	v_add_co_u32_e32 v58, vcc, s24, v58
	v_ashrrev_i32_e32 v61, 31, v60
	v_addc_co_u32_e32 v59, vcc, v94, v59, vcc
	v_lshlrev_b64 v[60:61], 2, v[60:61]
	v_add_co_u32_e32 v60, vcc, s24, v60
	v_addc_co_u32_e32 v61, vcc, v94, v61, vcc
	global_load_dword v70, v[28:29], off
	global_load_dword v71, v[30:31], off
	;; [unrolled: 1-line block ×8, first 2 shown]
	v_add_u32_e32 v28, s3, v89
	v_ashrrev_i32_e32 v29, 31, v28
	v_lshlrev_b64 v[28:29], 2, v[28:29]
	v_add_u32_e32 v30, s0, v89
	v_add_co_u32_e32 v28, vcc, s24, v28
	v_ashrrev_i32_e32 v31, 31, v30
	v_addc_co_u32_e32 v29, vcc, v94, v29, vcc
	v_lshlrev_b64 v[30:31], 2, v[30:31]
	v_add_u32_e32 v32, s1, v89
	v_add_co_u32_e32 v30, vcc, s24, v30
	v_ashrrev_i32_e32 v33, 31, v32
	v_addc_co_u32_e32 v31, vcc, v94, v31, vcc
	;; [unrolled: 5-line block ×7, first 2 shown]
	v_lshlrev_b64 v[60:61], 2, v[60:61]
	v_add_co_u32_e32 v60, vcc, s24, v60
	v_addc_co_u32_e32 v61, vcc, v94, v61, vcc
	global_load_dword v78, v[28:29], off
	global_load_dword v79, v[30:31], off
	;; [unrolled: 1-line block ×8, first 2 shown]
	v_add_u32_e32 v28, s8, v89
	v_ashrrev_i32_e32 v29, 31, v28
	v_lshlrev_b64 v[28:29], 2, v[28:29]
	v_add_u32_e32 v30, s65, v89
	v_add_co_u32_e32 v28, vcc, s24, v28
	v_ashrrev_i32_e32 v31, 31, v30
	v_addc_co_u32_e32 v29, vcc, v94, v29, vcc
	v_lshlrev_b64 v[30:31], 2, v[30:31]
	v_add_u32_e32 v32, s67, v89
	v_add_co_u32_e32 v30, vcc, s24, v30
	v_ashrrev_i32_e32 v33, 31, v32
	v_addc_co_u32_e32 v31, vcc, v94, v31, vcc
	;; [unrolled: 5-line block ×5, first 2 shown]
	v_lshlrev_b64 v[56:57], 2, v[56:57]
	v_add_co_u32_e32 v56, vcc, s24, v56
	v_addc_co_u32_e32 v57, vcc, v94, v57, vcc
	global_load_dword v97, v[28:29], off
	global_load_dword v98, v[30:31], off
	;; [unrolled: 1-line block ×6, first 2 shown]
	s_waitcnt vmcnt(55)
	ds_write_b32 v91, v20 offset:2176
	s_waitcnt vmcnt(54)
	ds_write_b32 v91, v21 offset:2440
	s_waitcnt vmcnt(53)
	ds_write_b32 v91, v22 offset:2704
	s_waitcnt vmcnt(52)
	ds_write_b32 v91, v23 offset:2968
	s_waitcnt vmcnt(51)
	ds_write_b32 v91, v24 offset:3232
	s_waitcnt vmcnt(50)
	ds_write_b32 v91, v25 offset:3496
	s_waitcnt vmcnt(49)
	ds_write_b32 v91, v26 offset:3760
	s_waitcnt vmcnt(48)
	ds_write_b32 v91, v27 offset:4024
	ds_read_b64 v[36:37], v92 offset:64
	ds_read_b64 v[32:33], v92 offset:96
	ds_read_b64 v[30:31], v92 offset:128
	ds_read_b64 v[28:29], v92 offset:160
	ds_read_b64 v[26:27], v92 offset:192
	ds_read_b64 v[24:25], v92 offset:224
	ds_read_b64 v[22:23], v92 offset:256
	ds_read_b64 v[20:21], v92 offset:288
	s_waitcnt vmcnt(47)
	ds_write_b32 v91, v34 offset:64
	s_waitcnt vmcnt(46)
	ds_write_b32 v91, v35 offset:328
	s_waitcnt vmcnt(45)
	ds_write_b32 v91, v38 offset:592
	s_waitcnt vmcnt(44)
	ds_write_b32 v91, v39 offset:856
	s_waitcnt vmcnt(43)
	ds_write_b32 v91, v40 offset:1120
	s_waitcnt vmcnt(42)
	ds_write_b32 v91, v41 offset:1384
	s_waitcnt vmcnt(41)
	ds_write_b32 v91, v42 offset:1648
	s_waitcnt vmcnt(40)
	ds_write_b32 v91, v43 offset:1912
	s_waitcnt vmcnt(39)
	ds_write_b32 v91, v44 offset:2176
	s_waitcnt vmcnt(38)
	ds_write_b32 v91, v45 offset:2440
	s_waitcnt vmcnt(37)
	ds_write_b32 v91, v46 offset:2704
	s_waitcnt vmcnt(36)
	ds_write_b32 v91, v47 offset:2968
	s_waitcnt vmcnt(35)
	ds_write_b32 v91, v50 offset:3232
	s_waitcnt vmcnt(34)
	ds_write_b32 v91, v51 offset:3496
	s_waitcnt vmcnt(33)
	ds_write_b32 v91, v52 offset:3760
	s_waitcnt vmcnt(32)
	ds_write_b32 v91, v53 offset:4024
	ds_read_b64 v[52:53], v92 offset:64
	ds_read_b64 v[50:51], v92 offset:96
	ds_read_b64 v[46:47], v92 offset:128
	ds_read_b64 v[44:45], v92 offset:160
	ds_read_b64 v[42:43], v92 offset:192
	ds_read_b64 v[40:41], v92 offset:224
	ds_read_b64 v[38:39], v92 offset:256
	ds_read_b64 v[34:35], v92 offset:288
	s_waitcnt vmcnt(31)
	ds_write_b32 v91, v48 offset:64
	s_waitcnt vmcnt(30)
	ds_write_b32 v91, v49 offset:328
	s_waitcnt vmcnt(29)
	ds_write_b32 v91, v62 offset:592
	s_waitcnt vmcnt(28)
	ds_write_b32 v91, v63 offset:856
	s_waitcnt vmcnt(27)
	ds_write_b32 v91, v64 offset:1120
	s_waitcnt vmcnt(26)
	ds_write_b32 v91, v65 offset:1384
	s_waitcnt vmcnt(25)
	ds_write_b32 v91, v66 offset:1648
	s_waitcnt vmcnt(24)
	ds_write_b32 v91, v67 offset:1912
	;; [unrolled: 40-line block ×3, first 2 shown]
	s_waitcnt vmcnt(7)
	ds_write_b32 v91, v84 offset:2176
	s_waitcnt vmcnt(6)
	ds_write_b32 v91, v85 offset:2440
	;; [unrolled: 2-line block ×8, first 2 shown]
	ds_read_b64 v[82:83], v92 offset:64
	ds_read_b64 v[80:81], v92 offset:96
	;; [unrolled: 1-line block ×8, first 2 shown]
	s_andn2_b64 vcc, exec, s[6:7]
	v_mov_b32_e32 v84, 0
	v_mov_b32_e32 v85, 0
	s_cbranch_vccnz .LBB142_36
; %bb.34:                               ;   in Loop: Header=BB142_33 Depth=1
	ds_read_b32 v97, v90
	v_mov_b32_e32 v85, 0
	v_mov_b32_e32 v84, 0
	s_waitcnt lgkmcnt(0)
	v_cmp_gt_i32_e32 vcc, 0, v97
	s_cbranch_vccnz .LBB142_36
; %bb.35:                               ;   in Loop: Header=BB142_33 Depth=1
	v_mul_lo_u32 v84, v97, s25
	v_add_u32_e32 v84, v93, v84
	v_ashrrev_i32_e32 v85, 31, v84
	v_lshlrev_b64 v[84:85], 2, v[84:85]
	v_mov_b32_e32 v97, s33
	v_add_co_u32_e32 v84, vcc, s27, v84
	v_addc_co_u32_e32 v85, vcc, v97, v85, vcc
	global_load_dwordx2 v[84:85], v[84:85], off
.LBB142_36:                             ;   in Loop: Header=BB142_33 Depth=1
	s_waitcnt vmcnt(0)
	v_and_b32_e32 v97, 0x7f800000, v84
	v_cmp_ne_u32_e32 vcc, s72, v97
                                        ; implicit-def: $vgpr97
	s_and_saveexec_b64 s[28:29], vcc
	s_xor_b64 s[28:29], exec, s[28:29]
; %bb.37:                               ;   in Loop: Header=BB142_33 Depth=1
	v_bfe_u32 v97, v84, 16, 1
	v_add3_u32 v97, v84, v97, s73
; %bb.38:                               ;   in Loop: Header=BB142_33 Depth=1
	s_andn2_saveexec_b64 s[28:29], s[28:29]
; %bb.39:                               ;   in Loop: Header=BB142_33 Depth=1
	v_or_b32_e32 v97, 0x10000, v84
	v_cmp_eq_u32_sdwa vcc, v84, v95 src0_sel:WORD_0 src1_sel:DWORD
	v_cndmask_b32_e32 v97, v97, v84, vcc
; %bb.40:                               ;   in Loop: Header=BB142_33 Depth=1
	s_or_b64 exec, exec, s[28:29]
	v_and_b32_e32 v84, 0x7f800000, v85
	v_cmp_ne_u32_e32 vcc, s72, v84
                                        ; implicit-def: $vgpr84
	s_and_saveexec_b64 s[28:29], vcc
	s_xor_b64 s[28:29], exec, s[28:29]
; %bb.41:                               ;   in Loop: Header=BB142_33 Depth=1
	v_bfe_u32 v84, v85, 16, 1
	v_add3_u32 v84, v85, v84, s73
                                        ; implicit-def: $vgpr85
; %bb.42:                               ;   in Loop: Header=BB142_33 Depth=1
	s_andn2_saveexec_b64 s[28:29], s[28:29]
; %bb.43:                               ;   in Loop: Header=BB142_33 Depth=1
	v_or_b32_e32 v84, 0x10000, v85
	v_cmp_eq_u32_sdwa vcc, v85, v95 src0_sel:WORD_0 src1_sel:DWORD
	v_cndmask_b32_e32 v84, v84, v85, vcc
; %bb.44:                               ;   in Loop: Header=BB142_33 Depth=1
	s_or_b64 exec, exec, s[28:29]
	v_perm_b32 v84, v84, v97, s74
	ds_write_b32 v91, v84 offset:64
	s_andn2_b64 vcc, exec, s[12:13]
	v_mov_b32_e32 v84, 0
	v_mov_b32_e32 v85, 0
	s_cbranch_vccnz .LBB142_47
; %bb.45:                               ;   in Loop: Header=BB142_33 Depth=1
	ds_read_b32 v97, v90 offset:4
	v_mov_b32_e32 v85, 0
	v_mov_b32_e32 v84, 0
	s_waitcnt lgkmcnt(0)
	v_cmp_gt_i32_e32 vcc, 0, v97
	s_cbranch_vccnz .LBB142_47
; %bb.46:                               ;   in Loop: Header=BB142_33 Depth=1
	v_mul_lo_u32 v84, v97, s25
	v_readlane_b32 s28, v103, 26
	v_add_u32_e32 v84, s28, v84
	v_add_u32_e32 v84, v84, v93
	v_ashrrev_i32_e32 v85, 31, v84
	v_lshlrev_b64 v[84:85], 2, v[84:85]
	v_mov_b32_e32 v97, s33
	v_add_co_u32_e32 v84, vcc, s27, v84
	v_addc_co_u32_e32 v85, vcc, v97, v85, vcc
	global_load_dwordx2 v[84:85], v[84:85], off
.LBB142_47:                             ;   in Loop: Header=BB142_33 Depth=1
	s_waitcnt vmcnt(0)
	v_and_b32_e32 v97, 0x7f800000, v84
	v_cmp_ne_u32_e32 vcc, s72, v97
                                        ; implicit-def: $vgpr97
	s_and_saveexec_b64 s[28:29], vcc
	s_xor_b64 s[28:29], exec, s[28:29]
; %bb.48:                               ;   in Loop: Header=BB142_33 Depth=1
	v_bfe_u32 v97, v84, 16, 1
	v_add3_u32 v97, v84, v97, s73
; %bb.49:                               ;   in Loop: Header=BB142_33 Depth=1
	s_andn2_saveexec_b64 s[28:29], s[28:29]
; %bb.50:                               ;   in Loop: Header=BB142_33 Depth=1
	v_or_b32_e32 v97, 0x10000, v84
	v_cmp_eq_u32_sdwa vcc, v84, v95 src0_sel:WORD_0 src1_sel:DWORD
	v_cndmask_b32_e32 v97, v97, v84, vcc
; %bb.51:                               ;   in Loop: Header=BB142_33 Depth=1
	s_or_b64 exec, exec, s[28:29]
	v_and_b32_e32 v84, 0x7f800000, v85
	v_cmp_ne_u32_e32 vcc, s72, v84
                                        ; implicit-def: $vgpr84
	s_and_saveexec_b64 s[28:29], vcc
	s_xor_b64 s[28:29], exec, s[28:29]
; %bb.52:                               ;   in Loop: Header=BB142_33 Depth=1
	v_bfe_u32 v84, v85, 16, 1
	v_add3_u32 v84, v85, v84, s73
                                        ; implicit-def: $vgpr85
; %bb.53:                               ;   in Loop: Header=BB142_33 Depth=1
	s_andn2_saveexec_b64 s[28:29], s[28:29]
; %bb.54:                               ;   in Loop: Header=BB142_33 Depth=1
	v_or_b32_e32 v84, 0x10000, v85
	v_cmp_eq_u32_sdwa vcc, v85, v95 src0_sel:WORD_0 src1_sel:DWORD
	v_cndmask_b32_e32 v84, v84, v85, vcc
; %bb.55:                               ;   in Loop: Header=BB142_33 Depth=1
	s_or_b64 exec, exec, s[28:29]
	v_perm_b32 v84, v84, v97, s74
	ds_write_b32 v91, v84 offset:328
	s_andn2_b64 vcc, exec, s[22:23]
	v_mov_b32_e32 v84, 0
	v_mov_b32_e32 v85, 0
	s_cbranch_vccnz .LBB142_58
; %bb.56:                               ;   in Loop: Header=BB142_33 Depth=1
	ds_read_b32 v97, v90 offset:8
	v_mov_b32_e32 v85, 0
	v_mov_b32_e32 v84, 0
	s_waitcnt lgkmcnt(0)
	v_cmp_gt_i32_e32 vcc, 0, v97
	s_cbranch_vccnz .LBB142_58
; %bb.57:                               ;   in Loop: Header=BB142_33 Depth=1
	v_mul_lo_u32 v84, v97, s25
	v_readlane_b32 s28, v103, 14
	v_add_u32_e32 v84, s28, v84
	v_add_u32_e32 v84, v84, v93
	v_ashrrev_i32_e32 v85, 31, v84
	v_lshlrev_b64 v[84:85], 2, v[84:85]
	v_mov_b32_e32 v97, s33
	v_add_co_u32_e32 v84, vcc, s27, v84
	v_addc_co_u32_e32 v85, vcc, v97, v85, vcc
	global_load_dwordx2 v[84:85], v[84:85], off
.LBB142_58:                             ;   in Loop: Header=BB142_33 Depth=1
	;; [unrolled: 59-line block ×5, first 2 shown]
	s_waitcnt vmcnt(0)
	v_and_b32_e32 v97, 0x7f800000, v84
	v_cmp_ne_u32_e32 vcc, s72, v97
                                        ; implicit-def: $vgpr97
	s_and_saveexec_b64 s[28:29], vcc
	s_xor_b64 s[28:29], exec, s[28:29]
; %bb.92:                               ;   in Loop: Header=BB142_33 Depth=1
	v_bfe_u32 v97, v84, 16, 1
	v_add3_u32 v97, v84, v97, s73
; %bb.93:                               ;   in Loop: Header=BB142_33 Depth=1
	s_andn2_saveexec_b64 s[28:29], s[28:29]
; %bb.94:                               ;   in Loop: Header=BB142_33 Depth=1
	v_or_b32_e32 v97, 0x10000, v84
	v_cmp_eq_u32_sdwa vcc, v84, v95 src0_sel:WORD_0 src1_sel:DWORD
	v_cndmask_b32_e32 v97, v97, v84, vcc
; %bb.95:                               ;   in Loop: Header=BB142_33 Depth=1
	s_or_b64 exec, exec, s[28:29]
	v_and_b32_e32 v84, 0x7f800000, v85
	v_cmp_ne_u32_e32 vcc, s72, v84
                                        ; implicit-def: $vgpr84
	s_and_saveexec_b64 s[28:29], vcc
	s_xor_b64 s[28:29], exec, s[28:29]
; %bb.96:                               ;   in Loop: Header=BB142_33 Depth=1
	v_bfe_u32 v84, v85, 16, 1
	v_add3_u32 v84, v85, v84, s73
                                        ; implicit-def: $vgpr85
; %bb.97:                               ;   in Loop: Header=BB142_33 Depth=1
	s_andn2_saveexec_b64 s[28:29], s[28:29]
; %bb.98:                               ;   in Loop: Header=BB142_33 Depth=1
	v_or_b32_e32 v84, 0x10000, v85
	v_cmp_eq_u32_sdwa vcc, v85, v95 src0_sel:WORD_0 src1_sel:DWORD
	v_cndmask_b32_e32 v84, v84, v85, vcc
; %bb.99:                               ;   in Loop: Header=BB142_33 Depth=1
	s_or_b64 exec, exec, s[28:29]
	v_perm_b32 v84, v84, v97, s74
	ds_write_b32 v91, v84 offset:1384
	s_andn2_b64 vcc, exec, s[38:39]
	v_mov_b32_e32 v84, 0
	v_mov_b32_e32 v85, 0
	s_cbranch_vccnz .LBB142_102
; %bb.100:                              ;   in Loop: Header=BB142_33 Depth=1
	ds_read_b32 v97, v90 offset:24
	v_mov_b32_e32 v85, 0
	v_mov_b32_e32 v84, 0
	s_waitcnt lgkmcnt(0)
	v_cmp_gt_i32_e32 vcc, 0, v97
	s_cbranch_vccnz .LBB142_102
; %bb.101:                              ;   in Loop: Header=BB142_33 Depth=1
	v_mul_lo_u32 v84, v97, s25
	v_readlane_b32 s28, v103, 20
	v_add_u32_e32 v84, s28, v84
	v_add_u32_e32 v84, v84, v93
	v_ashrrev_i32_e32 v85, 31, v84
	v_lshlrev_b64 v[84:85], 2, v[84:85]
	v_mov_b32_e32 v97, s33
	v_add_co_u32_e32 v84, vcc, s27, v84
	v_addc_co_u32_e32 v85, vcc, v97, v85, vcc
	global_load_dwordx2 v[84:85], v[84:85], off
.LBB142_102:                            ;   in Loop: Header=BB142_33 Depth=1
	s_waitcnt vmcnt(0)
	v_and_b32_e32 v97, 0x7f800000, v84
	v_cmp_ne_u32_e32 vcc, s72, v97
                                        ; implicit-def: $vgpr97
	s_and_saveexec_b64 s[28:29], vcc
	s_xor_b64 s[28:29], exec, s[28:29]
; %bb.103:                              ;   in Loop: Header=BB142_33 Depth=1
	v_bfe_u32 v97, v84, 16, 1
	v_add3_u32 v97, v84, v97, s73
; %bb.104:                              ;   in Loop: Header=BB142_33 Depth=1
	s_andn2_saveexec_b64 s[28:29], s[28:29]
; %bb.105:                              ;   in Loop: Header=BB142_33 Depth=1
	v_or_b32_e32 v97, 0x10000, v84
	v_cmp_eq_u32_sdwa vcc, v84, v95 src0_sel:WORD_0 src1_sel:DWORD
	v_cndmask_b32_e32 v97, v97, v84, vcc
; %bb.106:                              ;   in Loop: Header=BB142_33 Depth=1
	s_or_b64 exec, exec, s[28:29]
	v_and_b32_e32 v84, 0x7f800000, v85
	v_cmp_ne_u32_e32 vcc, s72, v84
                                        ; implicit-def: $vgpr84
	s_and_saveexec_b64 s[28:29], vcc
	s_xor_b64 s[28:29], exec, s[28:29]
; %bb.107:                              ;   in Loop: Header=BB142_33 Depth=1
	v_bfe_u32 v84, v85, 16, 1
	v_add3_u32 v84, v85, v84, s73
                                        ; implicit-def: $vgpr85
; %bb.108:                              ;   in Loop: Header=BB142_33 Depth=1
	s_andn2_saveexec_b64 s[28:29], s[28:29]
; %bb.109:                              ;   in Loop: Header=BB142_33 Depth=1
	v_or_b32_e32 v84, 0x10000, v85
	v_cmp_eq_u32_sdwa vcc, v85, v95 src0_sel:WORD_0 src1_sel:DWORD
	v_cndmask_b32_e32 v84, v84, v85, vcc
; %bb.110:                              ;   in Loop: Header=BB142_33 Depth=1
	s_or_b64 exec, exec, s[28:29]
	v_perm_b32 v84, v84, v97, s74
	ds_write_b32 v91, v84 offset:1648
	s_andn2_b64 vcc, exec, s[40:41]
	v_mov_b32_e32 v84, 0
	v_mov_b32_e32 v85, 0
	s_cbranch_vccnz .LBB142_113
; %bb.111:                              ;   in Loop: Header=BB142_33 Depth=1
	ds_read_b32 v97, v90 offset:28
	v_mov_b32_e32 v85, 0
	v_mov_b32_e32 v84, 0
	s_waitcnt lgkmcnt(0)
	v_cmp_gt_i32_e32 vcc, 0, v97
	s_cbranch_vccnz .LBB142_113
; %bb.112:                              ;   in Loop: Header=BB142_33 Depth=1
	v_mul_lo_u32 v84, v97, s25
	v_readlane_b32 s28, v103, 25
	v_add_u32_e32 v84, s28, v84
	v_add_u32_e32 v84, v84, v93
	v_ashrrev_i32_e32 v85, 31, v84
	v_lshlrev_b64 v[84:85], 2, v[84:85]
	v_mov_b32_e32 v97, s33
	v_add_co_u32_e32 v84, vcc, s27, v84
	v_addc_co_u32_e32 v85, vcc, v97, v85, vcc
	global_load_dwordx2 v[84:85], v[84:85], off
.LBB142_113:                            ;   in Loop: Header=BB142_33 Depth=1
	s_waitcnt vmcnt(0)
	v_and_b32_e32 v97, 0x7f800000, v84
	v_cmp_ne_u32_e32 vcc, s72, v97
                                        ; implicit-def: $vgpr97
	s_and_saveexec_b64 s[28:29], vcc
	s_xor_b64 s[28:29], exec, s[28:29]
; %bb.114:                              ;   in Loop: Header=BB142_33 Depth=1
	v_bfe_u32 v97, v84, 16, 1
	v_add3_u32 v97, v84, v97, s73
; %bb.115:                              ;   in Loop: Header=BB142_33 Depth=1
	s_andn2_saveexec_b64 s[28:29], s[28:29]
; %bb.116:                              ;   in Loop: Header=BB142_33 Depth=1
	v_or_b32_e32 v97, 0x10000, v84
	v_cmp_eq_u32_sdwa vcc, v84, v95 src0_sel:WORD_0 src1_sel:DWORD
	v_cndmask_b32_e32 v97, v97, v84, vcc
; %bb.117:                              ;   in Loop: Header=BB142_33 Depth=1
	s_or_b64 exec, exec, s[28:29]
	v_and_b32_e32 v84, 0x7f800000, v85
	v_cmp_ne_u32_e32 vcc, s72, v84
                                        ; implicit-def: $vgpr84
	s_and_saveexec_b64 s[28:29], vcc
	s_xor_b64 s[28:29], exec, s[28:29]
; %bb.118:                              ;   in Loop: Header=BB142_33 Depth=1
	v_bfe_u32 v84, v85, 16, 1
	v_add3_u32 v84, v85, v84, s73
                                        ; implicit-def: $vgpr85
; %bb.119:                              ;   in Loop: Header=BB142_33 Depth=1
	s_andn2_saveexec_b64 s[28:29], s[28:29]
; %bb.120:                              ;   in Loop: Header=BB142_33 Depth=1
	v_or_b32_e32 v84, 0x10000, v85
	v_cmp_eq_u32_sdwa vcc, v85, v95 src0_sel:WORD_0 src1_sel:DWORD
	v_cndmask_b32_e32 v84, v84, v85, vcc
; %bb.121:                              ;   in Loop: Header=BB142_33 Depth=1
	;; [unrolled: 59-line block ×6, first 2 shown]
	s_or_b64 exec, exec, s[28:29]
	v_perm_b32 v84, v84, v97, s74
	ds_write_b32 v91, v84 offset:2968
	s_andn2_b64 vcc, exec, s[50:51]
	v_mov_b32_e32 v84, 0
	v_mov_b32_e32 v85, 0
	s_cbranch_vccnz .LBB142_168
; %bb.166:                              ;   in Loop: Header=BB142_33 Depth=1
	ds_read_b32 v97, v90 offset:48
	v_mov_b32_e32 v85, 0
	v_mov_b32_e32 v84, 0
	s_waitcnt lgkmcnt(0)
	v_cmp_gt_i32_e32 vcc, 0, v97
	s_cbranch_vccnz .LBB142_168
; %bb.167:                              ;   in Loop: Header=BB142_33 Depth=1
	v_mul_lo_u32 v84, v97, s25
	v_readlane_b32 s28, v103, 21
	v_add_u32_e32 v84, s28, v84
	v_add_u32_e32 v84, v84, v93
	v_ashrrev_i32_e32 v85, 31, v84
	v_lshlrev_b64 v[84:85], 2, v[84:85]
	v_mov_b32_e32 v97, s33
	v_add_co_u32_e32 v84, vcc, s27, v84
	v_addc_co_u32_e32 v85, vcc, v97, v85, vcc
	global_load_dwordx2 v[84:85], v[84:85], off
.LBB142_168:                            ;   in Loop: Header=BB142_33 Depth=1
	s_waitcnt vmcnt(0)
	v_and_b32_e32 v97, 0x7f800000, v84
	v_cmp_ne_u32_e32 vcc, s72, v97
                                        ; implicit-def: $vgpr97
	s_and_saveexec_b64 s[28:29], vcc
	s_xor_b64 s[28:29], exec, s[28:29]
; %bb.169:                              ;   in Loop: Header=BB142_33 Depth=1
	v_bfe_u32 v97, v84, 16, 1
	v_add3_u32 v97, v84, v97, s73
; %bb.170:                              ;   in Loop: Header=BB142_33 Depth=1
	s_andn2_saveexec_b64 s[28:29], s[28:29]
; %bb.171:                              ;   in Loop: Header=BB142_33 Depth=1
	v_or_b32_e32 v97, 0x10000, v84
	v_cmp_eq_u32_sdwa vcc, v84, v95 src0_sel:WORD_0 src1_sel:DWORD
	v_cndmask_b32_e32 v97, v97, v84, vcc
; %bb.172:                              ;   in Loop: Header=BB142_33 Depth=1
	s_or_b64 exec, exec, s[28:29]
	v_and_b32_e32 v84, 0x7f800000, v85
	v_cmp_ne_u32_e32 vcc, s72, v84
                                        ; implicit-def: $vgpr84
	s_and_saveexec_b64 s[28:29], vcc
	s_xor_b64 s[28:29], exec, s[28:29]
; %bb.173:                              ;   in Loop: Header=BB142_33 Depth=1
	v_bfe_u32 v84, v85, 16, 1
	v_add3_u32 v84, v85, v84, s73
                                        ; implicit-def: $vgpr85
; %bb.174:                              ;   in Loop: Header=BB142_33 Depth=1
	s_andn2_saveexec_b64 s[28:29], s[28:29]
	s_cbranch_execz .LBB142_32
; %bb.175:                              ;   in Loop: Header=BB142_33 Depth=1
	v_or_b32_e32 v84, 0x10000, v85
	v_cmp_eq_u32_sdwa vcc, v85, v95 src0_sel:WORD_0 src1_sel:DWORD
	v_cndmask_b32_e32 v84, v84, v85, vcc
	s_branch .LBB142_32
.LBB142_176:
	s_or_b64 exec, exec, s[18:19]
	v_readlane_b32 s40, v103, 6
	v_readlane_b32 s44, v103, 10
	;; [unrolled: 1-line block ×9, first 2 shown]
.LBB142_177:
	v_readlane_b32 s0, v103, 4
	v_readlane_b32 s1, v103, 5
	s_or_b64 exec, exec, s[0:1]
	v_mul_u32_u24_e32 v18, 0x708, v88
	s_movk_i32 s1, 0x100
	v_lshlrev_b32_e32 v19, 2, v87
	v_add3_u32 v18, s1, v18, v19
	v_and_b32_e32 v20, 0x3f0, v16
	v_add_u32_e32 v21, v18, v20
	s_barrier
	v_add_u32_e32 v19, 64, v18
	ds_write2_b32 v21, v8, v9 offset0:16 offset1:17
	v_or_b32_e32 v9, 12, v16
	v_add_u32_e32 v8, v19, v20
	v_and_b32_e32 v9, 0x3fc, v9
	ds_write_b32 v8, v10 offset:8
	v_add_u32_e32 v10, v18, v9
	ds_write_b32 v10, v11 offset:64
	ds_write2_b32 v8, v4, v5 offset0:16 offset1:17
	ds_write_b32 v8, v6 offset:72
	v_add_u32_e32 v4, v19, v9
	v_mov_b32_e32 v6, 0x100
	s_movk_i32 s0, 0x708
	ds_write_b32 v4, v7 offset:64
	ds_write2_b32 v8, v0, v1 offset0:32 offset1:33
	ds_write_b32 v8, v2 offset:136
	ds_write_b32 v4, v3 offset:128
	ds_write2_b32 v8, v12, v13 offset0:48 offset1:49
	ds_write_b32 v8, v14 offset:200
	ds_write_b32 v4, v15 offset:192
	v_lshl_add_u32 v7, v16, 2, v6
	v_mad_u32_u24 v8, v17, s0, v7
	v_add_u32_e32 v2, 64, v8
	s_waitcnt lgkmcnt(0)
	s_barrier
	ds_read2_b32 v[4:5], v8 offset0:16 offset1:80
	ds_read2_b32 v[0:1], v8 offset0:144 offset1:208
	ds_read2st64_b32 v[2:3], v2 offset0:4 offset1:5
	ds_read_b32 v8, v8 offset:1600
	v_cmp_gt_u32_e32 vcc, 13, v17
	v_mov_b32_e32 v9, -1
	s_and_saveexec_b64 s[4:5], vcc
	s_cbranch_execz .LBB142_179
; %bb.178:
	v_lshl_add_u32 v6, v17, 2, v6
	ds_read_b32 v9, v6
.LBB142_179:
	s_or_b64 exec, exec, s[4:5]
	s_mul_hi_i32 s1, s46, s8
	s_mul_i32 s0, s46, s8
	s_lshl_b64 s[0:1], s[0:1], 2
	v_readlane_b32 s4, v103, 2
	s_mul_hi_i32 s3, s50, s21
	s_mul_i32 s2, s50, s21
	v_readlane_b32 s5, v103, 3
	s_add_u32 s4, s4, s0
	s_addc_u32 s5, s5, s1
	s_lshl_b64 s[0:1], s[2:3], 2
	s_add_u32 s2, s4, s0
	s_waitcnt lgkmcnt(0)
	v_cmp_lt_i32_e32 vcc, -1, v9
	v_add_u32_e32 v6, s6, v16
	s_addc_u32 s3, s5, s1
	s_and_b64 s[4:5], vcc, s[40:41]
	s_and_saveexec_b64 s[0:1], s[4:5]
	s_cbranch_execz .LBB142_181
; %bb.180:
	v_add_f32_e32 v4, 0, v4
	v_add_f32_e32 v4, v4, v5
	;; [unrolled: 1-line block ×7, first 2 shown]
	v_mul_lo_u32 v0, v9, s26
	v_mul_lo_u32 v1, v17, s21
	v_add3_u32 v0, v6, v1, v0
	v_mov_b32_e32 v1, 0
	v_lshlrev_b64 v[0:1], 2, v[0:1]
	v_mov_b32_e32 v3, s3
	v_add_co_u32_e32 v0, vcc, s2, v0
	v_addc_co_u32_e32 v1, vcc, v3, v1, vcc
	global_store_dword v[0:1], v2, off
.LBB142_181:
	s_or_b64 exec, exec, s[0:1]
	v_cmp_gt_u32_e32 vcc, 6, v17
	s_and_saveexec_b64 s[0:1], vcc
	s_cbranch_execz .LBB142_184
; %bb.182:
	v_mov_b32_e32 v0, 0x100
	v_lshl_add_u32 v0, v17, 2, v0
	ds_read_b32 v0, v0 offset:28
	v_readlane_b32 s0, v103, 0
	v_readlane_b32 s1, v103, 1
	s_waitcnt lgkmcnt(0)
	v_cmp_lt_i32_e32 vcc, -1, v0
	s_and_b64 s[0:1], vcc, s[0:1]
	s_and_b64 exec, exec, s[0:1]
	s_cbranch_execz .LBB142_184
; %bb.183:
	v_mul_u32_u24_e32 v1, 0x708, v17
	v_add_u32_e32 v4, v1, v7
	v_add_u32_e32 v5, 0x78, v4
	ds_read2st64_b32 v[2:3], v5 offset0:49 offset1:50
	v_mul_lo_u32 v7, v0, s26
	ds_read2st64_b32 v[0:1], v5 offset0:51 offset1:52
	ds_read_b32 v8, v4 offset:14200
	ds_read2st64_b32 v[4:5], v5 offset0:53 offset1:54
	s_waitcnt lgkmcnt(3)
	v_add_f32_e32 v2, 0, v2
	v_add_f32_e32 v2, v2, v3
	s_waitcnt lgkmcnt(2)
	v_add_f32_e32 v0, v2, v0
	v_add_f32_e32 v0, v0, v1
	;; [unrolled: 3-line block ×3, first 2 shown]
	v_add_f32_e32 v2, v0, v8
	v_mul_lo_u32 v0, v86, s21
	v_add3_u32 v0, v6, v0, v7
	v_mov_b32_e32 v1, 0
	v_lshlrev_b64 v[0:1], 2, v[0:1]
	v_mov_b32_e32 v3, s3
	v_add_co_u32_e32 v0, vcc, s2, v0
	v_addc_co_u32_e32 v1, vcc, v3, v1, vcc
	global_store_dword v[0:1], v2, off
.LBB142_184:
	s_endpgm
	.section	.rodata,"a",@progbits
	.p2align	6, 0x0
	.amdhsa_kernel _ZL9mul_mat_fI15__hip_bfloat162Li64ELi13ELi7ELb1EEvPKT_PKfPKiPfiiiiiiiiiiiiiiii
		.amdhsa_group_segment_fixed_size 256
		.amdhsa_private_segment_fixed_size 0
		.amdhsa_kernarg_size 352
		.amdhsa_user_sgpr_count 6
		.amdhsa_user_sgpr_private_segment_buffer 1
		.amdhsa_user_sgpr_dispatch_ptr 0
		.amdhsa_user_sgpr_queue_ptr 0
		.amdhsa_user_sgpr_kernarg_segment_ptr 1
		.amdhsa_user_sgpr_dispatch_id 0
		.amdhsa_user_sgpr_flat_scratch_init 0
		.amdhsa_user_sgpr_kernarg_preload_length 0
		.amdhsa_user_sgpr_kernarg_preload_offset 0
		.amdhsa_user_sgpr_private_segment_size 0
		.amdhsa_uses_dynamic_stack 0
		.amdhsa_system_sgpr_private_segment_wavefront_offset 0
		.amdhsa_system_sgpr_workgroup_id_x 1
		.amdhsa_system_sgpr_workgroup_id_y 1
		.amdhsa_system_sgpr_workgroup_id_z 1
		.amdhsa_system_sgpr_workgroup_info 0
		.amdhsa_system_vgpr_workitem_id 2
		.amdhsa_next_free_vgpr 104
		.amdhsa_next_free_sgpr 96
		.amdhsa_accum_offset 104
		.amdhsa_reserve_vcc 1
		.amdhsa_reserve_flat_scratch 0
		.amdhsa_float_round_mode_32 0
		.amdhsa_float_round_mode_16_64 0
		.amdhsa_float_denorm_mode_32 3
		.amdhsa_float_denorm_mode_16_64 3
		.amdhsa_dx10_clamp 1
		.amdhsa_ieee_mode 1
		.amdhsa_fp16_overflow 0
		.amdhsa_tg_split 0
		.amdhsa_exception_fp_ieee_invalid_op 0
		.amdhsa_exception_fp_denorm_src 0
		.amdhsa_exception_fp_ieee_div_zero 0
		.amdhsa_exception_fp_ieee_overflow 0
		.amdhsa_exception_fp_ieee_underflow 0
		.amdhsa_exception_fp_ieee_inexact 0
		.amdhsa_exception_int_div_zero 0
	.end_amdhsa_kernel
	.section	.text._ZL9mul_mat_fI15__hip_bfloat162Li64ELi13ELi7ELb1EEvPKT_PKfPKiPfiiiiiiiiiiiiiiii,"axG",@progbits,_ZL9mul_mat_fI15__hip_bfloat162Li64ELi13ELi7ELb1EEvPKT_PKfPKiPfiiiiiiiiiiiiiiii,comdat
.Lfunc_end142:
	.size	_ZL9mul_mat_fI15__hip_bfloat162Li64ELi13ELi7ELb1EEvPKT_PKfPKiPfiiiiiiiiiiiiiiii, .Lfunc_end142-_ZL9mul_mat_fI15__hip_bfloat162Li64ELi13ELi7ELb1EEvPKT_PKfPKiPfiiiiiiiiiiiiiiii
                                        ; -- End function
	.section	.AMDGPU.csdata,"",@progbits
; Kernel info:
; codeLenInByte = 10016
; NumSgprs: 100
; NumVgprs: 104
; NumAgprs: 0
; TotalNumVgprs: 104
; ScratchSize: 0
; MemoryBound: 0
; FloatMode: 240
; IeeeMode: 1
; LDSByteSize: 256 bytes/workgroup (compile time only)
; SGPRBlocks: 12
; VGPRBlocks: 12
; NumSGPRsForWavesPerEU: 100
; NumVGPRsForWavesPerEU: 104
; AccumOffset: 104
; Occupancy: 4
; WaveLimiterHint : 0
; COMPUTE_PGM_RSRC2:SCRATCH_EN: 0
; COMPUTE_PGM_RSRC2:USER_SGPR: 6
; COMPUTE_PGM_RSRC2:TRAP_HANDLER: 0
; COMPUTE_PGM_RSRC2:TGID_X_EN: 1
; COMPUTE_PGM_RSRC2:TGID_Y_EN: 1
; COMPUTE_PGM_RSRC2:TGID_Z_EN: 1
; COMPUTE_PGM_RSRC2:TIDIG_COMP_CNT: 2
; COMPUTE_PGM_RSRC3_GFX90A:ACCUM_OFFSET: 25
; COMPUTE_PGM_RSRC3_GFX90A:TG_SPLIT: 0
	.section	.text._ZL9mul_mat_fI15__hip_bfloat162Li64ELi13ELi7ELb0EEvPKT_PKfPKiPfiiiiiiiiiiiiiiii,"axG",@progbits,_ZL9mul_mat_fI15__hip_bfloat162Li64ELi13ELi7ELb0EEvPKT_PKfPKiPfiiiiiiiiiiiiiiii,comdat
	.globl	_ZL9mul_mat_fI15__hip_bfloat162Li64ELi13ELi7ELb0EEvPKT_PKfPKiPfiiiiiiiiiiiiiiii ; -- Begin function _ZL9mul_mat_fI15__hip_bfloat162Li64ELi13ELi7ELb0EEvPKT_PKfPKiPfiiiiiiiiiiiiiiii
	.p2align	8
	.type	_ZL9mul_mat_fI15__hip_bfloat162Li64ELi13ELi7ELb0EEvPKT_PKfPKiPfiiiiiiiiiiiiiiii,@function
_ZL9mul_mat_fI15__hip_bfloat162Li64ELi13ELi7ELb0EEvPKT_PKfPKiPfiiiiiiiiiiiiiiii: ; @_ZL9mul_mat_fI15__hip_bfloat162Li64ELi13ELi7ELb0EEvPKT_PKfPKiPfiiiiiiiiiiiiiiii
; %bb.0:
	s_load_dwordx8 s[12:19], s[4:5], 0x40
	s_load_dword s9, s[4:5], 0x20
	s_load_dwordx4 s[0:3], s[4:5], 0x2c
	v_bfe_u32 v86, v0, 10, 10
	v_lshlrev_b32_e32 v88, 6, v86
	v_and_b32_e32 v87, 0x3ff, v0
	s_waitcnt lgkmcnt(0)
	s_abs_i32 s27, s12
	s_abs_i32 s26, s16
	v_cvt_f32_u32_e32 v1, s27
	v_cvt_f32_u32_e32 v2, s26
	v_add_u32_e32 v90, v88, v87
	s_mov_b32 s22, 0
	v_rcp_iflag_f32_e32 v1, v1
	v_rcp_iflag_f32_e32 v2, v2
	s_ashr_i32 s28, s8, 31
	v_cmp_le_i32_e32 vcc, s9, v90
	v_mul_f32_e32 v1, 0x4f7ffffe, v1
	v_mul_f32_e32 v2, 0x4f7ffffe, v2
	v_cvt_u32_f32_e32 v1, v1
	v_cvt_u32_f32_e32 v2, v2
	v_and_b32_e32 v89, 15, v87
	v_readfirstlane_b32 s21, v1
	v_readfirstlane_b32 s20, v2
	s_and_saveexec_b64 s[10:11], vcc
	s_xor_b64 s[10:11], exec, s[10:11]
; %bb.1:
	v_and_b32_e32 v89, 15, v87
                                        ; implicit-def: $vgpr90
; %bb.2:
	s_or_saveexec_b64 s[24:25], s[10:11]
	s_load_dwordx2 s[10:11], s[4:5], 0x18
	s_lshl_b32 s3, s6, 6
	v_mov_b32_e32 v7, s22
	v_mov_b32_e32 v6, s22
	;; [unrolled: 1-line block ×16, first 2 shown]
	s_xor_b64 exec, exec, s[24:25]
	s_cbranch_execz .LBB143_110
; %bb.3:
                                        ; implicit-def: $vgpr104 : SGPR spill to VGPR lane
	s_sub_i32 s6, 0, s27
	s_waitcnt lgkmcnt(0)
	v_writelane_b32 v104, s10, 0
	v_writelane_b32 v104, s11, 1
	s_sub_i32 s10, 0, s26
	s_mul_i32 s6, s6, s21
	s_mul_i32 s10, s10, s20
	s_mul_hi_u32 s6, s21, s6
	s_mul_hi_u32 s10, s20, s10
	s_abs_i32 s11, s7
	s_add_i32 s6, s21, s6
	s_abs_i32 s29, s8
	s_add_i32 s10, s20, s10
	s_load_dwordx4 s[20:23], s[4:5], 0x0
	s_mul_hi_u32 s4, s11, s6
	s_mul_hi_u32 s5, s29, s10
	s_ashr_i32 s6, s7, 31
	s_ashr_i32 s10, s12, 31
	s_xor_b32 s6, s6, s10
	s_mul_i32 s10, s4, s27
	s_sub_i32 s10, s11, s10
	s_ashr_i32 s12, s16, 31
	s_add_i32 s11, s4, 1
	s_sub_i32 s16, s10, s27
	s_cmp_ge_u32 s10, s27
	s_cselect_b32 s4, s11, s4
	s_cselect_b32 s10, s16, s10
	s_add_i32 s11, s4, 1
	s_cmp_ge_u32 s10, s27
	s_cselect_b32 s4, s11, s4
	s_mul_i32 s10, s5, s26
	s_xor_b32 s4, s4, s6
	s_sub_i32 s10, s29, s10
	s_sub_i32 s6, s4, s6
	s_xor_b32 s4, s28, s12
	s_add_i32 s11, s5, 1
	s_sub_i32 s12, s10, s26
	s_cmp_ge_u32 s10, s26
	s_cselect_b32 s5, s11, s5
	s_cselect_b32 s10, s12, s10
	s_add_i32 s11, s5, 1
	s_cmp_ge_u32 s10, s26
	s_cselect_b32 s5, s11, s5
	s_xor_b32 s5, s5, s4
	s_sub_i32 s4, s5, s4
	s_mul_hi_i32 s5, s4, s17
	s_mul_i32 s4, s4, s17
	s_mul_i32 s10, s6, s13
	s_ashr_i32 s11, s10, 31
	s_lshl_b64 s[16:17], s[4:5], 2
	s_mul_i32 s12, s3, s0
	s_waitcnt lgkmcnt(0)
	s_add_u32 s6, s20, s16
	s_addc_u32 s27, s21, s17
	s_ashr_i32 s13, s12, 31
	s_lshl_b64 s[12:13], s[12:13], 2
	s_lshl_b64 s[10:11], s[10:11], 2
	s_add_u32 s28, s10, s12
	s_addc_u32 s29, s11, s13
	s_mul_i32 s26, s7, s14
	s_add_u32 s6, s28, s6
	s_mul_hi_i32 s5, s18, s8
	s_mul_i32 s4, s18, s8
	s_addc_u32 s91, s29, s27
	s_ashr_i32 s27, s26, 31
	s_lshl_b64 s[10:11], s[4:5], 2
	s_lshl_b64 s[4:5], s[26:27], 2
	s_add_u32 s22, s22, s4
	s_addc_u32 s23, s23, s5
	s_add_u32 s14, s22, s10
	s_movk_i32 s4, 0x1080
	s_addc_u32 s18, s23, s11
	v_mad_u32_u24 v0, v86, s4, 0
	s_ashr_i32 s5, s0, 31
	s_mov_b32 s4, s0
	v_lshrrev_b32_e32 v3, 1, v87
	s_ashr_i32 s13, s1, 31
	s_lshl_b64 s[4:5], s[4:5], 2
	v_lshlrev_b32_e32 v1, 2, v87
	v_mul_u32_u24_e32 v2, 0x108, v89
	v_and_b32_e32 v3, 0x1f8, v3
	s_add_u32 s16, s28, s16
	v_add_u32_e32 v91, v0, v1
	v_add3_u32 v92, v0, v2, v3
	v_lshlrev_b32_e32 v0, 8, v86
	s_addc_u32 s17, s29, s17
	v_mov_b32_e32 v2, s17
	v_add_co_u32_e32 v0, vcc, s16, v0
	v_addc_co_u32_e32 v2, vcc, 0, v2, vcc
	v_add_co_u32_e32 v0, vcc, v0, v1
	v_addc_co_u32_e32 v1, vcc, 0, v2, vcc
	v_mov_b32_e32 v2, s21
	v_add_co_u32_e32 v16, vcc, s20, v0
	v_addc_co_u32_e32 v17, vcc, v2, v1, vcc
	v_lshlrev_b32_e32 v0, 9, v86
	v_mov_b32_e32 v1, s11
	v_add_co_u32_e32 v0, vcc, s10, v0
	v_addc_co_u32_e32 v1, vcc, 0, v1, vcc
	v_lshlrev_b32_e32 v2, 3, v87
	v_add_co_u32_e32 v0, vcc, v0, v2
	v_addc_co_u32_e32 v1, vcc, 0, v1, vcc
	s_mov_b32 s12, s1
	v_mov_b32_e32 v2, s23
	v_add_co_u32_e32 v18, vcc, s22, v0
	v_mov_b32_e32 v94, 0
	s_lshl_b64 s[12:13], s[12:13], 3
	v_addc_co_u32_e32 v19, vcc, v2, v1, vcc
	s_mul_i32 s20, s0, 63
	s_lshl_b32 s21, s1, 1
	s_mul_i32 s22, s1, 3
	s_lshl_b32 s23, s1, 2
	s_mul_i32 s26, s1, 5
	s_mul_i32 s27, s1, 6
	;; [unrolled: 1-line block ×3, first 2 shown]
	s_lshl_b32 s29, s1, 3
	s_mul_i32 s30, s1, 9
	s_mul_i32 s31, s1, 10
	;; [unrolled: 1-line block ×4, first 2 shown]
	s_lshl_b32 s35, s0, 1
	s_mul_i32 s36, s0, 3
	s_lshl_b32 s37, s0, 2
	s_mul_i32 s38, s0, 5
	s_mul_i32 s39, s0, 6
	;; [unrolled: 1-line block ×3, first 2 shown]
	s_lshl_b32 s41, s0, 3
	s_mul_i32 s42, s0, 9
	s_mul_i32 s43, s0, 10
	;; [unrolled: 1-line block ×7, first 2 shown]
	s_lshl_b32 s49, s0, 4
	s_mul_i32 s50, s0, 17
	s_mul_i32 s51, s0, 18
	;; [unrolled: 1-line block ×15, first 2 shown]
	s_lshl_b32 s65, s0, 5
	s_mul_i32 s66, s0, 33
	s_mul_i32 s67, s0, 34
	;; [unrolled: 1-line block ×25, first 2 shown]
	v_mov_b32_e32 v93, s91
	s_mul_i32 s91, s0, 58
	v_mov_b32_e32 v95, s5
	v_mov_b32_e32 v12, 0
	;; [unrolled: 1-line block ×17, first 2 shown]
	s_mul_i32 s5, s0, 59
	s_mul_i32 s92, s0, 60
	;; [unrolled: 1-line block ×4, first 2 shown]
	s_mov_b32 s95, 0x7f800000
	s_movk_i32 s10, 0x7fff
	s_mov_b32 s11, 0x7060302
	s_mov_b64 s[0:1], 0
	s_branch .LBB143_5
.LBB143_4:                              ;   in Loop: Header=BB143_5 Depth=1
	s_or_b64 exec, exec, s[16:17]
	v_perm_b32 v84, v97, v96, s11
	v_add_u32_e32 v85, 0xc00, v91
	ds_write2_b32 v85, v84, v94 offset0:24 offset1:90
	ds_write2_b32 v85, v94, v94 offset0:156 offset1:222
	ds_read2_b64 v[96:99], v92 offset1:4
	v_add_co_u32_e32 v16, vcc, 0x700, v16
	v_addc_co_u32_e32 v17, vcc, 0, v17, vcc
	s_waitcnt lgkmcnt(0)
	v_mfma_f32_16x16x16bf16_1k v[4:7], v[36:37], v[96:97], v[4:7]
	v_add_co_u32_e32 v18, vcc, 0xe00, v18
	v_add_u32_e32 v90, 0x1c0, v90
	v_addc_co_u32_e32 v19, vcc, 0, v19, vcc
	v_cmp_le_i32_e32 vcc, s9, v90
	s_or_b64 s[0:1], vcc, s[0:1]
	v_mfma_f32_16x16x16bf16_1k v[0:3], v[54:55], v[96:97], v[0:3]
	v_mfma_f32_16x16x16bf16_1k v[8:11], v[68:69], v[96:97], v[8:11]
	;; [unrolled: 1-line block ×5, first 2 shown]
	ds_read2_b64 v[52:55], v92 offset0:8 offset1:12
	v_mfma_f32_16x16x16bf16_1k v[8:11], v[66:67], v[98:99], v[8:11]
	v_mfma_f32_16x16x16bf16_1k v[12:15], v[80:81], v[98:99], v[12:15]
	s_waitcnt lgkmcnt(0)
	v_mfma_f32_16x16x16bf16_1k v[4:7], v[30:31], v[52:53], v[4:7]
	v_mfma_f32_16x16x16bf16_1k v[0:3], v[50:51], v[52:53], v[0:3]
	;; [unrolled: 1-line block ×5, first 2 shown]
	ds_read2_b64 v[28:31], v92 offset0:16 offset1:20
	v_mfma_f32_16x16x16bf16_1k v[0:3], v[48:49], v[54:55], v[0:3]
	v_mfma_f32_16x16x16bf16_1k v[8:11], v[62:63], v[54:55], v[8:11]
	;; [unrolled: 1-line block ×3, first 2 shown]
	s_waitcnt lgkmcnt(0)
	v_mfma_f32_16x16x16bf16_1k v[4:7], v[26:27], v[28:29], v[4:7]
	v_mfma_f32_16x16x16bf16_1k v[0:3], v[44:45], v[28:29], v[0:3]
	;; [unrolled: 1-line block ×5, first 2 shown]
	ds_read2_b64 v[24:27], v92 offset0:24 offset1:28
	v_mfma_f32_16x16x16bf16_1k v[0:3], v[42:43], v[30:31], v[0:3]
	v_mfma_f32_16x16x16bf16_1k v[8:11], v[58:59], v[30:31], v[8:11]
	;; [unrolled: 1-line block ×3, first 2 shown]
	s_waitcnt lgkmcnt(0)
	v_mfma_f32_16x16x16bf16_1k v[4:7], v[22:23], v[24:25], v[4:7]
	v_mfma_f32_16x16x16bf16_1k v[0:3], v[40:41], v[24:25], v[0:3]
	;; [unrolled: 1-line block ×8, first 2 shown]
	s_andn2_b64 exec, exec, s[0:1]
	s_cbranch_execz .LBB143_109
.LBB143_5:                              ; =>This Inner Loop Header: Depth=1
	v_add_co_u32_e32 v20, vcc, s4, v16
	v_addc_co_u32_e32 v21, vcc, v17, v95, vcc
	global_load_dword v34, v[16:17], off
	global_load_dword v35, v[20:21], off
	v_add_u32_e32 v20, s35, v90
	v_ashrrev_i32_e32 v21, 31, v20
	v_lshlrev_b64 v[20:21], 2, v[20:21]
	v_add_u32_e32 v22, s36, v90
	v_add_co_u32_e32 v20, vcc, s6, v20
	v_ashrrev_i32_e32 v23, 31, v22
	v_addc_co_u32_e32 v21, vcc, v93, v21, vcc
	v_lshlrev_b64 v[22:23], 2, v[22:23]
	v_add_u32_e32 v24, s37, v90
	v_add_co_u32_e32 v22, vcc, s6, v22
	v_ashrrev_i32_e32 v25, 31, v24
	v_addc_co_u32_e32 v23, vcc, v93, v23, vcc
	;; [unrolled: 5-line block ×6, first 2 shown]
	v_lshlrev_b64 v[32:33], 2, v[32:33]
	v_add_co_u32_e32 v32, vcc, s6, v32
	v_addc_co_u32_e32 v33, vcc, v93, v33, vcc
	global_load_dword v36, v[20:21], off
	global_load_dword v37, v[22:23], off
	s_nop 0
	global_load_dword v24, v[24:25], off
	s_nop 0
	;; [unrolled: 2-line block ×3, first 2 shown]
	global_load_dword v26, v[28:29], off
	global_load_dword v27, v[30:31], off
	s_nop 0
	global_load_dword v28, v[32:33], off
	v_add_u32_e32 v20, s42, v90
	v_ashrrev_i32_e32 v21, 31, v20
	v_lshlrev_b64 v[20:21], 2, v[20:21]
	v_add_u32_e32 v22, s43, v90
	v_add_co_u32_e32 v20, vcc, s6, v20
	v_ashrrev_i32_e32 v23, 31, v22
	v_addc_co_u32_e32 v21, vcc, v93, v21, vcc
	v_lshlrev_b64 v[22:23], 2, v[22:23]
	global_load_dword v20, v[20:21], off
	v_add_co_u32_e32 v22, vcc, s6, v22
	v_addc_co_u32_e32 v23, vcc, v93, v23, vcc
	v_add_u32_e32 v30, s47, v90
	v_ashrrev_i32_e32 v31, 31, v30
	v_lshlrev_b64 v[30:31], 2, v[30:31]
	v_add_u32_e32 v32, s48, v90
	v_ashrrev_i32_e32 v33, 31, v32
	v_lshlrev_b64 v[32:33], 2, v[32:33]
	;; [unrolled: 3-line block ×6, first 2 shown]
	s_waitcnt vmcnt(9)
	ds_write_b32 v91, v34
	s_waitcnt vmcnt(8)
	ds_write_b32 v91, v35 offset:264
	s_waitcnt vmcnt(7)
	ds_write_b32 v91, v36 offset:528
	;; [unrolled: 2-line block ×8, first 2 shown]
	v_add_u32_e32 v24, s44, v90
	v_ashrrev_i32_e32 v25, 31, v24
	v_lshlrev_b64 v[24:25], 2, v[24:25]
	v_add_u32_e32 v26, s45, v90
	v_add_co_u32_e32 v24, vcc, s6, v24
	v_ashrrev_i32_e32 v27, 31, v26
	v_addc_co_u32_e32 v25, vcc, v93, v25, vcc
	v_lshlrev_b64 v[26:27], 2, v[26:27]
	v_add_u32_e32 v28, s46, v90
	v_add_co_u32_e32 v26, vcc, s6, v26
	v_ashrrev_i32_e32 v29, 31, v28
	v_addc_co_u32_e32 v27, vcc, v93, v27, vcc
	v_lshlrev_b64 v[28:29], 2, v[28:29]
	v_add_co_u32_e32 v28, vcc, s6, v28
	v_addc_co_u32_e32 v29, vcc, v93, v29, vcc
	v_add_co_u32_e32 v30, vcc, s6, v30
	v_addc_co_u32_e32 v31, vcc, v93, v31, vcc
	v_add_u32_e32 v34, s49, v90
	v_add_co_u32_e32 v32, vcc, s6, v32
	v_ashrrev_i32_e32 v35, 31, v34
	v_addc_co_u32_e32 v33, vcc, v93, v33, vcc
	v_lshlrev_b64 v[34:35], 2, v[34:35]
	v_add_u32_e32 v36, s50, v90
	v_add_co_u32_e32 v34, vcc, s6, v34
	v_ashrrev_i32_e32 v37, 31, v36
	v_addc_co_u32_e32 v35, vcc, v93, v35, vcc
	v_lshlrev_b64 v[36:37], 2, v[36:37]
	v_add_co_u32_e32 v36, vcc, s6, v36
	v_addc_co_u32_e32 v37, vcc, v93, v37, vcc
	global_load_dword v21, v[22:23], off
	s_nop 0
	global_load_dword v22, v[24:25], off
	global_load_dword v23, v[26:27], off
	s_nop 0
	global_load_dword v24, v[28:29], off
	global_load_dword v25, v[30:31], off
	;; [unrolled: 1-line block ×3, first 2 shown]
	s_nop 0
	global_load_dword v34, v[34:35], off
	s_nop 0
	global_load_dword v35, v[36:37], off
	v_add_u32_e32 v28, s51, v90
	v_ashrrev_i32_e32 v29, 31, v28
	v_lshlrev_b64 v[28:29], 2, v[28:29]
	v_add_u32_e32 v30, s52, v90
	v_add_co_u32_e32 v28, vcc, s6, v28
	v_ashrrev_i32_e32 v31, 31, v30
	v_addc_co_u32_e32 v29, vcc, v93, v29, vcc
	v_lshlrev_b64 v[30:31], 2, v[30:31]
	v_add_u32_e32 v32, s53, v90
	v_add_co_u32_e32 v30, vcc, s6, v30
	v_ashrrev_i32_e32 v33, 31, v32
	v_addc_co_u32_e32 v31, vcc, v93, v31, vcc
	;; [unrolled: 5-line block ×3, first 2 shown]
	v_lshlrev_b64 v[36:37], 2, v[36:37]
	v_add_co_u32_e32 v36, vcc, s6, v36
	v_addc_co_u32_e32 v37, vcc, v93, v37, vcc
	v_add_co_u32_e32 v38, vcc, s6, v38
	v_addc_co_u32_e32 v39, vcc, v93, v39, vcc
	;; [unrolled: 2-line block ×5, first 2 shown]
	global_load_dword v46, v[28:29], off
	global_load_dword v47, v[30:31], off
	global_load_dword v48, v[32:33], off
	global_load_dword v49, v[36:37], off
	global_load_dword v50, v[38:39], off
	global_load_dword v51, v[40:41], off
	global_load_dword v52, v[42:43], off
	global_load_dword v53, v[44:45], off
	v_add_u32_e32 v28, s59, v90
	v_ashrrev_i32_e32 v29, 31, v28
	v_lshlrev_b64 v[28:29], 2, v[28:29]
	v_add_u32_e32 v30, s60, v90
	v_add_co_u32_e32 v28, vcc, s6, v28
	v_ashrrev_i32_e32 v31, 31, v30
	v_addc_co_u32_e32 v29, vcc, v93, v29, vcc
	v_lshlrev_b64 v[30:31], 2, v[30:31]
	v_add_u32_e32 v32, s61, v90
	v_add_co_u32_e32 v30, vcc, s6, v30
	v_ashrrev_i32_e32 v33, 31, v32
	v_addc_co_u32_e32 v31, vcc, v93, v31, vcc
	v_lshlrev_b64 v[32:33], 2, v[32:33]
	v_add_u32_e32 v36, s62, v90
	v_add_co_u32_e32 v32, vcc, s6, v32
	v_ashrrev_i32_e32 v37, 31, v36
	v_addc_co_u32_e32 v33, vcc, v93, v33, vcc
	v_lshlrev_b64 v[36:37], 2, v[36:37]
	v_add_u32_e32 v38, s63, v90
	v_add_co_u32_e32 v36, vcc, s6, v36
	v_ashrrev_i32_e32 v39, 31, v38
	v_addc_co_u32_e32 v37, vcc, v93, v37, vcc
	v_lshlrev_b64 v[38:39], 2, v[38:39]
	v_add_u32_e32 v40, s64, v90
	v_add_co_u32_e32 v38, vcc, s6, v38
	v_ashrrev_i32_e32 v41, 31, v40
	v_addc_co_u32_e32 v39, vcc, v93, v39, vcc
	v_lshlrev_b64 v[40:41], 2, v[40:41]
	v_add_u32_e32 v42, s65, v90
	v_add_co_u32_e32 v40, vcc, s6, v40
	v_ashrrev_i32_e32 v43, 31, v42
	v_addc_co_u32_e32 v41, vcc, v93, v41, vcc
	v_lshlrev_b64 v[42:43], 2, v[42:43]
	v_add_u32_e32 v44, s66, v90
	v_add_co_u32_e32 v42, vcc, s6, v42
	v_ashrrev_i32_e32 v45, 31, v44
	v_addc_co_u32_e32 v43, vcc, v93, v43, vcc
	v_lshlrev_b64 v[44:45], 2, v[44:45]
	v_add_co_u32_e32 v44, vcc, s6, v44
	v_addc_co_u32_e32 v45, vcc, v93, v45, vcc
	global_load_dword v54, v[28:29], off
	global_load_dword v55, v[30:31], off
	global_load_dword v56, v[32:33], off
	global_load_dword v57, v[36:37], off
	global_load_dword v58, v[38:39], off
	global_load_dword v59, v[40:41], off
	global_load_dword v60, v[42:43], off
	global_load_dword v61, v[44:45], off
	v_add_u32_e32 v28, s67, v90
	v_ashrrev_i32_e32 v29, 31, v28
	v_lshlrev_b64 v[28:29], 2, v[28:29]
	v_add_u32_e32 v30, s68, v90
	v_add_co_u32_e32 v28, vcc, s6, v28
	v_ashrrev_i32_e32 v31, 31, v30
	v_addc_co_u32_e32 v29, vcc, v93, v29, vcc
	v_lshlrev_b64 v[30:31], 2, v[30:31]
	v_add_u32_e32 v32, s69, v90
	v_add_co_u32_e32 v30, vcc, s6, v30
	v_ashrrev_i32_e32 v33, 31, v32
	v_addc_co_u32_e32 v31, vcc, v93, v31, vcc
	v_lshlrev_b64 v[32:33], 2, v[32:33]
	v_add_u32_e32 v36, s70, v90
	v_add_co_u32_e32 v32, vcc, s6, v32
	v_ashrrev_i32_e32 v37, 31, v36
	v_addc_co_u32_e32 v33, vcc, v93, v33, vcc
	v_lshlrev_b64 v[36:37], 2, v[36:37]
	v_add_u32_e32 v38, s71, v90
	v_add_co_u32_e32 v36, vcc, s6, v36
	v_ashrrev_i32_e32 v39, 31, v38
	v_addc_co_u32_e32 v37, vcc, v93, v37, vcc
	v_lshlrev_b64 v[38:39], 2, v[38:39]
	v_add_u32_e32 v40, s72, v90
	v_add_co_u32_e32 v38, vcc, s6, v38
	v_ashrrev_i32_e32 v41, 31, v40
	v_addc_co_u32_e32 v39, vcc, v93, v39, vcc
	v_lshlrev_b64 v[40:41], 2, v[40:41]
	v_add_u32_e32 v42, s73, v90
	v_add_co_u32_e32 v40, vcc, s6, v40
	v_ashrrev_i32_e32 v43, 31, v42
	v_addc_co_u32_e32 v41, vcc, v93, v41, vcc
	v_lshlrev_b64 v[42:43], 2, v[42:43]
	v_add_u32_e32 v44, s74, v90
	v_add_co_u32_e32 v42, vcc, s6, v42
	v_ashrrev_i32_e32 v45, 31, v44
	v_addc_co_u32_e32 v43, vcc, v93, v43, vcc
	v_lshlrev_b64 v[44:45], 2, v[44:45]
	v_add_co_u32_e32 v44, vcc, s6, v44
	v_addc_co_u32_e32 v45, vcc, v93, v45, vcc
	global_load_dword v62, v[28:29], off
	global_load_dword v63, v[30:31], off
	global_load_dword v64, v[32:33], off
	global_load_dword v65, v[36:37], off
	global_load_dword v66, v[38:39], off
	global_load_dword v67, v[40:41], off
	global_load_dword v68, v[42:43], off
	global_load_dword v69, v[44:45], off
	v_add_u32_e32 v28, s75, v90
	v_ashrrev_i32_e32 v29, 31, v28
	v_lshlrev_b64 v[28:29], 2, v[28:29]
	v_add_u32_e32 v30, s76, v90
	v_add_co_u32_e32 v28, vcc, s6, v28
	v_ashrrev_i32_e32 v31, 31, v30
	v_addc_co_u32_e32 v29, vcc, v93, v29, vcc
	v_lshlrev_b64 v[30:31], 2, v[30:31]
	v_add_u32_e32 v32, s77, v90
	v_add_co_u32_e32 v30, vcc, s6, v30
	v_ashrrev_i32_e32 v33, 31, v32
	v_addc_co_u32_e32 v31, vcc, v93, v31, vcc
	v_lshlrev_b64 v[32:33], 2, v[32:33]
	v_add_u32_e32 v36, s78, v90
	v_add_co_u32_e32 v32, vcc, s6, v32
	v_ashrrev_i32_e32 v37, 31, v36
	v_addc_co_u32_e32 v33, vcc, v93, v33, vcc
	v_lshlrev_b64 v[36:37], 2, v[36:37]
	v_add_u32_e32 v38, s79, v90
	v_add_co_u32_e32 v36, vcc, s6, v36
	v_ashrrev_i32_e32 v39, 31, v38
	v_addc_co_u32_e32 v37, vcc, v93, v37, vcc
	v_lshlrev_b64 v[38:39], 2, v[38:39]
	v_add_u32_e32 v40, s80, v90
	v_add_co_u32_e32 v38, vcc, s6, v38
	v_ashrrev_i32_e32 v41, 31, v40
	v_addc_co_u32_e32 v39, vcc, v93, v39, vcc
	v_lshlrev_b64 v[40:41], 2, v[40:41]
	v_add_u32_e32 v42, s81, v90
	v_add_co_u32_e32 v40, vcc, s6, v40
	v_ashrrev_i32_e32 v43, 31, v42
	v_addc_co_u32_e32 v41, vcc, v93, v41, vcc
	v_lshlrev_b64 v[42:43], 2, v[42:43]
	v_add_u32_e32 v44, s82, v90
	v_add_co_u32_e32 v42, vcc, s6, v42
	v_ashrrev_i32_e32 v45, 31, v44
	v_addc_co_u32_e32 v43, vcc, v93, v43, vcc
	v_lshlrev_b64 v[44:45], 2, v[44:45]
	v_add_co_u32_e32 v44, vcc, s6, v44
	v_addc_co_u32_e32 v45, vcc, v93, v45, vcc
	global_load_dword v70, v[28:29], off
	global_load_dword v71, v[30:31], off
	global_load_dword v72, v[32:33], off
	global_load_dword v73, v[36:37], off
	global_load_dword v74, v[38:39], off
	global_load_dword v75, v[40:41], off
	global_load_dword v76, v[42:43], off
	global_load_dword v77, v[44:45], off
	v_add_u32_e32 v28, s83, v90
	v_ashrrev_i32_e32 v29, 31, v28
	v_lshlrev_b64 v[28:29], 2, v[28:29]
	v_add_u32_e32 v30, s84, v90
	v_add_co_u32_e32 v28, vcc, s6, v28
	v_ashrrev_i32_e32 v31, 31, v30
	v_addc_co_u32_e32 v29, vcc, v93, v29, vcc
	v_lshlrev_b64 v[30:31], 2, v[30:31]
	v_add_u32_e32 v32, s85, v90
	v_add_co_u32_e32 v30, vcc, s6, v30
	v_ashrrev_i32_e32 v33, 31, v32
	v_addc_co_u32_e32 v31, vcc, v93, v31, vcc
	v_lshlrev_b64 v[32:33], 2, v[32:33]
	v_add_u32_e32 v36, s86, v90
	v_add_co_u32_e32 v32, vcc, s6, v32
	v_ashrrev_i32_e32 v37, 31, v36
	v_addc_co_u32_e32 v33, vcc, v93, v33, vcc
	v_lshlrev_b64 v[36:37], 2, v[36:37]
	v_add_u32_e32 v38, s87, v90
	v_add_co_u32_e32 v36, vcc, s6, v36
	v_ashrrev_i32_e32 v39, 31, v38
	v_addc_co_u32_e32 v37, vcc, v93, v37, vcc
	v_lshlrev_b64 v[38:39], 2, v[38:39]
	v_add_u32_e32 v40, s88, v90
	v_add_co_u32_e32 v38, vcc, s6, v38
	v_ashrrev_i32_e32 v41, 31, v40
	v_addc_co_u32_e32 v39, vcc, v93, v39, vcc
	v_lshlrev_b64 v[40:41], 2, v[40:41]
	v_add_u32_e32 v42, s89, v90
	v_add_co_u32_e32 v40, vcc, s6, v40
	v_ashrrev_i32_e32 v43, 31, v42
	v_addc_co_u32_e32 v41, vcc, v93, v41, vcc
	v_lshlrev_b64 v[42:43], 2, v[42:43]
	v_add_u32_e32 v44, s90, v90
	v_add_co_u32_e32 v42, vcc, s6, v42
	v_ashrrev_i32_e32 v45, 31, v44
	v_addc_co_u32_e32 v43, vcc, v93, v43, vcc
	v_lshlrev_b64 v[44:45], 2, v[44:45]
	v_add_co_u32_e32 v44, vcc, s6, v44
	v_addc_co_u32_e32 v45, vcc, v93, v45, vcc
	global_load_dword v78, v[28:29], off
	global_load_dword v79, v[30:31], off
	;; [unrolled: 1-line block ×8, first 2 shown]
	v_add_u32_e32 v28, s91, v90
	v_ashrrev_i32_e32 v29, 31, v28
	v_lshlrev_b64 v[28:29], 2, v[28:29]
	v_add_u32_e32 v30, s5, v90
	v_add_co_u32_e32 v28, vcc, s6, v28
	v_ashrrev_i32_e32 v31, 31, v30
	v_addc_co_u32_e32 v29, vcc, v93, v29, vcc
	v_lshlrev_b64 v[30:31], 2, v[30:31]
	v_add_u32_e32 v32, s92, v90
	v_add_co_u32_e32 v30, vcc, s6, v30
	v_ashrrev_i32_e32 v33, 31, v32
	v_addc_co_u32_e32 v31, vcc, v93, v31, vcc
	;; [unrolled: 5-line block ×5, first 2 shown]
	v_lshlrev_b64 v[40:41], 2, v[40:41]
	v_add_co_u32_e32 v40, vcc, s6, v40
	v_addc_co_u32_e32 v41, vcc, v93, v41, vcc
	global_load_dword v98, v[28:29], off
	global_load_dword v99, v[30:31], off
	;; [unrolled: 1-line block ×6, first 2 shown]
	s_waitcnt vmcnt(54)
	ds_write_b32 v91, v20 offset:2376
	s_waitcnt vmcnt(53)
	ds_write_b32 v91, v21 offset:2640
	;; [unrolled: 2-line block ×7, first 2 shown]
	global_load_dwordx2 v[84:85], v[18:19], off
	ds_read_b64 v[36:37], v92
	ds_read_b64 v[32:33], v92 offset:32
	ds_read_b64 v[30:31], v92 offset:64
	ds_read_b64 v[28:29], v92 offset:96
	ds_read_b64 v[26:27], v92 offset:128
	ds_read_b64 v[24:25], v92 offset:160
	ds_read_b64 v[22:23], v92 offset:192
	ds_read_b64 v[20:21], v92 offset:224
	s_waitcnt vmcnt(48)
	ds_write_b32 v91, v34
	s_waitcnt vmcnt(47)
	ds_write_b32 v91, v35 offset:264
	s_waitcnt vmcnt(46)
	ds_write_b32 v91, v46 offset:528
	s_waitcnt vmcnt(45)
	ds_write_b32 v91, v47 offset:792
	s_waitcnt vmcnt(44)
	ds_write_b32 v91, v48 offset:1056
	s_waitcnt vmcnt(43)
	ds_write_b32 v91, v49 offset:1320
	s_waitcnt vmcnt(42)
	ds_write_b32 v91, v50 offset:1584
	s_waitcnt vmcnt(41)
	ds_write_b32 v91, v51 offset:1848
	s_waitcnt vmcnt(40)
	ds_write_b32 v91, v52 offset:2112
	s_waitcnt vmcnt(39)
	ds_write_b32 v91, v53 offset:2376
	s_waitcnt vmcnt(38)
	ds_write_b32 v91, v54 offset:2640
	s_waitcnt vmcnt(37)
	ds_write_b32 v91, v55 offset:2904
	s_waitcnt vmcnt(36)
	ds_write_b32 v91, v56 offset:3168
	s_waitcnt vmcnt(35)
	ds_write_b32 v91, v57 offset:3432
	s_waitcnt vmcnt(34)
	ds_write_b32 v91, v58 offset:3696
	s_waitcnt vmcnt(33)
	ds_write_b32 v91, v59 offset:3960
	ds_read_b64 v[54:55], v92
	ds_read_b64 v[52:53], v92 offset:32
	ds_read_b64 v[50:51], v92 offset:64
	ds_read_b64 v[48:49], v92 offset:96
	ds_read_b64 v[44:45], v92 offset:128
	ds_read_b64 v[42:43], v92 offset:160
	ds_read_b64 v[40:41], v92 offset:192
	ds_read_b64 v[34:35], v92 offset:224
	s_waitcnt vmcnt(32)
	ds_write_b32 v91, v60
	s_waitcnt vmcnt(31)
	ds_write_b32 v91, v61 offset:264
	s_waitcnt vmcnt(30)
	ds_write_b32 v91, v62 offset:528
	s_waitcnt vmcnt(29)
	ds_write_b32 v91, v63 offset:792
	s_waitcnt vmcnt(28)
	ds_write_b32 v91, v64 offset:1056
	s_waitcnt vmcnt(27)
	ds_write_b32 v91, v65 offset:1320
	s_waitcnt vmcnt(26)
	ds_write_b32 v91, v66 offset:1584
	s_waitcnt vmcnt(25)
	ds_write_b32 v91, v67 offset:1848
	s_waitcnt vmcnt(24)
	ds_write_b32 v91, v68 offset:2112
	s_waitcnt vmcnt(23)
	ds_write_b32 v91, v69 offset:2376
	s_waitcnt vmcnt(22)
	ds_write_b32 v91, v70 offset:2640
	s_waitcnt vmcnt(21)
	ds_write_b32 v91, v71 offset:2904
	s_waitcnt vmcnt(20)
	ds_write_b32 v91, v72 offset:3168
	s_waitcnt vmcnt(19)
	ds_write_b32 v91, v73 offset:3432
	s_waitcnt vmcnt(18)
	ds_write_b32 v91, v74 offset:3696
	s_waitcnt vmcnt(17)
	ds_write_b32 v91, v75 offset:3960
	;; [unrolled: 40-line block ×3, first 2 shown]
	ds_read_b64 v[82:83], v92
	ds_read_b64 v[80:81], v92 offset:32
	ds_read_b64 v[78:79], v92 offset:64
	;; [unrolled: 1-line block ×7, first 2 shown]
	s_waitcnt vmcnt(0)
	v_and_b32_e32 v96, 0x7f800000, v84
	v_cmp_ne_u32_e32 vcc, s95, v96
                                        ; implicit-def: $vgpr96
	s_and_saveexec_b64 s[16:17], vcc
	s_xor_b64 s[16:17], exec, s[16:17]
; %bb.6:                                ;   in Loop: Header=BB143_5 Depth=1
	v_bfe_u32 v96, v84, 16, 1
	v_add3_u32 v96, v84, v96, s10
; %bb.7:                                ;   in Loop: Header=BB143_5 Depth=1
	s_andn2_saveexec_b64 s[16:17], s[16:17]
; %bb.8:                                ;   in Loop: Header=BB143_5 Depth=1
	v_or_b32_e32 v96, 0x10000, v84
	v_cmp_eq_u32_sdwa vcc, v84, v94 src0_sel:WORD_0 src1_sel:DWORD
	v_cndmask_b32_e32 v96, v96, v84, vcc
; %bb.9:                                ;   in Loop: Header=BB143_5 Depth=1
	s_or_b64 exec, exec, s[16:17]
	v_and_b32_e32 v84, 0x7f800000, v85
	v_cmp_ne_u32_e32 vcc, s95, v84
                                        ; implicit-def: $vgpr97
	s_and_saveexec_b64 s[16:17], vcc
	s_xor_b64 s[16:17], exec, s[16:17]
; %bb.10:                               ;   in Loop: Header=BB143_5 Depth=1
	v_bfe_u32 v84, v85, 16, 1
	v_add3_u32 v97, v85, v84, s10
                                        ; implicit-def: $vgpr84_vgpr85
; %bb.11:                               ;   in Loop: Header=BB143_5 Depth=1
	s_andn2_saveexec_b64 s[16:17], s[16:17]
; %bb.12:                               ;   in Loop: Header=BB143_5 Depth=1
	v_or_b32_e32 v84, 0x10000, v85
	v_cmp_eq_u32_sdwa vcc, v85, v94 src0_sel:WORD_0 src1_sel:DWORD
	v_cndmask_b32_e32 v97, v84, v85, vcc
; %bb.13:                               ;   in Loop: Header=BB143_5 Depth=1
	s_or_b64 exec, exec, s[16:17]
	v_mov_b32_e32 v85, s13
	v_add_co_u32_e32 v84, vcc, s12, v18
	v_addc_co_u32_e32 v85, vcc, v19, v85, vcc
	global_load_dwordx2 v[84:85], v[84:85], off
	v_perm_b32 v96, v97, v96, s11
	ds_write_b32 v91, v96
	s_waitcnt vmcnt(0)
	v_and_b32_e32 v96, 0x7f800000, v84
	v_cmp_ne_u32_e32 vcc, s95, v96
                                        ; implicit-def: $vgpr96
	s_and_saveexec_b64 s[16:17], vcc
	s_xor_b64 s[16:17], exec, s[16:17]
; %bb.14:                               ;   in Loop: Header=BB143_5 Depth=1
	v_bfe_u32 v96, v84, 16, 1
	v_add3_u32 v96, v84, v96, s10
; %bb.15:                               ;   in Loop: Header=BB143_5 Depth=1
	s_andn2_saveexec_b64 s[16:17], s[16:17]
; %bb.16:                               ;   in Loop: Header=BB143_5 Depth=1
	v_or_b32_e32 v96, 0x10000, v84
	v_cmp_eq_u32_sdwa vcc, v84, v94 src0_sel:WORD_0 src1_sel:DWORD
	v_cndmask_b32_e32 v96, v96, v84, vcc
; %bb.17:                               ;   in Loop: Header=BB143_5 Depth=1
	s_or_b64 exec, exec, s[16:17]
	v_and_b32_e32 v84, 0x7f800000, v85
	v_cmp_ne_u32_e32 vcc, s95, v84
                                        ; implicit-def: $vgpr97
	s_and_saveexec_b64 s[16:17], vcc
	s_xor_b64 s[16:17], exec, s[16:17]
; %bb.18:                               ;   in Loop: Header=BB143_5 Depth=1
	v_bfe_u32 v84, v85, 16, 1
	v_add3_u32 v97, v85, v84, s10
                                        ; implicit-def: $vgpr84_vgpr85
; %bb.19:                               ;   in Loop: Header=BB143_5 Depth=1
	s_andn2_saveexec_b64 s[16:17], s[16:17]
; %bb.20:                               ;   in Loop: Header=BB143_5 Depth=1
	v_or_b32_e32 v84, 0x10000, v85
	v_cmp_eq_u32_sdwa vcc, v85, v94 src0_sel:WORD_0 src1_sel:DWORD
	v_cndmask_b32_e32 v97, v84, v85, vcc
; %bb.21:                               ;   in Loop: Header=BB143_5 Depth=1
	s_or_b64 exec, exec, s[16:17]
	v_add_u32_e32 v84, s21, v90
	v_ashrrev_i32_e32 v85, 31, v84
	v_lshlrev_b64 v[84:85], 3, v[84:85]
	v_mov_b32_e32 v98, s18
	v_add_co_u32_e32 v84, vcc, s14, v84
	v_addc_co_u32_e32 v85, vcc, v98, v85, vcc
	global_load_dwordx2 v[84:85], v[84:85], off
	v_perm_b32 v96, v97, v96, s11
	ds_write_b32 v91, v96 offset:264
	s_waitcnt vmcnt(0)
	v_and_b32_e32 v96, 0x7f800000, v84
	v_cmp_ne_u32_e32 vcc, s95, v96
                                        ; implicit-def: $vgpr96
	s_and_saveexec_b64 s[16:17], vcc
	s_xor_b64 s[16:17], exec, s[16:17]
; %bb.22:                               ;   in Loop: Header=BB143_5 Depth=1
	v_bfe_u32 v96, v84, 16, 1
	v_add3_u32 v96, v84, v96, s10
; %bb.23:                               ;   in Loop: Header=BB143_5 Depth=1
	s_andn2_saveexec_b64 s[16:17], s[16:17]
; %bb.24:                               ;   in Loop: Header=BB143_5 Depth=1
	v_or_b32_e32 v96, 0x10000, v84
	v_cmp_eq_u32_sdwa vcc, v84, v94 src0_sel:WORD_0 src1_sel:DWORD
	v_cndmask_b32_e32 v96, v96, v84, vcc
; %bb.25:                               ;   in Loop: Header=BB143_5 Depth=1
	s_or_b64 exec, exec, s[16:17]
	v_and_b32_e32 v84, 0x7f800000, v85
	v_cmp_ne_u32_e32 vcc, s95, v84
                                        ; implicit-def: $vgpr97
	s_and_saveexec_b64 s[16:17], vcc
	s_xor_b64 s[16:17], exec, s[16:17]
; %bb.26:                               ;   in Loop: Header=BB143_5 Depth=1
	v_bfe_u32 v84, v85, 16, 1
	v_add3_u32 v97, v85, v84, s10
                                        ; implicit-def: $vgpr84_vgpr85
; %bb.27:                               ;   in Loop: Header=BB143_5 Depth=1
	s_andn2_saveexec_b64 s[16:17], s[16:17]
; %bb.28:                               ;   in Loop: Header=BB143_5 Depth=1
	v_or_b32_e32 v84, 0x10000, v85
	v_cmp_eq_u32_sdwa vcc, v85, v94 src0_sel:WORD_0 src1_sel:DWORD
	v_cndmask_b32_e32 v97, v84, v85, vcc
; %bb.29:                               ;   in Loop: Header=BB143_5 Depth=1
	s_or_b64 exec, exec, s[16:17]
	v_add_u32_e32 v84, s22, v90
	v_ashrrev_i32_e32 v85, 31, v84
	v_lshlrev_b64 v[84:85], 3, v[84:85]
	v_mov_b32_e32 v98, s18
	v_add_co_u32_e32 v84, vcc, s14, v84
	v_addc_co_u32_e32 v85, vcc, v98, v85, vcc
	global_load_dwordx2 v[84:85], v[84:85], off
	v_perm_b32 v96, v97, v96, s11
	ds_write_b32 v91, v96 offset:528
	;; [unrolled: 43-line block ×10, first 2 shown]
	s_waitcnt vmcnt(0)
	v_and_b32_e32 v96, 0x7f800000, v84
	v_cmp_ne_u32_e32 vcc, s95, v96
                                        ; implicit-def: $vgpr96
	s_and_saveexec_b64 s[16:17], vcc
	s_xor_b64 s[16:17], exec, s[16:17]
; %bb.94:                               ;   in Loop: Header=BB143_5 Depth=1
	v_bfe_u32 v96, v84, 16, 1
	v_add3_u32 v96, v84, v96, s10
; %bb.95:                               ;   in Loop: Header=BB143_5 Depth=1
	s_andn2_saveexec_b64 s[16:17], s[16:17]
; %bb.96:                               ;   in Loop: Header=BB143_5 Depth=1
	v_or_b32_e32 v96, 0x10000, v84
	v_cmp_eq_u32_sdwa vcc, v84, v94 src0_sel:WORD_0 src1_sel:DWORD
	v_cndmask_b32_e32 v96, v96, v84, vcc
; %bb.97:                               ;   in Loop: Header=BB143_5 Depth=1
	s_or_b64 exec, exec, s[16:17]
	v_and_b32_e32 v84, 0x7f800000, v85
	v_cmp_ne_u32_e32 vcc, s95, v84
                                        ; implicit-def: $vgpr97
	s_and_saveexec_b64 s[16:17], vcc
	s_xor_b64 s[16:17], exec, s[16:17]
; %bb.98:                               ;   in Loop: Header=BB143_5 Depth=1
	v_bfe_u32 v84, v85, 16, 1
	v_add3_u32 v97, v85, v84, s10
                                        ; implicit-def: $vgpr84_vgpr85
; %bb.99:                               ;   in Loop: Header=BB143_5 Depth=1
	s_andn2_saveexec_b64 s[16:17], s[16:17]
; %bb.100:                              ;   in Loop: Header=BB143_5 Depth=1
	v_or_b32_e32 v84, 0x10000, v85
	v_cmp_eq_u32_sdwa vcc, v85, v94 src0_sel:WORD_0 src1_sel:DWORD
	v_cndmask_b32_e32 v97, v84, v85, vcc
; %bb.101:                              ;   in Loop: Header=BB143_5 Depth=1
	s_or_b64 exec, exec, s[16:17]
	v_add_u32_e32 v84, s34, v90
	v_ashrrev_i32_e32 v85, 31, v84
	v_lshlrev_b64 v[84:85], 3, v[84:85]
	v_mov_b32_e32 v98, s18
	v_add_co_u32_e32 v84, vcc, s14, v84
	v_addc_co_u32_e32 v85, vcc, v98, v85, vcc
	global_load_dwordx2 v[84:85], v[84:85], off
	v_perm_b32 v96, v97, v96, s11
	ds_write_b32 v91, v96 offset:2904
	s_waitcnt vmcnt(0)
	v_and_b32_e32 v96, 0x7f800000, v84
	v_cmp_ne_u32_e32 vcc, s95, v96
                                        ; implicit-def: $vgpr96
	s_and_saveexec_b64 s[16:17], vcc
	s_xor_b64 s[16:17], exec, s[16:17]
; %bb.102:                              ;   in Loop: Header=BB143_5 Depth=1
	v_bfe_u32 v96, v84, 16, 1
	v_add3_u32 v96, v84, v96, s10
; %bb.103:                              ;   in Loop: Header=BB143_5 Depth=1
	s_andn2_saveexec_b64 s[16:17], s[16:17]
; %bb.104:                              ;   in Loop: Header=BB143_5 Depth=1
	v_or_b32_e32 v96, 0x10000, v84
	v_cmp_eq_u32_sdwa vcc, v84, v94 src0_sel:WORD_0 src1_sel:DWORD
	v_cndmask_b32_e32 v96, v96, v84, vcc
; %bb.105:                              ;   in Loop: Header=BB143_5 Depth=1
	s_or_b64 exec, exec, s[16:17]
	v_and_b32_e32 v84, 0x7f800000, v85
	v_cmp_ne_u32_e32 vcc, s95, v84
                                        ; implicit-def: $vgpr97
	s_and_saveexec_b64 s[16:17], vcc
	s_xor_b64 s[16:17], exec, s[16:17]
; %bb.106:                              ;   in Loop: Header=BB143_5 Depth=1
	v_bfe_u32 v84, v85, 16, 1
	v_add3_u32 v97, v85, v84, s10
                                        ; implicit-def: $vgpr84_vgpr85
; %bb.107:                              ;   in Loop: Header=BB143_5 Depth=1
	s_andn2_saveexec_b64 s[16:17], s[16:17]
	s_cbranch_execz .LBB143_4
; %bb.108:                              ;   in Loop: Header=BB143_5 Depth=1
	v_or_b32_e32 v84, 0x10000, v85
	v_cmp_eq_u32_sdwa vcc, v85, v94 src0_sel:WORD_0 src1_sel:DWORD
	v_cndmask_b32_e32 v97, v84, v85, vcc
	s_branch .LBB143_4
.LBB143_109:
	s_or_b64 exec, exec, s[0:1]
	v_readlane_b32 s10, v104, 0
	v_readlane_b32 s11, v104, 1
.LBB143_110:
	s_or_b64 exec, exec, s[24:25]
	v_mul_u32_u24_e32 v16, 0x708, v89
	v_lshlrev_b32_e32 v17, 2, v88
	v_add3_u32 v16, 0, v16, v17
	v_and_b32_e32 v17, 0x3f0, v87
	s_mul_hi_i32 s1, s19, s8
	s_mul_i32 s0, s19, s8
	v_add_u32_e32 v17, v16, v17
	s_lshl_b64 s[0:1], s[0:1], 2
	s_waitcnt lgkmcnt(0)
	s_barrier
	ds_write2_b32 v17, v4, v5 offset1:1
	ds_write_b32 v17, v6 offset:8
	v_or_b32_e32 v4, 12, v87
	s_mul_i32 s4, s7, s15
	s_add_u32 s6, s10, s0
	v_and_b32_e32 v4, 0x3fc, v4
	s_addc_u32 s7, s11, s1
	s_ashr_i32 s5, s4, 31
	v_add_u32_e32 v4, v16, v4
	s_lshl_b64 s[0:1], s[4:5], 2
	s_movk_i32 s4, 0x708
	ds_write_b32 v4, v7
	ds_write2_b32 v17, v0, v1 offset0:16 offset1:17
	ds_write_b32 v17, v2 offset:72
	ds_write_b32 v4, v3 offset:64
	ds_write2_b32 v17, v8, v9 offset0:32 offset1:33
	ds_write_b32 v17, v10 offset:136
	ds_write_b32 v4, v11 offset:128
	;; [unrolled: 3-line block ×3, first 2 shown]
	v_lshl_add_u32 v2, v87, 2, 0
	v_mad_u32_u24 v3, v86, s4, v2
	s_waitcnt lgkmcnt(0)
	s_barrier
	ds_read2st64_b32 v[0:1], v3 offset1:1
	ds_read2st64_b32 v[4:5], v3 offset0:2 offset1:3
	ds_read2st64_b32 v[6:7], v3 offset0:4 offset1:5
	ds_read_b32 v3, v3 offset:1536
	s_add_u32 s0, s6, s0
	s_addc_u32 s1, s7, s1
	s_waitcnt lgkmcnt(3)
	v_add_f32_e32 v0, 0, v0
	v_add_f32_e32 v0, v0, v1
	s_waitcnt lgkmcnt(2)
	v_add_f32_e32 v0, v0, v4
	v_add_f32_e32 v0, v0, v5
	;; [unrolled: 3-line block ×3, first 2 shown]
	s_waitcnt lgkmcnt(0)
	v_add_f32_e32 v3, v0, v3
	v_mul_lo_u32 v0, v86, s2
	v_add3_u32 v0, s3, v87, v0
	v_mov_b32_e32 v1, 0
	v_lshlrev_b64 v[4:5], 2, v[0:1]
	v_mov_b32_e32 v6, s1
	v_add_co_u32_e32 v4, vcc, s0, v4
	v_addc_co_u32_e32 v5, vcc, v6, v5, vcc
	v_cmp_gt_u32_e32 vcc, 6, v86
	global_store_dword v[4:5], v3, off
	s_and_saveexec_b64 s[4:5], vcc
	s_cbranch_execz .LBB143_112
; %bb.111:
	v_mul_u32_u24_e32 v3, 0x708, v86
	v_add_u32_e32 v6, v3, v2
	v_add_u32_e32 v7, 56, v6
	ds_read2st64_b32 v[2:3], v7 offset0:49 offset1:50
	ds_read2st64_b32 v[4:5], v7 offset0:51 offset1:52
	ds_read_b32 v8, v6 offset:14136
	ds_read2st64_b32 v[6:7], v7 offset0:53 offset1:54
	s_waitcnt lgkmcnt(3)
	v_add_f32_e32 v2, 0, v2
	v_add_f32_e32 v2, v2, v3
	s_waitcnt lgkmcnt(2)
	v_add_f32_e32 v2, v2, v4
	v_add_f32_e32 v2, v2, v5
	;; [unrolled: 3-line block ×3, first 2 shown]
	v_add_f32_e32 v4, v2, v8
	v_mad_u64_u32 v[2:3], s[2:3], s2, 7, v[0:1]
	v_mov_b32_e32 v3, v1
	v_lshlrev_b64 v[0:1], 2, v[2:3]
	v_mov_b32_e32 v2, s1
	v_add_co_u32_e32 v0, vcc, s0, v0
	v_addc_co_u32_e32 v1, vcc, v2, v1, vcc
	global_store_dword v[0:1], v4, off
.LBB143_112:
	s_endpgm
	.section	.rodata,"a",@progbits
	.p2align	6, 0x0
	.amdhsa_kernel _ZL9mul_mat_fI15__hip_bfloat162Li64ELi13ELi7ELb0EEvPKT_PKfPKiPfiiiiiiiiiiiiiiii
		.amdhsa_group_segment_fixed_size 0
		.amdhsa_private_segment_fixed_size 0
		.amdhsa_kernarg_size 96
		.amdhsa_user_sgpr_count 6
		.amdhsa_user_sgpr_private_segment_buffer 1
		.amdhsa_user_sgpr_dispatch_ptr 0
		.amdhsa_user_sgpr_queue_ptr 0
		.amdhsa_user_sgpr_kernarg_segment_ptr 1
		.amdhsa_user_sgpr_dispatch_id 0
		.amdhsa_user_sgpr_flat_scratch_init 0
		.amdhsa_user_sgpr_kernarg_preload_length 0
		.amdhsa_user_sgpr_kernarg_preload_offset 0
		.amdhsa_user_sgpr_private_segment_size 0
		.amdhsa_uses_dynamic_stack 0
		.amdhsa_system_sgpr_private_segment_wavefront_offset 0
		.amdhsa_system_sgpr_workgroup_id_x 1
		.amdhsa_system_sgpr_workgroup_id_y 1
		.amdhsa_system_sgpr_workgroup_id_z 1
		.amdhsa_system_sgpr_workgroup_info 0
		.amdhsa_system_vgpr_workitem_id 1
		.amdhsa_next_free_vgpr 105
		.amdhsa_next_free_sgpr 96
		.amdhsa_accum_offset 108
		.amdhsa_reserve_vcc 1
		.amdhsa_reserve_flat_scratch 0
		.amdhsa_float_round_mode_32 0
		.amdhsa_float_round_mode_16_64 0
		.amdhsa_float_denorm_mode_32 3
		.amdhsa_float_denorm_mode_16_64 3
		.amdhsa_dx10_clamp 1
		.amdhsa_ieee_mode 1
		.amdhsa_fp16_overflow 0
		.amdhsa_tg_split 0
		.amdhsa_exception_fp_ieee_invalid_op 0
		.amdhsa_exception_fp_denorm_src 0
		.amdhsa_exception_fp_ieee_div_zero 0
		.amdhsa_exception_fp_ieee_overflow 0
		.amdhsa_exception_fp_ieee_underflow 0
		.amdhsa_exception_fp_ieee_inexact 0
		.amdhsa_exception_int_div_zero 0
	.end_amdhsa_kernel
	.section	.text._ZL9mul_mat_fI15__hip_bfloat162Li64ELi13ELi7ELb0EEvPKT_PKfPKiPfiiiiiiiiiiiiiiii,"axG",@progbits,_ZL9mul_mat_fI15__hip_bfloat162Li64ELi13ELi7ELb0EEvPKT_PKfPKiPfiiiiiiiiiiiiiiii,comdat
.Lfunc_end143:
	.size	_ZL9mul_mat_fI15__hip_bfloat162Li64ELi13ELi7ELb0EEvPKT_PKfPKiPfiiiiiiiiiiiiiiii, .Lfunc_end143-_ZL9mul_mat_fI15__hip_bfloat162Li64ELi13ELi7ELb0EEvPKT_PKfPKiPfiiiiiiiiiiiiiiii
                                        ; -- End function
	.section	.AMDGPU.csdata,"",@progbits
; Kernel info:
; codeLenInByte = 7372
; NumSgprs: 100
; NumVgprs: 105
; NumAgprs: 0
; TotalNumVgprs: 105
; ScratchSize: 0
; MemoryBound: 0
; FloatMode: 240
; IeeeMode: 1
; LDSByteSize: 0 bytes/workgroup (compile time only)
; SGPRBlocks: 12
; VGPRBlocks: 13
; NumSGPRsForWavesPerEU: 100
; NumVGPRsForWavesPerEU: 105
; AccumOffset: 108
; Occupancy: 4
; WaveLimiterHint : 0
; COMPUTE_PGM_RSRC2:SCRATCH_EN: 0
; COMPUTE_PGM_RSRC2:USER_SGPR: 6
; COMPUTE_PGM_RSRC2:TRAP_HANDLER: 0
; COMPUTE_PGM_RSRC2:TGID_X_EN: 1
; COMPUTE_PGM_RSRC2:TGID_Y_EN: 1
; COMPUTE_PGM_RSRC2:TGID_Z_EN: 1
; COMPUTE_PGM_RSRC2:TIDIG_COMP_CNT: 1
; COMPUTE_PGM_RSRC3_GFX90A:ACCUM_OFFSET: 26
; COMPUTE_PGM_RSRC3_GFX90A:TG_SPLIT: 0
	.section	.text._ZL13mul_mat_f_idsI15__hip_bfloat162Li64ELi13ELi8EEvPKT_PKfPKiS7_S7_Pfiiiiiiiiiiiiii15HIP_vector_typeIjLj3EESA_,"axG",@progbits,_ZL13mul_mat_f_idsI15__hip_bfloat162Li64ELi13ELi8EEvPKT_PKfPKiS7_S7_Pfiiiiiiiiiiiiii15HIP_vector_typeIjLj3EESA_,comdat
	.globl	_ZL13mul_mat_f_idsI15__hip_bfloat162Li64ELi13ELi8EEvPKT_PKfPKiS7_S7_Pfiiiiiiiiiiiiii15HIP_vector_typeIjLj3EESA_ ; -- Begin function _ZL13mul_mat_f_idsI15__hip_bfloat162Li64ELi13ELi8EEvPKT_PKfPKiS7_S7_Pfiiiiiiiiiiiiii15HIP_vector_typeIjLj3EESA_
	.p2align	8
	.type	_ZL13mul_mat_f_idsI15__hip_bfloat162Li64ELi13ELi8EEvPKT_PKfPKiS7_S7_Pfiiiiiiiiiiiiii15HIP_vector_typeIjLj3EESA_,@function
_ZL13mul_mat_f_idsI15__hip_bfloat162Li64ELi13ELi8EEvPKT_PKfPKiS7_S7_Pfiiiiiiiiiiiiii15HIP_vector_typeIjLj3EESA_: ; @_ZL13mul_mat_f_idsI15__hip_bfloat162Li64ELi13ELi8EEvPKT_PKfPKiS7_S7_Pfiiiiiiiiiiiiii15HIP_vector_typeIjLj3EESA_
; %bb.0:
	s_load_dwordx2 s[0:1], s[4:5], 0x20
	s_mov_b32 s34, s7
	s_ashr_i32 s35, s7, 31
	s_lshl_b64 s[2:3], s[34:35], 2
	s_waitcnt lgkmcnt(0)
	s_add_u32 s0, s0, s2
	s_addc_u32 s1, s1, s3
	s_load_dwordx2 s[26:27], s[0:1], 0x0
	s_waitcnt lgkmcnt(0)
	s_sub_i32 s33, s27, s26
	s_add_i32 s0, s33, 12
	s_mul_hi_i32 s0, s0, 0x4ec4ec4f
	s_lshr_b32 s1, s0, 31
	s_ashr_i32 s0, s0, 2
	s_add_i32 s0, s0, s1
	s_cmp_ge_i32 s8, s0
	s_cbranch_scc1 .LBB144_157
; %bb.1:
	v_bfe_u32 v108, v0, 10, 10
	v_lshlrev_b32_e32 v110, 6, v108
	v_and_b32_e32 v109, 0x3ff, v0
	s_load_dwordx4 s[12:15], s[4:5], 0x30
	s_load_dwordx2 s[20:21], s[4:5], 0x40
	s_load_dwordx4 s[0:3], s[4:5], 0x4c
	s_load_dwordx4 s[16:19], s[4:5], 0x68
	s_load_dwordx2 s[24:25], s[4:5], 0x78
	v_add_u32_e32 v112, v110, v109
	s_ashr_i32 s27, s26, 31
	s_waitcnt lgkmcnt(0)
	v_cmp_le_i32_e32 vcc, s12, v112
	v_and_b32_e32 v111, 15, v109
                                        ; implicit-def: $sgpr3
	s_and_saveexec_b64 s[10:11], vcc
	s_xor_b64 s[10:11], exec, s[10:11]
; %bb.2:
	v_and_b32_e32 v111, 15, v109
	s_mov_b32 s3, 0
                                        ; implicit-def: $vgpr112
; %bb.3:
	s_or_saveexec_b64 s[22:23], s[10:11]
	s_load_dwordx2 s[10:11], s[4:5], 0x18
                                        ; implicit-def: $vgpr119 : SGPR spill to VGPR lane
	s_lshl_b32 s28, s6, 6
	s_mul_i32 s6, s8, 13
	v_mov_b32_e32 v15, s3
	v_mov_b32_e32 v14, s3
	s_waitcnt lgkmcnt(0)
	v_writelane_b32 v119, s10, 0
	v_writelane_b32 v119, s11, 1
	s_load_dwordx2 s[10:11], s[4:5], 0x28
	v_mov_b32_e32 v13, s3
	v_mov_b32_e32 v12, s3
	;; [unrolled: 1-line block ×4, first 2 shown]
	s_waitcnt lgkmcnt(0)
	v_writelane_b32 v119, s10, 2
	v_writelane_b32 v119, s11, 3
	v_mov_b32_e32 v1, s3
	v_mov_b32_e32 v0, s3
	;; [unrolled: 1-line block ×10, first 2 shown]
	v_writelane_b32 v119, s22, 4
	v_writelane_b32 v119, s23, 5
	s_xor_b64 exec, exec, s[22:23]
	s_cbranch_execz .LBB144_150
; %bb.4:
	v_writelane_b32 v119, s24, 6
	v_writelane_b32 v119, s25, 7
	s_load_dwordx4 s[8:11], s[4:5], 0x0
	s_load_dwordx2 s[22:23], s[4:5], 0x10
	s_mul_i32 s4, s34, s0
	s_mul_i32 s24, s28, s15
	s_ashr_i32 s5, s4, 31
	s_ashr_i32 s25, s24, 31
	s_lshl_b64 s[24:25], s[24:25], 2
	s_lshl_b64 s[4:5], s[4:5], 2
	s_add_u32 s3, s4, s24
	s_addc_u32 s24, s5, s25
	v_writelane_b32 v119, s28, 8
	s_waitcnt lgkmcnt(0)
	s_add_u32 s0, s3, s8
	s_addc_u32 s25, s24, s9
	v_writelane_b32 v119, s26, 9
	s_lshl_b64 s[4:5], s[26:27], 2
	v_writelane_b32 v119, s27, 10
	s_add_u32 s26, s22, s4
	s_addc_u32 s27, s23, s5
	s_movk_i32 s4, 0x1080
	s_cmp_lt_i32 s6, s33
	v_mad_u32_u24 v0, v108, s4, 0
	s_cselect_b64 s[4:5], -1, 0
	s_ashr_i32 s7, s6, 31
	s_lshl_b64 s[22:23], s[6:7], 2
	s_add_u32 s34, s26, s22
	s_addc_u32 s35, s27, s23
	s_add_i32 s7, s6, 1
	s_cmp_lt_i32 s7, s33
	s_cselect_b64 s[36:37], -1, 0
	s_add_i32 s7, s6, 2
	s_cmp_lt_i32 s7, s33
	v_lshrrev_b32_e32 v3, 1, v109
	s_cselect_b64 s[38:39], -1, 0
	s_add_i32 s7, s6, 3
	v_lshlrev_b32_e32 v1, 2, v109
	v_mul_u32_u24_e32 v2, 0x108, v111
	v_and_b32_e32 v3, 0x1f8, v3
	s_cmp_lt_i32 s7, s33
	v_add_u32_e32 v113, v0, v1
	v_add3_u32 v114, v0, v2, v3
	s_cselect_b64 s[40:41], -1, 0
	s_add_i32 s7, s6, 4
	v_lshlrev_b32_e32 v0, 8, v108
	s_cmp_lt_i32 s7, s33
	v_add_co_u32_e32 v0, vcc, s3, v0
	s_mul_i32 s3, s15, 3
	s_cselect_b64 s[42:43], -1, 0
	s_add_i32 s7, s6, 5
	v_writelane_b32 v119, s3, 11
	s_mul_i32 s3, s15, 5
	s_cmp_lt_i32 s7, s33
	v_writelane_b32 v119, s3, 12
	s_mul_i32 s3, s15, 6
	s_cselect_b64 s[44:45], -1, 0
	s_add_i32 s7, s6, 6
	v_writelane_b32 v119, s3, 13
	s_mul_i32 s3, s15, 7
	s_cmp_lt_i32 s7, s33
	v_writelane_b32 v119, s3, 14
	;; [unrolled: 7-line block ×6, first 2 shown]
	s_mul_i32 s3, s15, 18
	s_cselect_b64 s[54:55], -1, 0
	s_add_i32 s7, s6, 11
	v_writelane_b32 v119, s3, 23
	s_mul_i32 s3, s15, 19
	s_cmp_lt_i32 s7, s33
	v_mov_b32_e32 v2, s24
	v_writelane_b32 v119, s3, 24
	s_mul_i32 s3, s15, 20
	s_cselect_b64 s[56:57], -1, 0
	s_add_i32 s7, s6, 12
	v_addc_co_u32_e32 v2, vcc, 0, v2, vcc
	v_writelane_b32 v119, s3, 25
	s_mul_i32 s3, s15, 21
	s_cmp_lt_i32 s7, s33
	v_add_co_u32_e32 v0, vcc, v0, v1
	v_writelane_b32 v119, s3, 26
	s_mul_i32 s3, s15, 22
	s_cselect_b64 s[58:59], -1, 0
	s_ashr_i32 s23, s15, 31
	s_mov_b32 s22, s15
	v_addc_co_u32_e32 v1, vcc, 0, v2, vcc
	v_writelane_b32 v119, s3, 27
	s_mul_i32 s3, s15, 23
	s_lshl_b64 s[60:61], s[22:23], 2
	v_mov_b32_e32 v2, s9
	v_add_co_u32_e32 v16, vcc, s8, v0
	v_writelane_b32 v119, s3, 28
	s_mul_i32 s3, s15, 24
	v_mov_b32_e32 v116, 0
	v_addc_co_u32_e32 v17, vcc, v2, v1, vcc
	s_lshl_b32 s7, s15, 1
	s_lshl_b32 s65, s15, 2
	s_lshl_b32 s69, s15, 3
	s_lshl_b32 s77, s15, 4
	v_writelane_b32 v119, s3, 29
	s_mul_i32 s86, s15, 25
	s_mul_i32 s87, s15, 26
	;; [unrolled: 1-line block ×5, first 2 shown]
	v_mov_b32_e32 v115, s25
	s_mul_i32 s91, s15, 30
	v_mov_b32_e32 v117, s61
	v_mov_b32_e32 v8, 0
	;; [unrolled: 1-line block ×17, first 2 shown]
	s_mul_i32 s61, s15, 31
	s_lshl_b32 s92, s15, 5
	s_mul_i32 s93, s15, 33
	s_mul_i32 s94, s15, 34
	;; [unrolled: 1-line block ×31, first 2 shown]
	s_mov_b32 s83, 0x7f800000
	s_movk_i32 s84, 0x7fff
	s_mov_b32 s85, 0x7060302
	s_mov_b64 s[8:9], 0
	s_branch .LBB144_6
.LBB144_5:                              ;   in Loop: Header=BB144_6 Depth=1
	s_or_b64 exec, exec, s[62:63]
	v_perm_b32 v82, v82, v84, s85
	v_add_u32_e32 v83, 0xc00, v113
	ds_write2_b32 v83, v82, v116 offset0:24 offset1:90
	ds_write2_b32 v83, v116, v116 offset0:156 offset1:222
	ds_read2_b64 v[82:85], v114 offset1:4
	v_add_co_u32_e32 v16, vcc, 0x800, v16
	v_add_u32_e32 v112, 0x200, v112
	s_waitcnt lgkmcnt(0)
	v_mfma_f32_16x16x16bf16_1k v[8:11], v[34:35], v[82:83], v[8:11]
	v_addc_co_u32_e32 v17, vcc, 0, v17, vcc
	v_cmp_le_i32_e32 vcc, s12, v112
	s_or_b64 s[8:9], vcc, s[8:9]
	v_mfma_f32_16x16x16bf16_1k v[4:7], v[50:51], v[82:83], v[4:7]
	v_mfma_f32_16x16x16bf16_1k v[0:3], v[64:65], v[82:83], v[0:3]
	;; [unrolled: 1-line block ×6, first 2 shown]
	ds_read2_b64 v[62:65], v114 offset0:8 offset1:12
	v_mfma_f32_16x16x16bf16_1k v[12:15], v[78:79], v[84:85], v[12:15]
	s_waitcnt lgkmcnt(0)
	v_mfma_f32_16x16x16bf16_1k v[8:11], v[28:29], v[62:63], v[8:11]
	v_mfma_f32_16x16x16bf16_1k v[4:7], v[44:45], v[62:63], v[4:7]
	;; [unrolled: 1-line block ×5, first 2 shown]
	ds_read2_b64 v[26:29], v114 offset0:16 offset1:20
	v_mfma_f32_16x16x16bf16_1k v[4:7], v[42:43], v[64:65], v[4:7]
	v_mfma_f32_16x16x16bf16_1k v[0:3], v[58:59], v[64:65], v[0:3]
	;; [unrolled: 1-line block ×3, first 2 shown]
	s_waitcnt lgkmcnt(0)
	v_mfma_f32_16x16x16bf16_1k v[8:11], v[24:25], v[26:27], v[8:11]
	v_mfma_f32_16x16x16bf16_1k v[4:7], v[40:41], v[26:27], v[4:7]
	;; [unrolled: 1-line block ×5, first 2 shown]
	ds_read2_b64 v[22:25], v114 offset0:24 offset1:28
	v_mfma_f32_16x16x16bf16_1k v[4:7], v[38:39], v[28:29], v[4:7]
	v_mfma_f32_16x16x16bf16_1k v[0:3], v[54:55], v[28:29], v[0:3]
	;; [unrolled: 1-line block ×3, first 2 shown]
	s_waitcnt lgkmcnt(0)
	v_mfma_f32_16x16x16bf16_1k v[8:11], v[20:21], v[22:23], v[8:11]
	v_mfma_f32_16x16x16bf16_1k v[4:7], v[36:37], v[22:23], v[4:7]
	;; [unrolled: 1-line block ×8, first 2 shown]
	s_andn2_b64 exec, exec, s[8:9]
	s_cbranch_execz .LBB144_149
.LBB144_6:                              ; =>This Inner Loop Header: Depth=1
	v_add_co_u32_e32 v18, vcc, s60, v16
	v_addc_co_u32_e32 v19, vcc, v17, v117, vcc
	global_load_dword v30, v[16:17], off
	global_load_dword v31, v[18:19], off
	v_add_u32_e32 v18, s7, v112
	v_ashrrev_i32_e32 v19, 31, v18
	v_readlane_b32 s62, v119, 11
	v_lshlrev_b64 v[18:19], 2, v[18:19]
	v_add_u32_e32 v20, s62, v112
	v_add_co_u32_e32 v18, vcc, s0, v18
	v_ashrrev_i32_e32 v21, 31, v20
	v_addc_co_u32_e32 v19, vcc, v115, v19, vcc
	v_lshlrev_b64 v[20:21], 2, v[20:21]
	v_add_u32_e32 v22, s65, v112
	v_add_co_u32_e32 v20, vcc, s0, v20
	v_ashrrev_i32_e32 v23, 31, v22
	v_readlane_b32 s62, v119, 12
	v_addc_co_u32_e32 v21, vcc, v115, v21, vcc
	v_lshlrev_b64 v[22:23], 2, v[22:23]
	v_add_u32_e32 v24, s62, v112
	v_add_co_u32_e32 v22, vcc, s0, v22
	v_ashrrev_i32_e32 v25, 31, v24
	v_readlane_b32 s62, v119, 13
	;; [unrolled: 6-line block ×3, first 2 shown]
	v_addc_co_u32_e32 v25, vcc, v115, v25, vcc
	v_lshlrev_b64 v[26:27], 2, v[26:27]
	v_add_u32_e32 v28, s62, v112
	v_add_co_u32_e32 v26, vcc, s0, v26
	v_ashrrev_i32_e32 v29, 31, v28
	v_addc_co_u32_e32 v27, vcc, v115, v27, vcc
	v_lshlrev_b64 v[28:29], 2, v[28:29]
	v_add_co_u32_e32 v28, vcc, s0, v28
	v_addc_co_u32_e32 v29, vcc, v115, v29, vcc
	global_load_dword v32, v[18:19], off
	global_load_dword v33, v[20:21], off
	;; [unrolled: 1-line block ×3, first 2 shown]
	s_nop 0
	global_load_dword v24, v[24:25], off
	s_nop 0
	global_load_dword v25, v[26:27], off
	;; [unrolled: 2-line block ×3, first 2 shown]
	v_add_u32_e32 v18, s69, v112
	v_readlane_b32 s62, v119, 15
	v_ashrrev_i32_e32 v19, 31, v18
	v_add_u32_e32 v20, s62, v112
	v_lshlrev_b64 v[18:19], 2, v[18:19]
	v_readlane_b32 s62, v119, 16
	v_ashrrev_i32_e32 v21, 31, v20
	v_add_co_u32_e32 v18, vcc, s0, v18
	v_add_u32_e32 v22, s62, v112
	v_lshlrev_b64 v[20:21], 2, v[20:21]
	v_addc_co_u32_e32 v19, vcc, v115, v19, vcc
	v_ashrrev_i32_e32 v23, 31, v22
	v_add_co_u32_e32 v20, vcc, s0, v20
	v_readlane_b32 s62, v119, 17
	v_lshlrev_b64 v[22:23], 2, v[22:23]
	v_addc_co_u32_e32 v21, vcc, v115, v21, vcc
	global_load_dword v18, v[18:19], off
	s_nop 0
	global_load_dword v19, v[20:21], off
	v_add_u32_e32 v20, s62, v112
	v_add_co_u32_e32 v22, vcc, s0, v22
	v_ashrrev_i32_e32 v21, 31, v20
	v_addc_co_u32_e32 v23, vcc, v115, v23, vcc
	v_lshlrev_b64 v[20:21], 2, v[20:21]
	v_readlane_b32 s62, v119, 18
	v_add_u32_e32 v58, s29, v112
	v_ashrrev_i32_e32 v59, 31, v58
	v_lshlrev_b64 v[58:59], 2, v[58:59]
	v_mov_b32_e32 v106, 0
	v_mov_b32_e32 v107, 0
	s_waitcnt vmcnt(9)
	ds_write_b32 v113, v30
	s_waitcnt vmcnt(8)
	ds_write_b32 v113, v31 offset:264
	s_waitcnt vmcnt(7)
	ds_write_b32 v113, v32 offset:528
	;; [unrolled: 2-line block ×7, first 2 shown]
	v_add_co_u32_e32 v24, vcc, s0, v20
	v_add_u32_e32 v20, s62, v112
	v_addc_co_u32_e32 v25, vcc, v115, v21, vcc
	v_ashrrev_i32_e32 v21, 31, v20
	v_lshlrev_b64 v[20:21], 2, v[20:21]
	v_readlane_b32 s62, v119, 19
	v_add_co_u32_e32 v26, vcc, s0, v20
	v_add_u32_e32 v20, s62, v112
	v_addc_co_u32_e32 v27, vcc, v115, v21, vcc
	v_ashrrev_i32_e32 v21, 31, v20
	v_lshlrev_b64 v[20:21], 2, v[20:21]
	v_readlane_b32 s62, v119, 20
	;; [unrolled: 6-line block ×3, first 2 shown]
	v_add_co_u32_e32 v30, vcc, s0, v20
	v_add_u32_e32 v20, s62, v112
	v_addc_co_u32_e32 v31, vcc, v115, v21, vcc
	v_ashrrev_i32_e32 v21, 31, v20
	v_lshlrev_b64 v[20:21], 2, v[20:21]
	v_add_co_u32_e32 v32, vcc, s0, v20
	v_add_u32_e32 v20, s77, v112
	v_addc_co_u32_e32 v33, vcc, v115, v21, vcc
	v_ashrrev_i32_e32 v21, 31, v20
	v_lshlrev_b64 v[20:21], 2, v[20:21]
	v_readlane_b32 s62, v119, 22
	v_add_co_u32_e32 v34, vcc, s0, v20
	v_add_u32_e32 v20, s62, v112
	v_addc_co_u32_e32 v35, vcc, v115, v21, vcc
	v_ashrrev_i32_e32 v21, 31, v20
	v_lshlrev_b64 v[20:21], 2, v[20:21]
	v_add_co_u32_e32 v36, vcc, s0, v20
	v_readlane_b32 s62, v119, 23
	v_addc_co_u32_e32 v37, vcc, v115, v21, vcc
	global_load_dword v20, v[22:23], off
	global_load_dword v21, v[24:25], off
	s_nop 0
	global_load_dword v22, v[26:27], off
	global_load_dword v23, v[28:29], off
	;; [unrolled: 1-line block ×4, first 2 shown]
	s_nop 0
	global_load_dword v32, v[34:35], off
	global_load_dword v33, v[36:37], off
	v_add_u32_e32 v26, s62, v112
	v_ashrrev_i32_e32 v27, 31, v26
	v_readlane_b32 s62, v119, 24
	v_lshlrev_b64 v[26:27], 2, v[26:27]
	v_add_u32_e32 v28, s62, v112
	v_add_co_u32_e32 v26, vcc, s0, v26
	v_ashrrev_i32_e32 v29, 31, v28
	v_readlane_b32 s62, v119, 25
	v_addc_co_u32_e32 v27, vcc, v115, v27, vcc
	v_lshlrev_b64 v[28:29], 2, v[28:29]
	v_add_u32_e32 v30, s62, v112
	v_add_co_u32_e32 v28, vcc, s0, v28
	v_ashrrev_i32_e32 v31, 31, v30
	v_readlane_b32 s62, v119, 26
	v_addc_co_u32_e32 v29, vcc, v115, v29, vcc
	;; [unrolled: 6-line block ×3, first 2 shown]
	v_lshlrev_b64 v[34:35], 2, v[34:35]
	v_add_u32_e32 v36, s62, v112
	v_add_co_u32_e32 v34, vcc, s0, v34
	v_ashrrev_i32_e32 v37, 31, v36
	v_addc_co_u32_e32 v35, vcc, v115, v35, vcc
	v_lshlrev_b64 v[36:37], 2, v[36:37]
	v_readlane_b32 s62, v119, 28
	v_add_co_u32_e32 v40, vcc, s0, v36
	v_add_u32_e32 v36, s62, v112
	v_addc_co_u32_e32 v41, vcc, v115, v37, vcc
	v_ashrrev_i32_e32 v37, 31, v36
	v_lshlrev_b64 v[36:37], 2, v[36:37]
	v_readlane_b32 s62, v119, 29
	v_add_co_u32_e32 v42, vcc, s0, v36
	v_add_u32_e32 v36, s62, v112
	v_addc_co_u32_e32 v43, vcc, v115, v37, vcc
	v_ashrrev_i32_e32 v37, 31, v36
	v_lshlrev_b64 v[36:37], 2, v[36:37]
	v_add_co_u32_e32 v44, vcc, s0, v36
	v_add_u32_e32 v36, s86, v112
	v_addc_co_u32_e32 v45, vcc, v115, v37, vcc
	v_ashrrev_i32_e32 v37, 31, v36
	v_lshlrev_b64 v[36:37], 2, v[36:37]
	v_add_co_u32_e32 v46, vcc, s0, v36
	v_addc_co_u32_e32 v47, vcc, v115, v37, vcc
	global_load_dword v36, v[26:27], off
	global_load_dword v37, v[28:29], off
	;; [unrolled: 1-line block ×4, first 2 shown]
	s_nop 0
	global_load_dword v40, v[40:41], off
	s_nop 0
	global_load_dword v41, v[42:43], off
	;; [unrolled: 2-line block ×3, first 2 shown]
	global_load_dword v43, v[46:47], off
	v_add_u32_e32 v26, s87, v112
	v_ashrrev_i32_e32 v27, 31, v26
	v_lshlrev_b64 v[26:27], 2, v[26:27]
	v_add_u32_e32 v28, s88, v112
	v_add_co_u32_e32 v26, vcc, s0, v26
	v_ashrrev_i32_e32 v29, 31, v28
	v_addc_co_u32_e32 v27, vcc, v115, v27, vcc
	v_lshlrev_b64 v[28:29], 2, v[28:29]
	v_add_u32_e32 v30, s89, v112
	v_add_co_u32_e32 v28, vcc, s0, v28
	v_ashrrev_i32_e32 v31, 31, v30
	v_addc_co_u32_e32 v29, vcc, v115, v29, vcc
	;; [unrolled: 5-line block ×4, first 2 shown]
	v_lshlrev_b64 v[44:45], 2, v[44:45]
	v_add_co_u32_e32 v48, vcc, s0, v44
	v_add_u32_e32 v44, s61, v112
	v_addc_co_u32_e32 v49, vcc, v115, v45, vcc
	v_ashrrev_i32_e32 v45, 31, v44
	v_lshlrev_b64 v[44:45], 2, v[44:45]
	v_add_co_u32_e32 v52, vcc, s0, v44
	v_add_u32_e32 v44, s92, v112
	v_addc_co_u32_e32 v53, vcc, v115, v45, vcc
	v_ashrrev_i32_e32 v45, 31, v44
	;; [unrolled: 5-line block ×3, first 2 shown]
	v_lshlrev_b64 v[44:45], 2, v[44:45]
	v_add_co_u32_e32 v56, vcc, s0, v44
	v_addc_co_u32_e32 v57, vcc, v115, v45, vcc
	global_load_dword v44, v[26:27], off
	global_load_dword v45, v[28:29], off
	;; [unrolled: 1-line block ×6, first 2 shown]
	s_nop 0
	global_load_dword v48, v[54:55], off
	global_load_dword v49, v[56:57], off
	v_add_u32_e32 v26, s94, v112
	v_ashrrev_i32_e32 v27, 31, v26
	v_lshlrev_b64 v[26:27], 2, v[26:27]
	v_add_u32_e32 v28, s95, v112
	v_add_co_u32_e32 v26, vcc, s0, v26
	v_ashrrev_i32_e32 v29, 31, v28
	v_addc_co_u32_e32 v27, vcc, v115, v27, vcc
	v_lshlrev_b64 v[28:29], 2, v[28:29]
	v_add_u32_e32 v30, s24, v112
	v_add_co_u32_e32 v28, vcc, s0, v28
	v_ashrrev_i32_e32 v31, 31, v30
	v_addc_co_u32_e32 v29, vcc, v115, v29, vcc
	;; [unrolled: 5-line block ×6, first 2 shown]
	v_lshlrev_b64 v[56:57], 2, v[56:57]
	v_add_co_u32_e32 v56, vcc, s0, v56
	v_addc_co_u32_e32 v57, vcc, v115, v57, vcc
	v_add_co_u32_e32 v58, vcc, s0, v58
	v_addc_co_u32_e32 v59, vcc, v115, v59, vcc
	global_load_dword v60, v[26:27], off
	global_load_dword v61, v[28:29], off
	;; [unrolled: 1-line block ×8, first 2 shown]
	v_add_u32_e32 v26, s3, v112
	v_ashrrev_i32_e32 v27, 31, v26
	v_lshlrev_b64 v[26:27], 2, v[26:27]
	v_add_u32_e32 v28, s30, v112
	v_add_co_u32_e32 v26, vcc, s0, v26
	v_ashrrev_i32_e32 v29, 31, v28
	v_addc_co_u32_e32 v27, vcc, v115, v27, vcc
	v_lshlrev_b64 v[28:29], 2, v[28:29]
	v_add_u32_e32 v30, s31, v112
	v_add_co_u32_e32 v28, vcc, s0, v28
	v_ashrrev_i32_e32 v31, 31, v30
	v_addc_co_u32_e32 v29, vcc, v115, v29, vcc
	;; [unrolled: 5-line block ×7, first 2 shown]
	v_lshlrev_b64 v[58:59], 2, v[58:59]
	v_add_co_u32_e32 v58, vcc, s0, v58
	v_addc_co_u32_e32 v59, vcc, v115, v59, vcc
	global_load_dword v68, v[26:27], off
	global_load_dword v69, v[28:29], off
	;; [unrolled: 1-line block ×8, first 2 shown]
	v_add_u32_e32 v26, s68, v112
	v_ashrrev_i32_e32 v27, 31, v26
	v_lshlrev_b64 v[26:27], 2, v[26:27]
	v_add_u32_e32 v28, s70, v112
	v_add_co_u32_e32 v26, vcc, s0, v26
	v_ashrrev_i32_e32 v29, 31, v28
	v_addc_co_u32_e32 v27, vcc, v115, v27, vcc
	v_lshlrev_b64 v[28:29], 2, v[28:29]
	v_add_u32_e32 v30, s71, v112
	v_add_co_u32_e32 v28, vcc, s0, v28
	v_ashrrev_i32_e32 v31, 31, v30
	v_addc_co_u32_e32 v29, vcc, v115, v29, vcc
	;; [unrolled: 5-line block ×7, first 2 shown]
	v_lshlrev_b64 v[58:59], 2, v[58:59]
	v_add_co_u32_e32 v58, vcc, s0, v58
	v_addc_co_u32_e32 v59, vcc, v115, v59, vcc
	global_load_dword v76, v[26:27], off
	global_load_dword v77, v[28:29], off
	global_load_dword v78, v[30:31], off
	global_load_dword v79, v[34:35], off
	global_load_dword v80, v[52:53], off
	global_load_dword v81, v[54:55], off
	global_load_dword v82, v[56:57], off
	global_load_dword v83, v[58:59], off
	v_add_u32_e32 v26, s78, v112
	v_ashrrev_i32_e32 v27, 31, v26
	v_lshlrev_b64 v[26:27], 2, v[26:27]
	v_add_u32_e32 v28, s79, v112
	v_add_co_u32_e32 v26, vcc, s0, v26
	v_ashrrev_i32_e32 v29, 31, v28
	v_addc_co_u32_e32 v27, vcc, v115, v27, vcc
	v_lshlrev_b64 v[28:29], 2, v[28:29]
	v_add_u32_e32 v30, s80, v112
	v_add_co_u32_e32 v28, vcc, s0, v28
	v_ashrrev_i32_e32 v31, 31, v30
	v_addc_co_u32_e32 v29, vcc, v115, v29, vcc
	;; [unrolled: 5-line block ×5, first 2 shown]
	v_lshlrev_b64 v[54:55], 2, v[54:55]
	v_add_co_u32_e32 v54, vcc, s0, v54
	v_addc_co_u32_e32 v55, vcc, v115, v55, vcc
	global_load_dword v84, v[26:27], off
	global_load_dword v85, v[28:29], off
	global_load_dword v86, v[30:31], off
	global_load_dword v87, v[34:35], off
	global_load_dword v88, v[52:53], off
	global_load_dword v89, v[54:55], off
	s_waitcnt vmcnt(55)
	ds_write_b32 v113, v18 offset:2112
	s_waitcnt vmcnt(54)
	ds_write_b32 v113, v19 offset:2376
	s_waitcnt vmcnt(53)
	ds_write_b32 v113, v20 offset:2640
	s_waitcnt vmcnt(52)
	ds_write_b32 v113, v21 offset:2904
	s_waitcnt vmcnt(51)
	ds_write_b32 v113, v22 offset:3168
	s_waitcnt vmcnt(50)
	ds_write_b32 v113, v23 offset:3432
	s_waitcnt vmcnt(49)
	ds_write_b32 v113, v24 offset:3696
	s_waitcnt vmcnt(48)
	ds_write_b32 v113, v25 offset:3960
	ds_read_b64 v[34:35], v114
	ds_read_b64 v[30:31], v114 offset:32
	ds_read_b64 v[28:29], v114 offset:64
	ds_read_b64 v[26:27], v114 offset:96
	ds_read_b64 v[24:25], v114 offset:128
	ds_read_b64 v[22:23], v114 offset:160
	ds_read_b64 v[20:21], v114 offset:192
	ds_read_b64 v[18:19], v114 offset:224
	s_waitcnt vmcnt(47)
	ds_write_b32 v113, v32
	s_waitcnt vmcnt(46)
	ds_write_b32 v113, v33 offset:264
	s_waitcnt vmcnt(45)
	ds_write_b32 v113, v36 offset:528
	s_waitcnt vmcnt(44)
	ds_write_b32 v113, v37 offset:792
	s_waitcnt vmcnt(43)
	ds_write_b32 v113, v38 offset:1056
	s_waitcnt vmcnt(42)
	ds_write_b32 v113, v39 offset:1320
	s_waitcnt vmcnt(41)
	ds_write_b32 v113, v40 offset:1584
	s_waitcnt vmcnt(40)
	ds_write_b32 v113, v41 offset:1848
	s_waitcnt vmcnt(39)
	ds_write_b32 v113, v42 offset:2112
	s_waitcnt vmcnt(38)
	ds_write_b32 v113, v43 offset:2376
	s_waitcnt vmcnt(37)
	ds_write_b32 v113, v44 offset:2640
	s_waitcnt vmcnt(36)
	ds_write_b32 v113, v45 offset:2904
	s_waitcnt vmcnt(35)
	ds_write_b32 v113, v46 offset:3168
	s_waitcnt vmcnt(34)
	ds_write_b32 v113, v47 offset:3432
	s_waitcnt vmcnt(33)
	ds_write_b32 v113, v50 offset:3696
	s_waitcnt vmcnt(32)
	ds_write_b32 v113, v51 offset:3960
	ds_read_b64 v[50:51], v114
	ds_read_b64 v[46:47], v114 offset:32
	ds_read_b64 v[44:45], v114 offset:64
	ds_read_b64 v[42:43], v114 offset:96
	ds_read_b64 v[40:41], v114 offset:128
	ds_read_b64 v[38:39], v114 offset:160
	ds_read_b64 v[36:37], v114 offset:192
	ds_read_b64 v[32:33], v114 offset:224
	s_waitcnt vmcnt(31)
	ds_write_b32 v113, v48
	s_waitcnt vmcnt(30)
	ds_write_b32 v113, v49 offset:264
	s_waitcnt vmcnt(29)
	ds_write_b32 v113, v60 offset:528
	s_waitcnt vmcnt(28)
	ds_write_b32 v113, v61 offset:792
	s_waitcnt vmcnt(27)
	ds_write_b32 v113, v62 offset:1056
	s_waitcnt vmcnt(26)
	ds_write_b32 v113, v63 offset:1320
	s_waitcnt vmcnt(25)
	ds_write_b32 v113, v64 offset:1584
	s_waitcnt vmcnt(24)
	ds_write_b32 v113, v65 offset:1848
	;; [unrolled: 40-line block ×3, first 2 shown]
	s_waitcnt vmcnt(7)
	ds_write_b32 v113, v82 offset:2112
	s_waitcnt vmcnt(6)
	ds_write_b32 v113, v83 offset:2376
	;; [unrolled: 2-line block ×8, first 2 shown]
	ds_read_b64 v[80:81], v114
	ds_read_b64 v[78:79], v114 offset:32
	ds_read_b64 v[76:77], v114 offset:64
	;; [unrolled: 1-line block ×7, first 2 shown]
	s_andn2_b64 vcc, exec, s[4:5]
	s_cbranch_vccnz .LBB144_9
; %bb.7:                                ;   in Loop: Header=BB144_6 Depth=1
	s_load_dword s62, s[34:35], 0x0
	v_mov_b32_e32 v107, 0
	v_mov_b32_e32 v106, 0
	s_waitcnt lgkmcnt(0)
	s_mul_hi_u32 s63, s62, s16
	s_add_i32 s63, s62, s63
	s_lshr_b32 s63, s63, s17
	s_cmp_ge_i32 s63, s13
	s_cbranch_scc1 .LBB144_9
; %bb.8:                                ;   in Loop: Header=BB144_6 Depth=1
	s_mul_i32 vcc_lo, s63, s18
	s_sub_i32 s62, s62, vcc_lo
	s_mul_i32 s63, s63, s20
	s_mul_i32 s62, s62, s1
	v_add_u32_e32 v82, s63, v112
	v_lshl_add_u32 v82, v82, 1, s62
	v_ashrrev_i32_e32 v83, 31, v82
	v_lshlrev_b64 v[82:83], 2, v[82:83]
	v_mov_b32_e32 v84, s11
	v_add_co_u32_e32 v82, vcc, s10, v82
	v_addc_co_u32_e32 v83, vcc, v84, v83, vcc
	global_load_dwordx2 v[106:107], v[82:83], off
.LBB144_9:                              ;   in Loop: Header=BB144_6 Depth=1
	s_andn2_b64 vcc, exec, s[36:37]
	v_mov_b32_e32 v100, 0
	v_mov_b32_e32 v104, 0
	v_mov_b32_e32 v105, 0
	s_cbranch_vccnz .LBB144_12
; %bb.10:                               ;   in Loop: Header=BB144_6 Depth=1
	s_load_dword s62, s[34:35], 0x4
	v_mov_b32_e32 v105, 0
	v_mov_b32_e32 v104, 0
	s_waitcnt lgkmcnt(0)
	s_mul_hi_u32 s63, s62, s16
	s_add_i32 s63, s62, s63
	s_lshr_b32 s63, s63, s17
	s_cmp_ge_i32 s63, s13
	s_cbranch_scc1 .LBB144_12
; %bb.11:                               ;   in Loop: Header=BB144_6 Depth=1
	s_mul_i32 vcc_lo, s63, s18
	s_sub_i32 s62, s62, vcc_lo
	s_mul_i32 s63, s63, s20
	s_mul_i32 s62, s62, s1
	v_add_u32_e32 v82, s63, v112
	v_lshl_add_u32 v82, v82, 1, s62
	v_ashrrev_i32_e32 v83, 31, v82
	v_lshlrev_b64 v[82:83], 2, v[82:83]
	v_mov_b32_e32 v84, s11
	v_add_co_u32_e32 v82, vcc, s10, v82
	v_addc_co_u32_e32 v83, vcc, v84, v83, vcc
	global_load_dwordx2 v[104:105], v[82:83], off
.LBB144_12:                             ;   in Loop: Header=BB144_6 Depth=1
	s_andn2_b64 vcc, exec, s[38:39]
	v_mov_b32_e32 v101, 0
	s_cbranch_vccnz .LBB144_15
; %bb.13:                               ;   in Loop: Header=BB144_6 Depth=1
	s_load_dword s62, s[34:35], 0x8
	v_mov_b32_e32 v101, 0
	v_mov_b32_e32 v100, 0
	s_waitcnt lgkmcnt(0)
	s_mul_hi_u32 s63, s62, s16
	s_add_i32 s63, s62, s63
	s_lshr_b32 s63, s63, s17
	s_cmp_ge_i32 s63, s13
	s_cbranch_scc1 .LBB144_15
; %bb.14:                               ;   in Loop: Header=BB144_6 Depth=1
	s_mul_i32 vcc_lo, s63, s18
	s_sub_i32 s62, s62, vcc_lo
	s_mul_i32 s63, s63, s20
	s_mul_i32 s62, s62, s1
	v_add_u32_e32 v82, s63, v112
	v_lshl_add_u32 v82, v82, 1, s62
	v_ashrrev_i32_e32 v83, 31, v82
	v_lshlrev_b64 v[82:83], 2, v[82:83]
	v_mov_b32_e32 v84, s11
	v_add_co_u32_e32 v82, vcc, s10, v82
	v_addc_co_u32_e32 v83, vcc, v84, v83, vcc
	global_load_dwordx2 v[100:101], v[82:83], off
.LBB144_15:                             ;   in Loop: Header=BB144_6 Depth=1
	s_andn2_b64 vcc, exec, s[40:41]
	v_mov_b32_e32 v96, 0
	v_mov_b32_e32 v102, 0
	v_mov_b32_e32 v103, 0
	s_cbranch_vccnz .LBB144_18
; %bb.16:                               ;   in Loop: Header=BB144_6 Depth=1
	s_load_dword s62, s[34:35], 0xc
	v_mov_b32_e32 v103, 0
	v_mov_b32_e32 v102, 0
	s_waitcnt lgkmcnt(0)
	s_mul_hi_u32 s63, s62, s16
	s_add_i32 s63, s62, s63
	s_lshr_b32 s63, s63, s17
	s_cmp_ge_i32 s63, s13
	s_cbranch_scc1 .LBB144_18
; %bb.17:                               ;   in Loop: Header=BB144_6 Depth=1
	s_mul_i32 vcc_lo, s63, s18
	s_sub_i32 s62, s62, vcc_lo
	s_mul_i32 s63, s63, s20
	s_mul_i32 s62, s62, s1
	v_add_u32_e32 v82, s63, v112
	v_lshl_add_u32 v82, v82, 1, s62
	v_ashrrev_i32_e32 v83, 31, v82
	v_lshlrev_b64 v[82:83], 2, v[82:83]
	v_mov_b32_e32 v84, s11
	v_add_co_u32_e32 v82, vcc, s10, v82
	v_addc_co_u32_e32 v83, vcc, v84, v83, vcc
	global_load_dwordx2 v[102:103], v[82:83], off
.LBB144_18:                             ;   in Loop: Header=BB144_6 Depth=1
	s_andn2_b64 vcc, exec, s[42:43]
	v_mov_b32_e32 v97, 0
	s_cbranch_vccnz .LBB144_21
; %bb.19:                               ;   in Loop: Header=BB144_6 Depth=1
	s_load_dword s62, s[34:35], 0x10
	v_mov_b32_e32 v97, 0
	v_mov_b32_e32 v96, 0
	s_waitcnt lgkmcnt(0)
	s_mul_hi_u32 s63, s62, s16
	s_add_i32 s63, s62, s63
	s_lshr_b32 s63, s63, s17
	s_cmp_ge_i32 s63, s13
	s_cbranch_scc1 .LBB144_21
; %bb.20:                               ;   in Loop: Header=BB144_6 Depth=1
	s_mul_i32 vcc_lo, s63, s18
	s_sub_i32 s62, s62, vcc_lo
	s_mul_i32 s63, s63, s20
	s_mul_i32 s62, s62, s1
	v_add_u32_e32 v82, s63, v112
	v_lshl_add_u32 v82, v82, 1, s62
	v_ashrrev_i32_e32 v83, 31, v82
	v_lshlrev_b64 v[82:83], 2, v[82:83]
	v_mov_b32_e32 v84, s11
	v_add_co_u32_e32 v82, vcc, s10, v82
	v_addc_co_u32_e32 v83, vcc, v84, v83, vcc
	global_load_dwordx2 v[96:97], v[82:83], off
.LBB144_21:                             ;   in Loop: Header=BB144_6 Depth=1
	;; [unrolled: 56-line block ×6, first 2 shown]
	s_waitcnt vmcnt(0)
	v_and_b32_e32 v118, 0x7f800000, v106
	v_cmp_ne_u32_e32 vcc, s83, v118
                                        ; implicit-def: $vgpr118
	s_and_saveexec_b64 s[62:63], vcc
	s_xor_b64 s[62:63], exec, s[62:63]
; %bb.46:                               ;   in Loop: Header=BB144_6 Depth=1
	v_bfe_u32 v118, v106, 16, 1
	v_add3_u32 v118, v106, v118, s84
; %bb.47:                               ;   in Loop: Header=BB144_6 Depth=1
	s_andn2_saveexec_b64 s[62:63], s[62:63]
; %bb.48:                               ;   in Loop: Header=BB144_6 Depth=1
	v_or_b32_e32 v118, 0x10000, v106
	v_cmp_eq_u32_sdwa vcc, v106, v116 src0_sel:WORD_0 src1_sel:DWORD
	v_cndmask_b32_e32 v118, v118, v106, vcc
; %bb.49:                               ;   in Loop: Header=BB144_6 Depth=1
	s_or_b64 exec, exec, s[62:63]
	v_and_b32_e32 v106, 0x7f800000, v107
	v_cmp_ne_u32_e32 vcc, s83, v106
                                        ; implicit-def: $vgpr106
	s_and_saveexec_b64 s[62:63], vcc
	s_xor_b64 s[62:63], exec, s[62:63]
; %bb.50:                               ;   in Loop: Header=BB144_6 Depth=1
	v_bfe_u32 v106, v107, 16, 1
	v_add3_u32 v106, v107, v106, s84
                                        ; implicit-def: $vgpr107
; %bb.51:                               ;   in Loop: Header=BB144_6 Depth=1
	s_andn2_saveexec_b64 s[62:63], s[62:63]
; %bb.52:                               ;   in Loop: Header=BB144_6 Depth=1
	v_or_b32_e32 v106, 0x10000, v107
	v_cmp_eq_u32_sdwa vcc, v107, v116 src0_sel:WORD_0 src1_sel:DWORD
	v_cndmask_b32_e32 v106, v106, v107, vcc
; %bb.53:                               ;   in Loop: Header=BB144_6 Depth=1
	s_or_b64 exec, exec, s[62:63]
	v_perm_b32 v106, v106, v118, s85
	ds_write_b32 v113, v106
	v_and_b32_e32 v106, 0x7f800000, v104
	v_cmp_ne_u32_e32 vcc, s83, v106
                                        ; implicit-def: $vgpr106
	s_and_saveexec_b64 s[62:63], vcc
	s_xor_b64 s[62:63], exec, s[62:63]
; %bb.54:                               ;   in Loop: Header=BB144_6 Depth=1
	v_bfe_u32 v106, v104, 16, 1
	v_add3_u32 v106, v104, v106, s84
; %bb.55:                               ;   in Loop: Header=BB144_6 Depth=1
	s_andn2_saveexec_b64 s[62:63], s[62:63]
; %bb.56:                               ;   in Loop: Header=BB144_6 Depth=1
	v_or_b32_e32 v106, 0x10000, v104
	v_cmp_eq_u32_sdwa vcc, v104, v116 src0_sel:WORD_0 src1_sel:DWORD
	v_cndmask_b32_e32 v106, v106, v104, vcc
; %bb.57:                               ;   in Loop: Header=BB144_6 Depth=1
	s_or_b64 exec, exec, s[62:63]
	v_and_b32_e32 v104, 0x7f800000, v105
	v_cmp_ne_u32_e32 vcc, s83, v104
                                        ; implicit-def: $vgpr104
	s_and_saveexec_b64 s[62:63], vcc
	s_xor_b64 s[62:63], exec, s[62:63]
; %bb.58:                               ;   in Loop: Header=BB144_6 Depth=1
	v_bfe_u32 v104, v105, 16, 1
	v_add3_u32 v104, v105, v104, s84
                                        ; implicit-def: $vgpr105
; %bb.59:                               ;   in Loop: Header=BB144_6 Depth=1
	s_andn2_saveexec_b64 s[62:63], s[62:63]
; %bb.60:                               ;   in Loop: Header=BB144_6 Depth=1
	v_or_b32_e32 v104, 0x10000, v105
	v_cmp_eq_u32_sdwa vcc, v105, v116 src0_sel:WORD_0 src1_sel:DWORD
	v_cndmask_b32_e32 v104, v104, v105, vcc
; %bb.61:                               ;   in Loop: Header=BB144_6 Depth=1
	s_or_b64 exec, exec, s[62:63]
	v_perm_b32 v104, v104, v106, s85
	ds_write_b32 v113, v104 offset:264
	v_and_b32_e32 v104, 0x7f800000, v100
	v_cmp_ne_u32_e32 vcc, s83, v104
                                        ; implicit-def: $vgpr104
	s_and_saveexec_b64 s[62:63], vcc
	s_xor_b64 s[62:63], exec, s[62:63]
; %bb.62:                               ;   in Loop: Header=BB144_6 Depth=1
	v_bfe_u32 v104, v100, 16, 1
	v_add3_u32 v104, v100, v104, s84
; %bb.63:                               ;   in Loop: Header=BB144_6 Depth=1
	s_andn2_saveexec_b64 s[62:63], s[62:63]
; %bb.64:                               ;   in Loop: Header=BB144_6 Depth=1
	v_or_b32_e32 v104, 0x10000, v100
	v_cmp_eq_u32_sdwa vcc, v100, v116 src0_sel:WORD_0 src1_sel:DWORD
	v_cndmask_b32_e32 v104, v104, v100, vcc
; %bb.65:                               ;   in Loop: Header=BB144_6 Depth=1
	s_or_b64 exec, exec, s[62:63]
	v_and_b32_e32 v100, 0x7f800000, v101
	v_cmp_ne_u32_e32 vcc, s83, v100
                                        ; implicit-def: $vgpr100
	s_and_saveexec_b64 s[62:63], vcc
	s_xor_b64 s[62:63], exec, s[62:63]
; %bb.66:                               ;   in Loop: Header=BB144_6 Depth=1
	v_bfe_u32 v100, v101, 16, 1
	v_add3_u32 v100, v101, v100, s84
                                        ; implicit-def: $vgpr101
; %bb.67:                               ;   in Loop: Header=BB144_6 Depth=1
	s_andn2_saveexec_b64 s[62:63], s[62:63]
; %bb.68:                               ;   in Loop: Header=BB144_6 Depth=1
	v_or_b32_e32 v100, 0x10000, v101
	v_cmp_eq_u32_sdwa vcc, v101, v116 src0_sel:WORD_0 src1_sel:DWORD
	v_cndmask_b32_e32 v100, v100, v101, vcc
; %bb.69:                               ;   in Loop: Header=BB144_6 Depth=1
	s_or_b64 exec, exec, s[62:63]
	v_perm_b32 v100, v100, v104, s85
	ds_write_b32 v113, v100 offset:528
	v_and_b32_e32 v100, 0x7f800000, v102
	v_cmp_ne_u32_e32 vcc, s83, v100
                                        ; implicit-def: $vgpr100
	s_and_saveexec_b64 s[62:63], vcc
	s_xor_b64 s[62:63], exec, s[62:63]
; %bb.70:                               ;   in Loop: Header=BB144_6 Depth=1
	v_bfe_u32 v100, v102, 16, 1
	v_add3_u32 v100, v102, v100, s84
; %bb.71:                               ;   in Loop: Header=BB144_6 Depth=1
	s_andn2_saveexec_b64 s[62:63], s[62:63]
; %bb.72:                               ;   in Loop: Header=BB144_6 Depth=1
	v_or_b32_e32 v100, 0x10000, v102
	v_cmp_eq_u32_sdwa vcc, v102, v116 src0_sel:WORD_0 src1_sel:DWORD
	v_cndmask_b32_e32 v100, v100, v102, vcc
; %bb.73:                               ;   in Loop: Header=BB144_6 Depth=1
	s_or_b64 exec, exec, s[62:63]
	v_and_b32_e32 v101, 0x7f800000, v103
	v_cmp_ne_u32_e32 vcc, s83, v101
                                        ; implicit-def: $vgpr101
	s_and_saveexec_b64 s[62:63], vcc
	s_xor_b64 s[62:63], exec, s[62:63]
; %bb.74:                               ;   in Loop: Header=BB144_6 Depth=1
	v_bfe_u32 v101, v103, 16, 1
	v_add3_u32 v101, v103, v101, s84
                                        ; implicit-def: $vgpr103
; %bb.75:                               ;   in Loop: Header=BB144_6 Depth=1
	s_andn2_saveexec_b64 s[62:63], s[62:63]
; %bb.76:                               ;   in Loop: Header=BB144_6 Depth=1
	v_or_b32_e32 v101, 0x10000, v103
	v_cmp_eq_u32_sdwa vcc, v103, v116 src0_sel:WORD_0 src1_sel:DWORD
	v_cndmask_b32_e32 v101, v101, v103, vcc
; %bb.77:                               ;   in Loop: Header=BB144_6 Depth=1
	s_or_b64 exec, exec, s[62:63]
	v_perm_b32 v100, v101, v100, s85
	ds_write_b32 v113, v100 offset:792
	v_and_b32_e32 v100, 0x7f800000, v96
	v_cmp_ne_u32_e32 vcc, s83, v100
                                        ; implicit-def: $vgpr100
	s_and_saveexec_b64 s[62:63], vcc
	s_xor_b64 s[62:63], exec, s[62:63]
; %bb.78:                               ;   in Loop: Header=BB144_6 Depth=1
	v_bfe_u32 v100, v96, 16, 1
	v_add3_u32 v100, v96, v100, s84
; %bb.79:                               ;   in Loop: Header=BB144_6 Depth=1
	s_andn2_saveexec_b64 s[62:63], s[62:63]
; %bb.80:                               ;   in Loop: Header=BB144_6 Depth=1
	v_or_b32_e32 v100, 0x10000, v96
	v_cmp_eq_u32_sdwa vcc, v96, v116 src0_sel:WORD_0 src1_sel:DWORD
	v_cndmask_b32_e32 v100, v100, v96, vcc
; %bb.81:                               ;   in Loop: Header=BB144_6 Depth=1
	s_or_b64 exec, exec, s[62:63]
	v_and_b32_e32 v96, 0x7f800000, v97
	v_cmp_ne_u32_e32 vcc, s83, v96
                                        ; implicit-def: $vgpr96
	s_and_saveexec_b64 s[62:63], vcc
	s_xor_b64 s[62:63], exec, s[62:63]
; %bb.82:                               ;   in Loop: Header=BB144_6 Depth=1
	v_bfe_u32 v96, v97, 16, 1
	v_add3_u32 v96, v97, v96, s84
                                        ; implicit-def: $vgpr97
; %bb.83:                               ;   in Loop: Header=BB144_6 Depth=1
	s_andn2_saveexec_b64 s[62:63], s[62:63]
; %bb.84:                               ;   in Loop: Header=BB144_6 Depth=1
	v_or_b32_e32 v96, 0x10000, v97
	v_cmp_eq_u32_sdwa vcc, v97, v116 src0_sel:WORD_0 src1_sel:DWORD
	v_cndmask_b32_e32 v96, v96, v97, vcc
; %bb.85:                               ;   in Loop: Header=BB144_6 Depth=1
	s_or_b64 exec, exec, s[62:63]
	v_perm_b32 v96, v96, v100, s85
	ds_write_b32 v113, v96 offset:1056
	v_and_b32_e32 v96, 0x7f800000, v98
	v_cmp_ne_u32_e32 vcc, s83, v96
                                        ; implicit-def: $vgpr96
	s_and_saveexec_b64 s[62:63], vcc
	s_xor_b64 s[62:63], exec, s[62:63]
; %bb.86:                               ;   in Loop: Header=BB144_6 Depth=1
	v_bfe_u32 v96, v98, 16, 1
	v_add3_u32 v96, v98, v96, s84
; %bb.87:                               ;   in Loop: Header=BB144_6 Depth=1
	s_andn2_saveexec_b64 s[62:63], s[62:63]
; %bb.88:                               ;   in Loop: Header=BB144_6 Depth=1
	v_or_b32_e32 v96, 0x10000, v98
	v_cmp_eq_u32_sdwa vcc, v98, v116 src0_sel:WORD_0 src1_sel:DWORD
	v_cndmask_b32_e32 v96, v96, v98, vcc
; %bb.89:                               ;   in Loop: Header=BB144_6 Depth=1
	s_or_b64 exec, exec, s[62:63]
	v_and_b32_e32 v97, 0x7f800000, v99
	v_cmp_ne_u32_e32 vcc, s83, v97
                                        ; implicit-def: $vgpr97
	s_and_saveexec_b64 s[62:63], vcc
	s_xor_b64 s[62:63], exec, s[62:63]
; %bb.90:                               ;   in Loop: Header=BB144_6 Depth=1
	v_bfe_u32 v97, v99, 16, 1
	v_add3_u32 v97, v99, v97, s84
                                        ; implicit-def: $vgpr99
; %bb.91:                               ;   in Loop: Header=BB144_6 Depth=1
	s_andn2_saveexec_b64 s[62:63], s[62:63]
; %bb.92:                               ;   in Loop: Header=BB144_6 Depth=1
	v_or_b32_e32 v97, 0x10000, v99
	v_cmp_eq_u32_sdwa vcc, v99, v116 src0_sel:WORD_0 src1_sel:DWORD
	v_cndmask_b32_e32 v97, v97, v99, vcc
; %bb.93:                               ;   in Loop: Header=BB144_6 Depth=1
	s_or_b64 exec, exec, s[62:63]
	v_perm_b32 v96, v97, v96, s85
	ds_write_b32 v113, v96 offset:1320
	v_and_b32_e32 v96, 0x7f800000, v92
	v_cmp_ne_u32_e32 vcc, s83, v96
                                        ; implicit-def: $vgpr96
	s_and_saveexec_b64 s[62:63], vcc
	s_xor_b64 s[62:63], exec, s[62:63]
; %bb.94:                               ;   in Loop: Header=BB144_6 Depth=1
	v_bfe_u32 v96, v92, 16, 1
	v_add3_u32 v96, v92, v96, s84
; %bb.95:                               ;   in Loop: Header=BB144_6 Depth=1
	s_andn2_saveexec_b64 s[62:63], s[62:63]
; %bb.96:                               ;   in Loop: Header=BB144_6 Depth=1
	v_or_b32_e32 v96, 0x10000, v92
	v_cmp_eq_u32_sdwa vcc, v92, v116 src0_sel:WORD_0 src1_sel:DWORD
	v_cndmask_b32_e32 v96, v96, v92, vcc
; %bb.97:                               ;   in Loop: Header=BB144_6 Depth=1
	s_or_b64 exec, exec, s[62:63]
	v_and_b32_e32 v92, 0x7f800000, v93
	v_cmp_ne_u32_e32 vcc, s83, v92
                                        ; implicit-def: $vgpr92
	s_and_saveexec_b64 s[62:63], vcc
	s_xor_b64 s[62:63], exec, s[62:63]
; %bb.98:                               ;   in Loop: Header=BB144_6 Depth=1
	v_bfe_u32 v92, v93, 16, 1
	v_add3_u32 v92, v93, v92, s84
                                        ; implicit-def: $vgpr93
; %bb.99:                               ;   in Loop: Header=BB144_6 Depth=1
	s_andn2_saveexec_b64 s[62:63], s[62:63]
; %bb.100:                              ;   in Loop: Header=BB144_6 Depth=1
	v_or_b32_e32 v92, 0x10000, v93
	v_cmp_eq_u32_sdwa vcc, v93, v116 src0_sel:WORD_0 src1_sel:DWORD
	v_cndmask_b32_e32 v92, v92, v93, vcc
; %bb.101:                              ;   in Loop: Header=BB144_6 Depth=1
	s_or_b64 exec, exec, s[62:63]
	v_perm_b32 v92, v92, v96, s85
	ds_write_b32 v113, v92 offset:1584
	v_and_b32_e32 v92, 0x7f800000, v94
	v_cmp_ne_u32_e32 vcc, s83, v92
                                        ; implicit-def: $vgpr92
	s_and_saveexec_b64 s[62:63], vcc
	s_xor_b64 s[62:63], exec, s[62:63]
; %bb.102:                              ;   in Loop: Header=BB144_6 Depth=1
	v_bfe_u32 v92, v94, 16, 1
	v_add3_u32 v92, v94, v92, s84
; %bb.103:                              ;   in Loop: Header=BB144_6 Depth=1
	s_andn2_saveexec_b64 s[62:63], s[62:63]
; %bb.104:                              ;   in Loop: Header=BB144_6 Depth=1
	v_or_b32_e32 v92, 0x10000, v94
	v_cmp_eq_u32_sdwa vcc, v94, v116 src0_sel:WORD_0 src1_sel:DWORD
	v_cndmask_b32_e32 v92, v92, v94, vcc
; %bb.105:                              ;   in Loop: Header=BB144_6 Depth=1
	s_or_b64 exec, exec, s[62:63]
	v_and_b32_e32 v93, 0x7f800000, v95
	v_cmp_ne_u32_e32 vcc, s83, v93
                                        ; implicit-def: $vgpr93
	s_and_saveexec_b64 s[62:63], vcc
	s_xor_b64 s[62:63], exec, s[62:63]
; %bb.106:                              ;   in Loop: Header=BB144_6 Depth=1
	v_bfe_u32 v93, v95, 16, 1
	v_add3_u32 v93, v95, v93, s84
                                        ; implicit-def: $vgpr95
; %bb.107:                              ;   in Loop: Header=BB144_6 Depth=1
	s_andn2_saveexec_b64 s[62:63], s[62:63]
; %bb.108:                              ;   in Loop: Header=BB144_6 Depth=1
	v_or_b32_e32 v93, 0x10000, v95
	v_cmp_eq_u32_sdwa vcc, v95, v116 src0_sel:WORD_0 src1_sel:DWORD
	v_cndmask_b32_e32 v93, v93, v95, vcc
; %bb.109:                              ;   in Loop: Header=BB144_6 Depth=1
	s_or_b64 exec, exec, s[62:63]
	v_perm_b32 v92, v93, v92, s85
	ds_write_b32 v113, v92 offset:1848
	v_and_b32_e32 v92, 0x7f800000, v88
	v_cmp_ne_u32_e32 vcc, s83, v92
                                        ; implicit-def: $vgpr92
	s_and_saveexec_b64 s[62:63], vcc
	s_xor_b64 s[62:63], exec, s[62:63]
; %bb.110:                              ;   in Loop: Header=BB144_6 Depth=1
	v_bfe_u32 v92, v88, 16, 1
	v_add3_u32 v92, v88, v92, s84
; %bb.111:                              ;   in Loop: Header=BB144_6 Depth=1
	s_andn2_saveexec_b64 s[62:63], s[62:63]
; %bb.112:                              ;   in Loop: Header=BB144_6 Depth=1
	v_or_b32_e32 v92, 0x10000, v88
	v_cmp_eq_u32_sdwa vcc, v88, v116 src0_sel:WORD_0 src1_sel:DWORD
	v_cndmask_b32_e32 v92, v92, v88, vcc
; %bb.113:                              ;   in Loop: Header=BB144_6 Depth=1
	s_or_b64 exec, exec, s[62:63]
	v_and_b32_e32 v88, 0x7f800000, v89
	v_cmp_ne_u32_e32 vcc, s83, v88
                                        ; implicit-def: $vgpr88
	s_and_saveexec_b64 s[62:63], vcc
	s_xor_b64 s[62:63], exec, s[62:63]
; %bb.114:                              ;   in Loop: Header=BB144_6 Depth=1
	v_bfe_u32 v88, v89, 16, 1
	v_add3_u32 v88, v89, v88, s84
                                        ; implicit-def: $vgpr89
; %bb.115:                              ;   in Loop: Header=BB144_6 Depth=1
	s_andn2_saveexec_b64 s[62:63], s[62:63]
; %bb.116:                              ;   in Loop: Header=BB144_6 Depth=1
	v_or_b32_e32 v88, 0x10000, v89
	v_cmp_eq_u32_sdwa vcc, v89, v116 src0_sel:WORD_0 src1_sel:DWORD
	v_cndmask_b32_e32 v88, v88, v89, vcc
; %bb.117:                              ;   in Loop: Header=BB144_6 Depth=1
	s_or_b64 exec, exec, s[62:63]
	v_perm_b32 v88, v88, v92, s85
	ds_write_b32 v113, v88 offset:2112
	v_and_b32_e32 v88, 0x7f800000, v90
	v_cmp_ne_u32_e32 vcc, s83, v88
                                        ; implicit-def: $vgpr88
	s_and_saveexec_b64 s[62:63], vcc
	s_xor_b64 s[62:63], exec, s[62:63]
; %bb.118:                              ;   in Loop: Header=BB144_6 Depth=1
	v_bfe_u32 v88, v90, 16, 1
	v_add3_u32 v88, v90, v88, s84
; %bb.119:                              ;   in Loop: Header=BB144_6 Depth=1
	s_andn2_saveexec_b64 s[62:63], s[62:63]
; %bb.120:                              ;   in Loop: Header=BB144_6 Depth=1
	v_or_b32_e32 v88, 0x10000, v90
	v_cmp_eq_u32_sdwa vcc, v90, v116 src0_sel:WORD_0 src1_sel:DWORD
	v_cndmask_b32_e32 v88, v88, v90, vcc
; %bb.121:                              ;   in Loop: Header=BB144_6 Depth=1
	s_or_b64 exec, exec, s[62:63]
	v_and_b32_e32 v89, 0x7f800000, v91
	v_cmp_ne_u32_e32 vcc, s83, v89
                                        ; implicit-def: $vgpr89
	s_and_saveexec_b64 s[62:63], vcc
	s_xor_b64 s[62:63], exec, s[62:63]
; %bb.122:                              ;   in Loop: Header=BB144_6 Depth=1
	v_bfe_u32 v89, v91, 16, 1
	v_add3_u32 v89, v91, v89, s84
                                        ; implicit-def: $vgpr91
; %bb.123:                              ;   in Loop: Header=BB144_6 Depth=1
	s_andn2_saveexec_b64 s[62:63], s[62:63]
; %bb.124:                              ;   in Loop: Header=BB144_6 Depth=1
	v_or_b32_e32 v89, 0x10000, v91
	v_cmp_eq_u32_sdwa vcc, v91, v116 src0_sel:WORD_0 src1_sel:DWORD
	v_cndmask_b32_e32 v89, v89, v91, vcc
; %bb.125:                              ;   in Loop: Header=BB144_6 Depth=1
	s_or_b64 exec, exec, s[62:63]
	v_perm_b32 v88, v89, v88, s85
	ds_write_b32 v113, v88 offset:2376
	v_and_b32_e32 v88, 0x7f800000, v84
	v_cmp_ne_u32_e32 vcc, s83, v88
                                        ; implicit-def: $vgpr88
	s_and_saveexec_b64 s[62:63], vcc
	s_xor_b64 s[62:63], exec, s[62:63]
; %bb.126:                              ;   in Loop: Header=BB144_6 Depth=1
	v_bfe_u32 v88, v84, 16, 1
	v_add3_u32 v88, v84, v88, s84
; %bb.127:                              ;   in Loop: Header=BB144_6 Depth=1
	s_andn2_saveexec_b64 s[62:63], s[62:63]
; %bb.128:                              ;   in Loop: Header=BB144_6 Depth=1
	v_or_b32_e32 v88, 0x10000, v84
	v_cmp_eq_u32_sdwa vcc, v84, v116 src0_sel:WORD_0 src1_sel:DWORD
	v_cndmask_b32_e32 v88, v88, v84, vcc
; %bb.129:                              ;   in Loop: Header=BB144_6 Depth=1
	s_or_b64 exec, exec, s[62:63]
	v_and_b32_e32 v84, 0x7f800000, v85
	v_cmp_ne_u32_e32 vcc, s83, v84
                                        ; implicit-def: $vgpr84
	s_and_saveexec_b64 s[62:63], vcc
	s_xor_b64 s[62:63], exec, s[62:63]
; %bb.130:                              ;   in Loop: Header=BB144_6 Depth=1
	v_bfe_u32 v84, v85, 16, 1
	v_add3_u32 v84, v85, v84, s84
                                        ; implicit-def: $vgpr85
; %bb.131:                              ;   in Loop: Header=BB144_6 Depth=1
	s_andn2_saveexec_b64 s[62:63], s[62:63]
; %bb.132:                              ;   in Loop: Header=BB144_6 Depth=1
	v_or_b32_e32 v84, 0x10000, v85
	v_cmp_eq_u32_sdwa vcc, v85, v116 src0_sel:WORD_0 src1_sel:DWORD
	v_cndmask_b32_e32 v84, v84, v85, vcc
; %bb.133:                              ;   in Loop: Header=BB144_6 Depth=1
	s_or_b64 exec, exec, s[62:63]
	v_perm_b32 v84, v84, v88, s85
	ds_write_b32 v113, v84 offset:2640
	v_and_b32_e32 v84, 0x7f800000, v86
	v_cmp_ne_u32_e32 vcc, s83, v84
                                        ; implicit-def: $vgpr84
	s_and_saveexec_b64 s[62:63], vcc
	s_xor_b64 s[62:63], exec, s[62:63]
; %bb.134:                              ;   in Loop: Header=BB144_6 Depth=1
	v_bfe_u32 v84, v86, 16, 1
	v_add3_u32 v84, v86, v84, s84
; %bb.135:                              ;   in Loop: Header=BB144_6 Depth=1
	s_andn2_saveexec_b64 s[62:63], s[62:63]
; %bb.136:                              ;   in Loop: Header=BB144_6 Depth=1
	v_or_b32_e32 v84, 0x10000, v86
	v_cmp_eq_u32_sdwa vcc, v86, v116 src0_sel:WORD_0 src1_sel:DWORD
	v_cndmask_b32_e32 v84, v84, v86, vcc
; %bb.137:                              ;   in Loop: Header=BB144_6 Depth=1
	s_or_b64 exec, exec, s[62:63]
	v_and_b32_e32 v85, 0x7f800000, v87
	v_cmp_ne_u32_e32 vcc, s83, v85
                                        ; implicit-def: $vgpr85
	s_and_saveexec_b64 s[62:63], vcc
	s_xor_b64 s[62:63], exec, s[62:63]
; %bb.138:                              ;   in Loop: Header=BB144_6 Depth=1
	v_bfe_u32 v85, v87, 16, 1
	v_add3_u32 v85, v87, v85, s84
                                        ; implicit-def: $vgpr87
; %bb.139:                              ;   in Loop: Header=BB144_6 Depth=1
	s_andn2_saveexec_b64 s[62:63], s[62:63]
; %bb.140:                              ;   in Loop: Header=BB144_6 Depth=1
	v_or_b32_e32 v85, 0x10000, v87
	v_cmp_eq_u32_sdwa vcc, v87, v116 src0_sel:WORD_0 src1_sel:DWORD
	v_cndmask_b32_e32 v85, v85, v87, vcc
; %bb.141:                              ;   in Loop: Header=BB144_6 Depth=1
	s_or_b64 exec, exec, s[62:63]
	v_perm_b32 v84, v85, v84, s85
	ds_write_b32 v113, v84 offset:2904
	v_and_b32_e32 v84, 0x7f800000, v82
	v_cmp_ne_u32_e32 vcc, s83, v84
                                        ; implicit-def: $vgpr84
	s_and_saveexec_b64 s[62:63], vcc
	s_xor_b64 s[62:63], exec, s[62:63]
; %bb.142:                              ;   in Loop: Header=BB144_6 Depth=1
	v_bfe_u32 v84, v82, 16, 1
	v_add3_u32 v84, v82, v84, s84
; %bb.143:                              ;   in Loop: Header=BB144_6 Depth=1
	s_andn2_saveexec_b64 s[62:63], s[62:63]
; %bb.144:                              ;   in Loop: Header=BB144_6 Depth=1
	v_or_b32_e32 v84, 0x10000, v82
	v_cmp_eq_u32_sdwa vcc, v82, v116 src0_sel:WORD_0 src1_sel:DWORD
	v_cndmask_b32_e32 v84, v84, v82, vcc
; %bb.145:                              ;   in Loop: Header=BB144_6 Depth=1
	s_or_b64 exec, exec, s[62:63]
	v_and_b32_e32 v82, 0x7f800000, v83
	v_cmp_ne_u32_e32 vcc, s83, v82
                                        ; implicit-def: $vgpr82
	s_and_saveexec_b64 s[62:63], vcc
	s_xor_b64 s[62:63], exec, s[62:63]
; %bb.146:                              ;   in Loop: Header=BB144_6 Depth=1
	v_bfe_u32 v82, v83, 16, 1
	v_add3_u32 v82, v83, v82, s84
                                        ; implicit-def: $vgpr83
; %bb.147:                              ;   in Loop: Header=BB144_6 Depth=1
	s_andn2_saveexec_b64 s[62:63], s[62:63]
	s_cbranch_execz .LBB144_5
; %bb.148:                              ;   in Loop: Header=BB144_6 Depth=1
	v_or_b32_e32 v82, 0x10000, v83
	v_cmp_eq_u32_sdwa vcc, v83, v116 src0_sel:WORD_0 src1_sel:DWORD
	v_cndmask_b32_e32 v82, v82, v83, vcc
	s_branch .LBB144_5
.LBB144_149:
	s_or_b64 exec, exec, s[8:9]
	v_readlane_b32 s24, v119, 6
	v_readlane_b32 s26, v119, 9
	;; [unrolled: 1-line block ×5, first 2 shown]
.LBB144_150:
	v_readlane_b32 s0, v119, 4
	v_readlane_b32 s1, v119, 5
	s_or_b64 exec, exec, s[0:1]
	v_mul_u32_u24_e32 v16, 0x808, v111
	v_lshlrev_b32_e32 v17, 2, v110
	v_add3_u32 v16, 0, v16, v17
	v_and_b32_e32 v17, 0x3f0, v109
	v_add_u32_e32 v17, v16, v17
	s_lshl_b64 s[0:1], s[26:27], 2
	v_readlane_b32 s4, v119, 0
	s_barrier
	ds_write2_b32 v17, v8, v9 offset1:1
	ds_write_b32 v17, v10 offset:8
	v_or_b32_e32 v8, 12, v109
	v_readlane_b32 s5, v119, 1
	s_add_u32 s3, s4, s0
	v_and_b32_e32 v8, 0x3fc, v8
	s_addc_u32 s7, s5, s1
	v_add_u32_e32 v8, v16, v8
	ds_write_b32 v8, v11
	ds_write2_b32 v17, v4, v5 offset0:16 offset1:17
	ds_write_b32 v17, v6 offset:72
	ds_write_b32 v8, v7 offset:64
	ds_write2_b32 v17, v0, v1 offset0:32 offset1:33
	ds_write_b32 v17, v2 offset:136
	ds_write_b32 v8, v3 offset:128
	;; [unrolled: 3-line block ×3, first 2 shown]
	s_cmp_gt_i32 s14, 0
	v_add_u32_e32 v0, s6, v108
	s_cselect_b64 s[4:5], -1, 0
	v_cmp_gt_i32_e64 s[0:1], s33, v0
	v_cmp_gt_u32_e32 vcc, 13, v108
	s_and_b64 s[0:1], s[4:5], s[0:1]
	v_lshl_add_u32 v3, v109, 2, 0
	v_add_u32_e32 v2, s28, v109
	s_and_b64 s[8:9], vcc, s[0:1]
	s_waitcnt lgkmcnt(0)
	s_barrier
	s_and_saveexec_b64 s[0:1], s[8:9]
	s_cbranch_execz .LBB144_153
; %bb.151:
	v_ashrrev_i32_e32 v1, 31, v0
	v_lshlrev_b64 v[0:1], 2, v[0:1]
	v_mov_b32_e32 v4, s7
	v_add_co_u32_e32 v0, vcc, s3, v0
	v_addc_co_u32_e32 v1, vcc, v4, v1, vcc
	global_load_dword v0, v[0:1], off
	s_waitcnt vmcnt(0)
	v_mul_hi_u32 v1, v0, s19
	v_add_u32_e32 v1, v0, v1
	v_lshrrev_b32_e32 v1, s24, v1
	v_cmp_gt_i32_e32 vcc, s13, v1
	s_and_b64 exec, exec, vcc
	s_cbranch_execz .LBB144_153
; %bb.152:
	s_movk_i32 s8, 0x808
	v_mad_u32_u24 v10, v108, s8, v3
	ds_read2st64_b32 v[4:5], v10 offset1:1
	ds_read2st64_b32 v[6:7], v10 offset0:2 offset1:3
	ds_read2st64_b32 v[8:9], v10 offset0:4 offset1:5
	;; [unrolled: 1-line block ×3, first 2 shown]
	v_mul_lo_u32 v12, v1, s25
	v_sub_u32_e32 v0, v0, v12
	v_mul_lo_u32 v0, v0, s2
	s_waitcnt lgkmcnt(3)
	v_add_f32_e32 v4, 0, v4
	v_add_f32_e32 v4, v4, v5
	s_waitcnt lgkmcnt(2)
	v_add_f32_e32 v4, v4, v6
	v_add_f32_e32 v4, v4, v7
	v_mul_lo_u32 v1, v1, s21
	s_waitcnt lgkmcnt(1)
	v_add_f32_e32 v4, v4, v8
	v_add3_u32 v0, v2, v1, v0
	v_mov_b32_e32 v1, 0
	v_readlane_b32 s8, v119, 2
	v_add_f32_e32 v4, v4, v9
	v_lshlrev_b64 v[0:1], 2, v[0:1]
	v_readlane_b32 s9, v119, 3
	s_waitcnt lgkmcnt(0)
	v_add_f32_e32 v4, v4, v10
	v_mov_b32_e32 v5, s9
	v_add_co_u32_e32 v0, vcc, s8, v0
	v_add_f32_e32 v4, v4, v11
	v_addc_co_u32_e32 v1, vcc, v5, v1, vcc
	global_store_dword v[0:1], v4, off
.LBB144_153:
	s_or_b64 exec, exec, s[0:1]
	v_cmp_gt_u32_e32 vcc, 5, v108
	s_and_saveexec_b64 s[0:1], vcc
	s_cbranch_execz .LBB144_157
; %bb.154:
	v_or_b32_e32 v0, 8, v108
	v_add_u32_e32 v1, s6, v0
	v_cmp_gt_i32_e32 vcc, s33, v1
	s_and_b64 s[0:1], s[4:5], vcc
	s_and_b64 exec, exec, s[0:1]
	s_cbranch_execz .LBB144_157
; %bb.155:
	s_ashr_i32 s0, s6, 31
	v_mov_b32_e32 v1, s0
	v_add_co_u32_e32 v4, vcc, s6, v108
	v_addc_co_u32_e32 v5, vcc, 0, v1, vcc
	v_lshlrev_b64 v[4:5], 2, v[4:5]
	v_mov_b32_e32 v1, s7
	v_add_co_u32_e32 v4, vcc, s3, v4
	v_addc_co_u32_e32 v5, vcc, v1, v5, vcc
	global_load_dword v4, v[4:5], off offset:32
	v_mov_b32_e32 v1, 0
	s_waitcnt vmcnt(0)
	v_mul_hi_u32 v5, v4, s19
	v_add_u32_e32 v5, v4, v5
	v_lshrrev_b32_e32 v5, s24, v5
	v_cmp_gt_i32_e32 vcc, s13, v5
	s_and_b64 exec, exec, vcc
	s_cbranch_execz .LBB144_157
; %bb.156:
	s_movk_i32 s0, 0x808
	v_mad_u32_u24 v0, v0, s0, v3
	ds_read2st64_b32 v[6:7], v0 offset1:1
	ds_read2st64_b32 v[8:9], v0 offset0:2 offset1:3
	ds_read2st64_b32 v[10:11], v0 offset0:4 offset1:5
	;; [unrolled: 1-line block ×3, first 2 shown]
	v_mul_lo_u32 v3, v5, s25
	v_readlane_b32 s0, v119, 2
	v_readlane_b32 s1, v119, 3
	s_waitcnt lgkmcnt(3)
	v_add_f32_e32 v0, 0, v6
	v_add_f32_e32 v0, v0, v7
	s_waitcnt lgkmcnt(2)
	v_add_f32_e32 v0, v0, v8
	v_add_f32_e32 v0, v0, v9
	;; [unrolled: 3-line block ×4, first 2 shown]
	v_sub_u32_e32 v0, v4, v3
	v_mul_lo_u32 v0, v0, s2
	v_mul_lo_u32 v3, v5, s21
	v_add3_u32 v0, v2, v3, v0
	v_lshlrev_b64 v[0:1], 2, v[0:1]
	v_mov_b32_e32 v2, s1
	v_add_co_u32_e32 v0, vcc, s0, v0
	v_addc_co_u32_e32 v1, vcc, v2, v1, vcc
	global_store_dword v[0:1], v6, off
.LBB144_157:
	s_endpgm
	.section	.rodata,"a",@progbits
	.p2align	6, 0x0
	.amdhsa_kernel _ZL13mul_mat_f_idsI15__hip_bfloat162Li64ELi13ELi8EEvPKT_PKfPKiS7_S7_Pfiiiiiiiiiiiiii15HIP_vector_typeIjLj3EESA_
		.amdhsa_group_segment_fixed_size 0
		.amdhsa_private_segment_fixed_size 0
		.amdhsa_kernarg_size 128
		.amdhsa_user_sgpr_count 6
		.amdhsa_user_sgpr_private_segment_buffer 1
		.amdhsa_user_sgpr_dispatch_ptr 0
		.amdhsa_user_sgpr_queue_ptr 0
		.amdhsa_user_sgpr_kernarg_segment_ptr 1
		.amdhsa_user_sgpr_dispatch_id 0
		.amdhsa_user_sgpr_flat_scratch_init 0
		.amdhsa_user_sgpr_kernarg_preload_length 0
		.amdhsa_user_sgpr_kernarg_preload_offset 0
		.amdhsa_user_sgpr_private_segment_size 0
		.amdhsa_uses_dynamic_stack 0
		.amdhsa_system_sgpr_private_segment_wavefront_offset 0
		.amdhsa_system_sgpr_workgroup_id_x 1
		.amdhsa_system_sgpr_workgroup_id_y 1
		.amdhsa_system_sgpr_workgroup_id_z 1
		.amdhsa_system_sgpr_workgroup_info 0
		.amdhsa_system_vgpr_workitem_id 1
		.amdhsa_next_free_vgpr 120
		.amdhsa_next_free_sgpr 96
		.amdhsa_accum_offset 120
		.amdhsa_reserve_vcc 1
		.amdhsa_reserve_flat_scratch 0
		.amdhsa_float_round_mode_32 0
		.amdhsa_float_round_mode_16_64 0
		.amdhsa_float_denorm_mode_32 3
		.amdhsa_float_denorm_mode_16_64 3
		.amdhsa_dx10_clamp 1
		.amdhsa_ieee_mode 1
		.amdhsa_fp16_overflow 0
		.amdhsa_tg_split 0
		.amdhsa_exception_fp_ieee_invalid_op 0
		.amdhsa_exception_fp_denorm_src 0
		.amdhsa_exception_fp_ieee_div_zero 0
		.amdhsa_exception_fp_ieee_overflow 0
		.amdhsa_exception_fp_ieee_underflow 0
		.amdhsa_exception_fp_ieee_inexact 0
		.amdhsa_exception_int_div_zero 0
	.end_amdhsa_kernel
	.section	.text._ZL13mul_mat_f_idsI15__hip_bfloat162Li64ELi13ELi8EEvPKT_PKfPKiS7_S7_Pfiiiiiiiiiiiiii15HIP_vector_typeIjLj3EESA_,"axG",@progbits,_ZL13mul_mat_f_idsI15__hip_bfloat162Li64ELi13ELi8EEvPKT_PKfPKiS7_S7_Pfiiiiiiiiiiiiii15HIP_vector_typeIjLj3EESA_,comdat
.Lfunc_end144:
	.size	_ZL13mul_mat_f_idsI15__hip_bfloat162Li64ELi13ELi8EEvPKT_PKfPKiS7_S7_Pfiiiiiiiiiiiiii15HIP_vector_typeIjLj3EESA_, .Lfunc_end144-_ZL13mul_mat_f_idsI15__hip_bfloat162Li64ELi13ELi8EEvPKT_PKfPKiS7_S7_Pfiiiiiiiiiiiiii15HIP_vector_typeIjLj3EESA_
                                        ; -- End function
	.section	.AMDGPU.csdata,"",@progbits
; Kernel info:
; codeLenInByte = 9020
; NumSgprs: 100
; NumVgprs: 120
; NumAgprs: 0
; TotalNumVgprs: 120
; ScratchSize: 0
; MemoryBound: 0
; FloatMode: 240
; IeeeMode: 1
; LDSByteSize: 0 bytes/workgroup (compile time only)
; SGPRBlocks: 12
; VGPRBlocks: 14
; NumSGPRsForWavesPerEU: 100
; NumVGPRsForWavesPerEU: 120
; AccumOffset: 120
; Occupancy: 4
; WaveLimiterHint : 1
; COMPUTE_PGM_RSRC2:SCRATCH_EN: 0
; COMPUTE_PGM_RSRC2:USER_SGPR: 6
; COMPUTE_PGM_RSRC2:TRAP_HANDLER: 0
; COMPUTE_PGM_RSRC2:TGID_X_EN: 1
; COMPUTE_PGM_RSRC2:TGID_Y_EN: 1
; COMPUTE_PGM_RSRC2:TGID_Z_EN: 1
; COMPUTE_PGM_RSRC2:TIDIG_COMP_CNT: 1
; COMPUTE_PGM_RSRC3_GFX90A:ACCUM_OFFSET: 29
; COMPUTE_PGM_RSRC3_GFX90A:TG_SPLIT: 0
	.section	.text._ZL9mul_mat_fI15__hip_bfloat162Li64ELi13ELi8ELb1EEvPKT_PKfPKiPfiiiiiiiiiiiiiiii,"axG",@progbits,_ZL9mul_mat_fI15__hip_bfloat162Li64ELi13ELi8ELb1EEvPKT_PKfPKiPfiiiiiiiiiiiiiiii,comdat
	.globl	_ZL9mul_mat_fI15__hip_bfloat162Li64ELi13ELi8ELb1EEvPKT_PKfPKiPfiiiiiiiiiiiiiiii ; -- Begin function _ZL9mul_mat_fI15__hip_bfloat162Li64ELi13ELi8ELb1EEvPKT_PKfPKiPfiiiiiiiiiiiiiiii
	.p2align	8
	.type	_ZL9mul_mat_fI15__hip_bfloat162Li64ELi13ELi8ELb1EEvPKT_PKfPKiPfiiiiiiiiiiiiiiii,@function
_ZL9mul_mat_fI15__hip_bfloat162Li64ELi13ELi8ELb1EEvPKT_PKfPKiPfiiiiiiiiiiiiiiii: ; @_ZL9mul_mat_fI15__hip_bfloat162Li64ELi13ELi8ELb1EEvPKT_PKfPKiPfiiiiiiiiiiiiiiii
; %bb.0:
	s_load_dwordx8 s[16:23], s[4:5], 0x20
	v_and_b32_e32 v16, 0x3ff, v0
	v_bfe_u32 v17, v0, 10, 10
	v_cmp_eq_u32_e32 vcc, 0, v16
	s_waitcnt lgkmcnt(0)
	s_add_i32 s0, s17, 12
	s_mul_hi_i32 s0, s0, 0x4ec4ec4f
	s_lshr_b32 s1, s0, 31
	s_ashr_i32 s0, s0, 2
	s_add_i32 s0, s0, s1
	v_cvt_f32_u32_e32 v1, s0
	s_load_dwordx4 s[24:27], s[4:5], 0x44
	s_load_dword s1, s[4:5], 0x64
	s_add_u32 s34, s4, 0x60
	s_addc_u32 s35, s5, 0
	v_rcp_iflag_f32_e32 v1, v1
	s_sub_i32 s2, 0, s0
	v_mul_f32_e32 v1, 0x4f7ffffe, v1
	v_cvt_u32_f32_e32 v1, v1
	v_readfirstlane_b32 s3, v1
	s_mul_i32 s2, s2, s3
	s_mul_hi_u32 s2, s3, s2
	s_add_i32 s3, s3, s2
	s_waitcnt lgkmcnt(0)
	s_mul_hi_u32 s2, s1, s3
	s_mul_i32 s3, s2, s0
	s_sub_i32 s1, s1, s3
	s_add_i32 s9, s2, 1
	s_sub_i32 s3, s1, s0
	s_cmp_ge_u32 s1, s0
	s_cselect_b32 s2, s9, s2
	s_cselect_b32 s1, s3, s1
	s_add_i32 s3, s2, 1
	s_cmp_ge_u32 s1, s0
	s_cselect_b32 s10, s3, s2
	v_cvt_f32_u32_e32 v1, s10
	s_abs_i32 s39, s27
	v_cvt_f32_u32_e32 v2, s39
	s_load_dwordx2 s[0:1], s[4:5], 0x10
	v_rcp_iflag_f32_e32 v1, v1
	s_sub_i32 s2, 0, s10
	v_rcp_iflag_f32_e32 v2, v2
	s_sub_i32 s38, 0, s39
	v_mul_f32_e32 v1, 0x4f7ffffe, v1
	v_cvt_u32_f32_e32 v1, v1
	v_mul_f32_e32 v2, 0x4f7ffffe, v2
	v_cvt_u32_f32_e32 v2, v2
	v_readfirstlane_b32 s3, v1
	s_mul_i32 s2, s2, s3
	s_mul_hi_u32 s2, s3, s2
	s_add_i32 s3, s3, s2
	v_readfirstlane_b32 s9, v2
	s_mul_hi_u32 s11, s7, s3
	s_and_saveexec_b64 s[2:3], vcc
	s_cbranch_execz .LBB145_2
; %bb.1:
	v_mov_b32_e32 v1, 0x100
	v_lshl_add_u32 v1, v17, 2, v1
	v_mov_b32_e32 v2, -1
	ds_write_b32 v1, v2
.LBB145_2:
	s_or_b64 exec, exec, s[2:3]
	s_mul_i32 s2, s11, s10
	s_sub_i32 s2, s7, s2
	s_add_i32 s3, s11, 1
	s_sub_i32 s12, s2, s10
	s_cmp_ge_u32 s2, s10
	s_cselect_b32 s3, s3, s11
	s_cselect_b32 s2, s12, s2
	s_add_i32 s11, s3, 1
	s_cmp_ge_u32 s2, s10
	s_cselect_b32 s2, s11, s3
	s_mul_i32 s3, s2, s10
	s_mul_i32 s50, s2, 13
	s_sub_i32 s7, s7, s3
	s_mul_hi_i32 s3, s50, s23
	s_mul_i32 s2, s50, s23
	s_lshl_b64 s[2:3], s[2:3], 2
	s_waitcnt lgkmcnt(0)
	s_add_u32 s33, s0, s2
	v_add_u32_e32 v1, s50, v17
	s_mul_i32 s38, s38, s9
	s_addc_u32 s1, s1, s3
	v_cmp_gt_i32_e64 s[10:11], s18, v16
	v_cmp_gt_i32_e64 s[40:41], s17, v1
	v_mov_b32_e32 v1, 0
	s_and_saveexec_b64 s[14:15], s[40:41]
	s_cbranch_execz .LBB145_10
; %bb.3:
	v_mov_b32_e32 v1, 0
	s_and_saveexec_b64 s[28:29], s[10:11]
	s_cbranch_execz .LBB145_9
; %bb.4:
	v_mul_lo_u32 v2, v17, s23
	v_ashrrev_i32_e32 v3, 31, v2
	v_lshlrev_b64 v[2:3], 2, v[2:3]
	v_mov_b32_e32 v1, s1
	v_add_co_u32_e64 v4, s[2:3], s33, v2
	v_addc_co_u32_e64 v5, s[2:3], v1, v3, s[2:3]
	v_mov_b32_e32 v1, 0x100
	v_lshl_add_u32 v6, v17, 2, v1
	v_mul_lo_u32 v2, v16, s22
	s_lshl_b32 s0, s22, 6
	s_mov_b64 s[30:31], 0
	v_mov_b32_e32 v1, 0
	v_mov_b32_e32 v7, v16
	s_branch .LBB145_6
.LBB145_5:                              ;   in Loop: Header=BB145_6 Depth=1
	s_or_b64 exec, exec, s[36:37]
	v_add_u32_e32 v7, 64, v7
	v_cmp_le_i32_e64 s[12:13], s18, v7
	s_xor_b64 s[2:3], s[2:3], -1
	s_or_b64 s[2:3], s[2:3], s[12:13]
	s_and_b64 s[2:3], exec, s[2:3]
	s_or_b64 s[30:31], s[2:3], s[30:31]
	v_add_u32_e32 v2, s0, v2
	s_andn2_b64 exec, exec, s[30:31]
	s_cbranch_execz .LBB145_8
.LBB145_6:                              ; =>This Inner Loop Header: Depth=1
	v_ashrrev_i32_e32 v3, 31, v2
	v_lshlrev_b64 v[8:9], 2, v[2:3]
	v_add_co_u32_e64 v8, s[2:3], v4, v8
	v_addc_co_u32_e64 v9, s[2:3], v5, v9, s[2:3]
	global_load_dword v3, v[8:9], off
	s_waitcnt vmcnt(0)
	v_cmp_ne_u32_e64 s[2:3], s7, v3
	v_cmp_eq_u32_e64 s[12:13], s7, v3
	s_and_saveexec_b64 s[36:37], s[12:13]
	s_cbranch_execz .LBB145_5
; %bb.7:                                ;   in Loop: Header=BB145_6 Depth=1
	v_mov_b32_e32 v1, 1
	ds_write_b32 v6, v7
	s_branch .LBB145_5
.LBB145_8:
	s_or_b64 exec, exec, s[30:31]
.LBB145_9:
	s_or_b64 exec, exec, s[28:29]
.LBB145_10:
	s_or_b64 exec, exec, s[14:15]
	s_mul_hi_u32 s12, s9, s38
	s_and_saveexec_b64 s[2:3], vcc
	s_cbranch_execz .LBB145_12
; %bb.11:
	v_mov_b32_e32 v2, 0x100
	v_lshl_add_u32 v2, v17, 2, v2
	v_mov_b32_e32 v3, -1
	ds_write_b32 v2, v3 offset:32
.LBB145_12:
	s_or_b64 exec, exec, s[2:3]
	s_load_dwordx4 s[44:47], s[4:5], 0x54
	v_add_u32_e32 v86, 8, v17
	s_abs_i32 s0, s8
	s_add_i32 s9, s9, s12
	v_add_u32_e32 v2, s50, v86
	v_cmp_gt_i32_e64 s[2:3], s17, v2
	s_mov_b64 s[28:29], exec
                                        ; implicit-def: $vgpr103 : SGPR spill to VGPR lane
	v_writelane_b32 v103, s2, 0
	v_writelane_b32 v103, s3, 1
	s_and_b64 s[2:3], s[28:29], s[2:3]
	s_mov_b64 exec, s[2:3]
	s_cbranch_execz .LBB145_20
; %bb.13:
	s_and_saveexec_b64 s[30:31], s[10:11]
	s_cbranch_execz .LBB145_19
; %bb.14:
	v_mul_lo_u32 v2, v86, s23
	v_ashrrev_i32_e32 v3, 31, v2
	v_lshlrev_b64 v[2:3], 2, v[2:3]
	v_mov_b32_e32 v5, s1
	v_add_co_u32_e32 v4, vcc, s33, v2
	v_mov_b32_e32 v2, 0x100
	v_addc_co_u32_e32 v5, vcc, v5, v3, vcc
	v_lshl_add_u32 v6, v17, 2, v2
	v_mul_lo_u32 v2, v16, s22
	s_lshl_b32 s1, s22, 6
	s_mov_b64 s[22:23], 0
	v_mov_b32_e32 v7, v16
	s_branch .LBB145_16
.LBB145_15:                             ;   in Loop: Header=BB145_16 Depth=1
	s_or_b64 exec, exec, s[36:37]
	v_add_u32_e32 v7, 64, v7
	v_cmp_le_i32_e64 s[10:11], s18, v7
	s_xor_b64 s[2:3], vcc, -1
	s_or_b64 s[2:3], s[2:3], s[10:11]
	s_and_b64 s[2:3], exec, s[2:3]
	s_or_b64 s[22:23], s[2:3], s[22:23]
	v_add_u32_e32 v2, s1, v2
	s_andn2_b64 exec, exec, s[22:23]
	s_cbranch_execz .LBB145_18
.LBB145_16:                             ; =>This Inner Loop Header: Depth=1
	v_ashrrev_i32_e32 v3, 31, v2
	v_lshlrev_b64 v[8:9], 2, v[2:3]
	v_add_co_u32_e32 v8, vcc, v4, v8
	v_addc_co_u32_e32 v9, vcc, v5, v9, vcc
	global_load_dword v3, v[8:9], off
	s_waitcnt vmcnt(0)
	v_cmp_ne_u32_e32 vcc, s7, v3
	v_cmp_eq_u32_e64 s[10:11], s7, v3
	s_and_saveexec_b64 s[36:37], s[10:11]
	s_cbranch_execz .LBB145_15
; %bb.17:                               ;   in Loop: Header=BB145_16 Depth=1
	v_mov_b32_e32 v1, 1
	ds_write_b32 v6, v7 offset:32
	s_branch .LBB145_15
.LBB145_18:
	s_or_b64 exec, exec, s[22:23]
.LBB145_19:
	s_or_b64 exec, exec, s[30:31]
.LBB145_20:
	s_or_b64 exec, exec, s[28:29]
	s_load_dwordx2 s[2:3], s[34:35], 0xc
	s_load_dwordx4 s[28:31], s[4:5], 0x0
	s_load_dwordx2 s[10:11], s[4:5], 0x18
	v_cmp_ne_u32_e32 vcc, 0, v1
	v_cndmask_b32_e64 v1, 0, 1, vcc
                                        ; kill: killed $sgpr4 killed $sgpr5
	s_waitcnt lgkmcnt(0)
	s_and_b32 s5, s3, 0xffff
	s_lshr_b32 s4, s2, 16
	v_or_b32_dpp v1, v1, v1 row_shl:1 row_mask:0xf bank_mask:0xf bound_ctrl:1
	s_and_b32 s3, s2, 0xffff
	s_mul_i32 s2, s4, s3
	v_or_b32_dpp v1, v1, v1 row_shl:2 row_mask:0xf bank_mask:0xf bound_ctrl:1
	s_bfe_i32 s2, s2, 0x180000
	s_mul_i32 s2, s2, s5
	v_or_b32_dpp v1, v1, v1 row_shl:4 row_mask:0xf bank_mask:0xf bound_ctrl:1
	s_add_i32 s5, s2, 63
	s_bitcmp1_b32 exec_hi, 0
	v_or_b32_dpp v1, v1, v1 row_shl:8 row_mask:0xf bank_mask:0xf bound_ctrl:1
	s_mul_hi_u32 s1, s0, s9
	v_writelane_b32 v103, s10, 2
	v_mov_b32_dpp v2, v1 wave_shl:1 row_mask:0xf bank_mask:0xf bound_ctrl:1
	v_writelane_b32 v103, s11, 3
                                        ; kill: killed $sgpr34 killed $sgpr35
	s_nop 0
	v_or_b32_dpp v1, v2, v1 row_mirror row_mask:0xf bank_mask:0xf bound_ctrl:1
	v_readlane_b32 s2, v1, 32
	s_cselect_b32 s2, s2, 0
	v_readlane_b32 s9, v1, 0
	s_or_b32 s2, s2, s9
	s_andn2_b32 s5, s5, 63
	s_cmp_lg_u32 s5, 64
	v_mov_b32_e32 v1, s2
	s_cbranch_scc0 .LBB145_27
; %bb.21:
	v_bfe_u32 v0, v0, 20, 10
	v_mbcnt_lo_u32_b32 v1, -1, 0
	v_mad_u32_u24 v0, v0, s4, v17
	v_mbcnt_hi_u32_b32 v2, -1, v1
	v_mad_u64_u32 v[0:1], s[4:5], v0, s3, v[16:17]
	v_lshrrev_b32_e32 v1, 6, v0
	v_or_b32_e32 v1, v2, v1
	v_cmp_eq_u32_e32 vcc, 0, v1
	s_and_saveexec_b64 s[4:5], vcc
	s_cbranch_execz .LBB145_23
; %bb.22:
	v_mov_b32_e32 v1, 0
	v_mov_b32_e32 v3, s2
	ds_write_b32 v1, v3
.LBB145_23:
	s_or_b64 exec, exec, s[4:5]
	v_cmp_eq_u32_e32 vcc, 0, v2
	v_cmp_lt_u32_e64 s[4:5], 63, v0
	s_and_b64 s[10:11], s[4:5], vcc
	s_waitcnt lgkmcnt(0)
	s_barrier
	s_and_saveexec_b64 s[4:5], s[10:11]
	s_cbranch_execz .LBB145_26
; %bb.24:
	v_mbcnt_lo_u32_b32 v0, exec_lo, 0
	v_mbcnt_hi_u32_b32 v0, exec_hi, v0
	v_cmp_eq_u32_e32 vcc, 0, v0
	s_and_b64 exec, exec, vcc
	s_cbranch_execz .LBB145_26
; %bb.25:
	v_mov_b32_e32 v0, 0
	v_mov_b32_e32 v1, s2
	ds_or_b32 v0, v1
.LBB145_26:
	s_or_b64 exec, exec, s[4:5]
	v_mov_b32_e32 v0, 0
	s_waitcnt lgkmcnt(0)
	s_barrier
	ds_read_b32 v1, v0
	s_waitcnt lgkmcnt(0)
	s_barrier
.LBB145_27:
	v_cmp_ne_u32_e32 vcc, 0, v1
	s_ashr_i32 s2, s8, 31
	s_ashr_i32 s3, s27, 31
	s_cbranch_vccz .LBB145_184
; %bb.28:
	v_lshlrev_b32_e32 v87, 6, v17
	v_add_u32_e32 v89, v87, v16
	v_cmp_le_i32_e32 vcc, s16, v89
	v_and_b32_e32 v88, 15, v16
                                        ; implicit-def: $sgpr9
	s_and_saveexec_b64 s[4:5], vcc
	s_xor_b64 s[4:5], exec, s[4:5]
; %bb.29:
	v_and_b32_e32 v88, 15, v16
	s_mov_b32 s9, 0
                                        ; implicit-def: $vgpr89
; %bb.30:
	s_or_saveexec_b64 s[4:5], s[4:5]
	s_lshl_b32 s6, s6, 6
	v_mov_b32_e32 v11, s9
	v_mov_b32_e32 v10, s9
	;; [unrolled: 1-line block ×16, first 2 shown]
	v_writelane_b32 v103, s4, 4
	v_writelane_b32 v103, s5, 5
	s_xor_b64 exec, exec, s[4:5]
	s_cbranch_execz .LBB145_177
; %bb.31:
	s_xor_b32 s2, s2, s3
	s_mul_i32 s3, s1, s39
	s_sub_i32 s0, s0, s3
	s_add_i32 s3, s1, 1
	s_sub_i32 s4, s0, s39
	s_cmp_ge_u32 s0, s39
	s_cselect_b32 s1, s3, s1
	s_cselect_b32 s0, s4, s0
	s_add_i32 s3, s1, 1
	s_cmp_ge_u32 s0, s39
	s_cselect_b32 s0, s3, s1
	s_xor_b32 s0, s0, s2
	s_sub_i32 s0, s0, s2
	s_mul_hi_i32 s1, s0, s44
	s_mul_i32 s0, s0, s44
	s_mul_i32 s2, s7, s24
	v_writelane_b32 v103, s40, 6
	s_ashr_i32 s3, s2, 31
	s_lshl_b64 s[0:1], s[0:1], 2
	v_writelane_b32 v103, s41, 7
	s_add_u32 s5, s28, s0
	v_writelane_b32 v103, s6, 8
	s_mul_i32 s4, s6, s19
	s_addc_u32 s6, s29, s1
	s_lshl_b64 s[2:3], s[2:3], 2
	s_add_u32 s7, s5, s2
	s_addc_u32 s6, s6, s3
	s_ashr_i32 s5, s4, 31
	s_lshl_b64 s[4:5], s[4:5], 2
	s_add_u32 s24, s7, s4
	s_addc_u32 s10, s6, s5
	s_movk_i32 s6, 0x1080
	v_mov_b32_e32 v90, 0x100
	v_writelane_b32 v103, s8, 9
	v_mad_u32_u24 v0, v17, s6, v90
	s_mul_hi_i32 s7, s45, s8
	v_writelane_b32 v103, s44, 10
	s_mul_i32 s6, s45, s8
	s_mul_hi_i32 s9, s20, s50
	s_mul_i32 s8, s20, s50
	s_lshl_b64 s[8:9], s[8:9], 3
	s_lshl_b64 s[6:7], s[6:7], 2
	s_add_u32 s6, s30, s6
	s_addc_u32 s7, s31, s7
	s_add_u32 s27, s6, s8
	s_addc_u32 s33, s7, s9
	s_cmp_lt_i32 s50, s17
	s_cselect_b64 s[6:7], -1, 0
	s_add_i32 s8, s50, 1
	s_cmp_lt_i32 s8, s17
	v_writelane_b32 v103, s45, 11
	s_cselect_b64 s[12:13], -1, 0
	s_add_i32 s8, s50, 2
	v_writelane_b32 v103, s46, 12
	s_cmp_lt_i32 s8, s17
	v_writelane_b32 v103, s47, 13
	s_cselect_b64 s[22:23], -1, 0
	s_lshl_b32 s8, s20, 2
	v_writelane_b32 v103, s8, 14
	s_add_i32 s8, s50, 3
	s_cmp_lt_i32 s8, s17
	s_cselect_b64 s[30:31], -1, 0
	s_add_i32 s8, s50, 4
	s_cmp_lt_i32 s8, s17
	s_cselect_b64 s[34:35], -1, 0
	s_lshl_b32 s8, s20, 3
	v_writelane_b32 v103, s8, 15
	s_add_i32 s8, s50, 5
	s_cmp_lt_i32 s8, s17
	s_cselect_b64 s[36:37], -1, 0
	s_add_i32 s8, s50, 6
	s_cmp_lt_i32 s8, s17
	s_mul_i32 s8, s20, 6
	s_cselect_b64 s[38:39], -1, 0
	v_writelane_b32 v103, s8, 16
	s_add_i32 s8, s50, 7
	s_cmp_lt_i32 s8, s17
	s_cselect_b64 s[40:41], -1, 0
	s_add_i32 s8, s50, 8
	s_cmp_lt_i32 s8, s17
	s_cselect_b64 s[42:43], -1, 0
	s_lshl_b32 s8, s20, 4
	v_writelane_b32 v103, s8, 17
	s_add_i32 s8, s50, 9
	s_cmp_lt_i32 s8, s17
	s_cselect_b64 s[44:45], -1, 0
	s_add_i32 s8, s50, 10
	s_cmp_lt_i32 s8, s17
	s_mul_i32 s8, s20, 10
	s_cselect_b64 s[46:47], -1, 0
	v_writelane_b32 v103, s8, 18
	s_add_i32 s8, s50, 11
	s_cmp_lt_i32 s8, s17
	s_cselect_b64 s[48:49], -1, 0
	s_add_i32 s8, s50, 12
	v_writelane_b32 v103, s50, 19
	s_cmp_lt_i32 s8, s17
	s_mul_i32 s8, s20, 12
	s_cselect_b64 s[50:51], -1, 0
	v_writelane_b32 v103, s8, 20
	s_ashr_i32 s9, s19, 31
	s_mov_b32 s8, s19
	s_lshl_b64 s[52:53], s[8:9], 2
	s_add_u32 s0, s0, s4
	v_lshrrev_b32_e32 v2, 1, v16
	s_addc_u32 s1, s1, s5
	v_mul_u32_u24_e32 v1, 0x108, v88
	v_and_b32_e32 v2, 0x1f8, v2
	s_add_u32 s0, s0, s2
	v_lshl_add_u32 v91, v16, 2, v0
	v_add3_u32 v92, v0, v1, v2
	v_lshlrev_b32_e32 v0, 1, v16
	s_addc_u32 s1, s1, s3
	v_lshl_add_u32 v93, v17, 7, v0
	v_lshlrev_b32_e32 v0, 2, v89
	s_add_u32 s0, s28, s0
	v_add_co_u32_e32 v18, vcc, s0, v0
	s_mul_i32 s0, s20, 24
	v_writelane_b32 v103, s0, 21
	s_mul_i32 s0, s20, 22
	v_writelane_b32 v103, s0, 22
	;; [unrolled: 2-line block ×4, first 2 shown]
	s_mul_i32 s0, s20, 14
	s_addc_u32 s1, s29, s1
	v_writelane_b32 v103, s0, 25
	s_lshl_b32 s0, s20, 1
	v_writelane_b32 v103, s0, 26
	s_mul_i32 s0, s19, 3
	v_writelane_b32 v103, s0, 27
	s_mul_i32 s0, s19, 5
	;; [unrolled: 2-line block ×7, first 2 shown]
	v_mov_b32_e32 v1, s1
	v_writelane_b32 v103, s0, 33
	s_mul_i32 s0, s19, 12
	v_mov_b32_e32 v95, 0
	v_addc_co_u32_e32 v19, vcc, 0, v1, vcc
	s_lshl_b32 s64, s19, 1
	s_lshl_b32 s66, s19, 2
	;; [unrolled: 1-line block ×3, first 2 shown]
	v_writelane_b32 v103, s0, 34
	s_mul_i32 s75, s19, 13
	s_mul_i32 s76, s19, 14
	;; [unrolled: 1-line block ×3, first 2 shown]
	s_lshl_b32 s78, s19, 4
	v_mov_b32_e32 v94, s10
	s_mul_i32 s79, s19, 17
	v_mov_b32_e32 v96, s53
	v_mov_b32_e32 v12, 0
	;; [unrolled: 1-line block ×17, first 2 shown]
	s_mul_i32 s53, s19, 18
	s_mul_i32 s80, s19, 19
	;; [unrolled: 1-line block ×14, first 2 shown]
	s_lshl_b32 s93, s19, 5
	s_mul_i32 s94, s19, 33
	s_mul_i32 s95, s19, 34
	;; [unrolled: 1-line block ×31, first 2 shown]
	s_mov_b32 s72, 0x7f800000
	s_movk_i32 s73, 0x7fff
	s_mov_b32 s74, 0x7060302
	s_mov_b64 s[18:19], 0
	s_branch .LBB145_33
.LBB145_32:                             ;   in Loop: Header=BB145_33 Depth=1
	s_or_b64 exec, exec, s[28:29]
	v_perm_b32 v84, v84, v97, s74
	v_add_u32_e32 v85, 0xc00, v91
	ds_write2_b32 v85, v84, v95 offset0:40 offset1:106
	ds_write2_b32 v85, v95, v95 offset0:172 offset1:238
	ds_read2_b64 v[98:101], v92 offset0:8 offset1:12
	v_add_co_u32_e32 v18, vcc, 0x800, v18
	v_add_u32_e32 v89, 0x200, v89
	s_waitcnt lgkmcnt(0)
	v_mfma_f32_16x16x16bf16_1k v[8:11], v[36:37], v[98:99], v[8:11]
	v_addc_co_u32_e32 v19, vcc, 0, v19, vcc
	v_cmp_le_i32_e32 vcc, s16, v89
	v_add_u32_e32 v93, 0x400, v93
	s_or_b64 s[18:19], vcc, s[18:19]
	v_mfma_f32_16x16x16bf16_1k v[4:7], v[52:53], v[98:99], v[4:7]
	v_mfma_f32_16x16x16bf16_1k v[0:3], v[66:67], v[98:99], v[0:3]
	;; [unrolled: 1-line block ×5, first 2 shown]
	ds_read2_b64 v[50:53], v92 offset0:16 offset1:20
	v_mfma_f32_16x16x16bf16_1k v[0:3], v[64:65], v[100:101], v[0:3]
	v_mfma_f32_16x16x16bf16_1k v[12:15], v[80:81], v[100:101], v[12:15]
	s_waitcnt lgkmcnt(0)
	v_mfma_f32_16x16x16bf16_1k v[8:11], v[30:31], v[50:51], v[8:11]
	v_mfma_f32_16x16x16bf16_1k v[4:7], v[46:47], v[50:51], v[4:7]
	;; [unrolled: 1-line block ×5, first 2 shown]
	ds_read2_b64 v[28:31], v92 offset0:24 offset1:28
	v_mfma_f32_16x16x16bf16_1k v[4:7], v[44:45], v[52:53], v[4:7]
	v_mfma_f32_16x16x16bf16_1k v[0:3], v[60:61], v[52:53], v[0:3]
	;; [unrolled: 1-line block ×3, first 2 shown]
	s_waitcnt lgkmcnt(0)
	v_mfma_f32_16x16x16bf16_1k v[8:11], v[26:27], v[28:29], v[8:11]
	v_mfma_f32_16x16x16bf16_1k v[4:7], v[42:43], v[28:29], v[4:7]
	v_mfma_f32_16x16x16bf16_1k v[0:3], v[58:59], v[28:29], v[0:3]
	v_mfma_f32_16x16x16bf16_1k v[12:15], v[74:75], v[28:29], v[12:15]
	v_mfma_f32_16x16x16bf16_1k v[8:11], v[24:25], v[30:31], v[8:11]
	ds_read2_b64 v[24:27], v92 offset0:32 offset1:36
	v_mfma_f32_16x16x16bf16_1k v[4:7], v[40:41], v[30:31], v[4:7]
	v_mfma_f32_16x16x16bf16_1k v[0:3], v[56:57], v[30:31], v[0:3]
	;; [unrolled: 1-line block ×3, first 2 shown]
	s_waitcnt lgkmcnt(0)
	v_mfma_f32_16x16x16bf16_1k v[8:11], v[22:23], v[24:25], v[8:11]
	v_mfma_f32_16x16x16bf16_1k v[4:7], v[38:39], v[24:25], v[4:7]
	;; [unrolled: 1-line block ×8, first 2 shown]
	s_andn2_b64 exec, exec, s[18:19]
	s_cbranch_execz .LBB145_176
.LBB145_33:                             ; =>This Inner Loop Header: Depth=1
	v_add_co_u32_e32 v20, vcc, s52, v18
	v_addc_co_u32_e32 v21, vcc, v19, v96, vcc
	global_load_dword v32, v[18:19], off
	global_load_dword v33, v[20:21], off
	v_add_u32_e32 v20, s64, v89
	v_ashrrev_i32_e32 v21, 31, v20
	v_readlane_b32 s28, v103, 27
	v_lshlrev_b64 v[20:21], 2, v[20:21]
	v_add_u32_e32 v22, s28, v89
	v_add_co_u32_e32 v20, vcc, s24, v20
	v_ashrrev_i32_e32 v23, 31, v22
	v_addc_co_u32_e32 v21, vcc, v94, v21, vcc
	v_lshlrev_b64 v[22:23], 2, v[22:23]
	v_add_u32_e32 v24, s66, v89
	v_add_co_u32_e32 v22, vcc, s24, v22
	v_ashrrev_i32_e32 v25, 31, v24
	v_readlane_b32 s28, v103, 28
	v_addc_co_u32_e32 v23, vcc, v94, v23, vcc
	v_lshlrev_b64 v[24:25], 2, v[24:25]
	v_add_u32_e32 v26, s28, v89
	v_add_co_u32_e32 v24, vcc, s24, v24
	v_ashrrev_i32_e32 v27, 31, v26
	v_readlane_b32 s28, v103, 29
	;; [unrolled: 6-line block ×3, first 2 shown]
	v_addc_co_u32_e32 v27, vcc, v94, v27, vcc
	v_lshlrev_b64 v[28:29], 2, v[28:29]
	v_add_u32_e32 v30, s28, v89
	v_add_co_u32_e32 v28, vcc, s24, v28
	v_ashrrev_i32_e32 v31, 31, v30
	v_addc_co_u32_e32 v29, vcc, v94, v29, vcc
	v_lshlrev_b64 v[30:31], 2, v[30:31]
	v_add_co_u32_e32 v30, vcc, s24, v30
	v_addc_co_u32_e32 v31, vcc, v94, v31, vcc
	global_load_dword v34, v[20:21], off
	global_load_dword v35, v[22:23], off
	;; [unrolled: 1-line block ×3, first 2 shown]
	s_nop 0
	global_load_dword v26, v[26:27], off
	s_nop 0
	global_load_dword v27, v[28:29], off
	;; [unrolled: 2-line block ×3, first 2 shown]
	v_add_u32_e32 v20, s70, v89
	v_readlane_b32 s28, v103, 31
	v_ashrrev_i32_e32 v21, 31, v20
	v_add_u32_e32 v22, s28, v89
	v_lshlrev_b64 v[20:21], 2, v[20:21]
	v_readlane_b32 s28, v103, 32
	v_ashrrev_i32_e32 v23, 31, v22
	v_add_co_u32_e32 v20, vcc, s24, v20
	v_add_u32_e32 v24, s28, v89
	v_lshlrev_b64 v[22:23], 2, v[22:23]
	v_addc_co_u32_e32 v21, vcc, v94, v21, vcc
	v_ashrrev_i32_e32 v25, 31, v24
	v_add_co_u32_e32 v22, vcc, s24, v22
	v_readlane_b32 s28, v103, 33
	v_lshlrev_b64 v[24:25], 2, v[24:25]
	v_addc_co_u32_e32 v23, vcc, v94, v23, vcc
	global_load_dword v20, v[20:21], off
	s_nop 0
	global_load_dword v21, v[22:23], off
	v_add_u32_e32 v22, s28, v89
	v_add_co_u32_e32 v24, vcc, s24, v24
	v_ashrrev_i32_e32 v23, 31, v22
	v_addc_co_u32_e32 v25, vcc, v94, v25, vcc
	v_lshlrev_b64 v[22:23], 2, v[22:23]
	v_readlane_b32 s28, v103, 34
	v_add_u32_e32 v60, s17, v89
	v_ashrrev_i32_e32 v61, 31, v60
	v_lshlrev_b64 v[60:61], 2, v[60:61]
	s_waitcnt vmcnt(9)
	ds_write_b32 v91, v32 offset:64
	s_waitcnt vmcnt(8)
	ds_write_b32 v91, v33 offset:328
	;; [unrolled: 2-line block ×8, first 2 shown]
	v_add_co_u32_e32 v26, vcc, s24, v22
	v_add_u32_e32 v22, s28, v89
	v_addc_co_u32_e32 v27, vcc, v94, v23, vcc
	v_ashrrev_i32_e32 v23, 31, v22
	v_lshlrev_b64 v[22:23], 2, v[22:23]
	v_add_co_u32_e32 v28, vcc, s24, v22
	v_add_u32_e32 v22, s75, v89
	v_addc_co_u32_e32 v29, vcc, v94, v23, vcc
	v_ashrrev_i32_e32 v23, 31, v22
	v_lshlrev_b64 v[22:23], 2, v[22:23]
	;; [unrolled: 5-line block ×6, first 2 shown]
	v_add_co_u32_e32 v38, vcc, s24, v22
	v_addc_co_u32_e32 v39, vcc, v94, v23, vcc
	global_load_dword v22, v[24:25], off
	global_load_dword v23, v[26:27], off
	s_nop 0
	global_load_dword v24, v[28:29], off
	global_load_dword v25, v[30:31], off
	;; [unrolled: 1-line block ×4, first 2 shown]
	s_nop 0
	global_load_dword v34, v[36:37], off
	global_load_dword v35, v[38:39], off
	v_add_u32_e32 v28, s53, v89
	v_ashrrev_i32_e32 v29, 31, v28
	v_lshlrev_b64 v[28:29], 2, v[28:29]
	v_add_u32_e32 v30, s80, v89
	v_add_co_u32_e32 v28, vcc, s24, v28
	v_ashrrev_i32_e32 v31, 31, v30
	v_addc_co_u32_e32 v29, vcc, v94, v29, vcc
	v_lshlrev_b64 v[30:31], 2, v[30:31]
	v_add_u32_e32 v32, s81, v89
	v_add_co_u32_e32 v30, vcc, s24, v30
	v_ashrrev_i32_e32 v33, 31, v32
	v_addc_co_u32_e32 v31, vcc, v94, v31, vcc
	;; [unrolled: 5-line block ×4, first 2 shown]
	v_lshlrev_b64 v[38:39], 2, v[38:39]
	v_add_co_u32_e32 v42, vcc, s24, v38
	v_add_u32_e32 v38, s84, v89
	v_addc_co_u32_e32 v43, vcc, v94, v39, vcc
	v_ashrrev_i32_e32 v39, 31, v38
	v_lshlrev_b64 v[38:39], 2, v[38:39]
	v_add_co_u32_e32 v44, vcc, s24, v38
	v_add_u32_e32 v38, s85, v89
	v_addc_co_u32_e32 v45, vcc, v94, v39, vcc
	v_ashrrev_i32_e32 v39, 31, v38
	;; [unrolled: 5-line block ×3, first 2 shown]
	v_lshlrev_b64 v[38:39], 2, v[38:39]
	v_add_co_u32_e32 v48, vcc, s24, v38
	v_addc_co_u32_e32 v49, vcc, v94, v39, vcc
	global_load_dword v38, v[28:29], off
	global_load_dword v39, v[30:31], off
	;; [unrolled: 1-line block ×4, first 2 shown]
	s_nop 0
	global_load_dword v42, v[42:43], off
	s_nop 0
	global_load_dword v43, v[44:45], off
	;; [unrolled: 2-line block ×3, first 2 shown]
	global_load_dword v45, v[48:49], off
	v_add_u32_e32 v28, s87, v89
	v_ashrrev_i32_e32 v29, 31, v28
	v_lshlrev_b64 v[28:29], 2, v[28:29]
	v_add_u32_e32 v30, s88, v89
	v_add_co_u32_e32 v28, vcc, s24, v28
	v_ashrrev_i32_e32 v31, 31, v30
	v_addc_co_u32_e32 v29, vcc, v94, v29, vcc
	v_lshlrev_b64 v[30:31], 2, v[30:31]
	v_add_u32_e32 v32, s89, v89
	v_add_co_u32_e32 v30, vcc, s24, v30
	v_ashrrev_i32_e32 v33, 31, v32
	v_addc_co_u32_e32 v31, vcc, v94, v31, vcc
	;; [unrolled: 5-line block ×4, first 2 shown]
	v_lshlrev_b64 v[46:47], 2, v[46:47]
	v_add_co_u32_e32 v48, vcc, s24, v46
	v_add_u32_e32 v46, s92, v89
	v_addc_co_u32_e32 v49, vcc, v94, v47, vcc
	v_ashrrev_i32_e32 v47, 31, v46
	v_lshlrev_b64 v[46:47], 2, v[46:47]
	v_add_co_u32_e32 v54, vcc, s24, v46
	v_add_u32_e32 v46, s93, v89
	v_addc_co_u32_e32 v55, vcc, v94, v47, vcc
	v_ashrrev_i32_e32 v47, 31, v46
	;; [unrolled: 5-line block ×3, first 2 shown]
	v_lshlrev_b64 v[46:47], 2, v[46:47]
	v_add_co_u32_e32 v58, vcc, s24, v46
	v_addc_co_u32_e32 v59, vcc, v94, v47, vcc
	global_load_dword v46, v[28:29], off
	global_load_dword v47, v[30:31], off
	;; [unrolled: 1-line block ×6, first 2 shown]
	s_nop 0
	global_load_dword v48, v[56:57], off
	global_load_dword v49, v[58:59], off
	v_add_u32_e32 v28, s95, v89
	v_ashrrev_i32_e32 v29, 31, v28
	v_lshlrev_b64 v[28:29], 2, v[28:29]
	v_add_u32_e32 v30, s10, v89
	v_add_co_u32_e32 v28, vcc, s24, v28
	v_ashrrev_i32_e32 v31, 31, v30
	v_addc_co_u32_e32 v29, vcc, v94, v29, vcc
	v_lshlrev_b64 v[30:31], 2, v[30:31]
	v_add_u32_e32 v32, s11, v89
	v_add_co_u32_e32 v30, vcc, s24, v30
	v_ashrrev_i32_e32 v33, 31, v32
	v_addc_co_u32_e32 v31, vcc, v94, v31, vcc
	;; [unrolled: 5-line block ×6, first 2 shown]
	v_lshlrev_b64 v[58:59], 2, v[58:59]
	v_add_co_u32_e32 v58, vcc, s24, v58
	v_addc_co_u32_e32 v59, vcc, v94, v59, vcc
	v_add_co_u32_e32 v60, vcc, s24, v60
	v_addc_co_u32_e32 v61, vcc, v94, v61, vcc
	global_load_dword v62, v[28:29], off
	global_load_dword v63, v[30:31], off
	;; [unrolled: 1-line block ×8, first 2 shown]
	v_add_u32_e32 v28, s59, v89
	v_ashrrev_i32_e32 v29, 31, v28
	v_lshlrev_b64 v[28:29], 2, v[28:29]
	v_add_u32_e32 v30, s60, v89
	v_add_co_u32_e32 v28, vcc, s24, v28
	v_ashrrev_i32_e32 v31, 31, v30
	v_addc_co_u32_e32 v29, vcc, v94, v29, vcc
	v_lshlrev_b64 v[30:31], 2, v[30:31]
	v_add_u32_e32 v32, s61, v89
	v_add_co_u32_e32 v30, vcc, s24, v30
	v_ashrrev_i32_e32 v33, 31, v32
	v_addc_co_u32_e32 v31, vcc, v94, v31, vcc
	v_lshlrev_b64 v[32:33], 2, v[32:33]
	v_add_u32_e32 v36, s62, v89
	v_add_co_u32_e32 v32, vcc, s24, v32
	v_ashrrev_i32_e32 v37, 31, v36
	v_addc_co_u32_e32 v33, vcc, v94, v33, vcc
	v_lshlrev_b64 v[36:37], 2, v[36:37]
	v_add_u32_e32 v54, s63, v89
	v_add_co_u32_e32 v36, vcc, s24, v36
	v_ashrrev_i32_e32 v55, 31, v54
	v_addc_co_u32_e32 v37, vcc, v94, v37, vcc
	v_lshlrev_b64 v[54:55], 2, v[54:55]
	v_add_u32_e32 v56, s4, v89
	v_add_co_u32_e32 v54, vcc, s24, v54
	v_ashrrev_i32_e32 v57, 31, v56
	v_addc_co_u32_e32 v55, vcc, v94, v55, vcc
	v_lshlrev_b64 v[56:57], 2, v[56:57]
	v_add_u32_e32 v58, s5, v89
	v_add_co_u32_e32 v56, vcc, s24, v56
	v_ashrrev_i32_e32 v59, 31, v58
	v_addc_co_u32_e32 v57, vcc, v94, v57, vcc
	v_lshlrev_b64 v[58:59], 2, v[58:59]
	v_add_u32_e32 v60, s2, v89
	v_add_co_u32_e32 v58, vcc, s24, v58
	v_ashrrev_i32_e32 v61, 31, v60
	v_addc_co_u32_e32 v59, vcc, v94, v59, vcc
	v_lshlrev_b64 v[60:61], 2, v[60:61]
	v_add_co_u32_e32 v60, vcc, s24, v60
	v_addc_co_u32_e32 v61, vcc, v94, v61, vcc
	global_load_dword v70, v[28:29], off
	global_load_dword v71, v[30:31], off
	;; [unrolled: 1-line block ×8, first 2 shown]
	v_add_u32_e32 v28, s3, v89
	v_ashrrev_i32_e32 v29, 31, v28
	v_lshlrev_b64 v[28:29], 2, v[28:29]
	v_add_u32_e32 v30, s0, v89
	v_add_co_u32_e32 v28, vcc, s24, v28
	v_ashrrev_i32_e32 v31, 31, v30
	v_addc_co_u32_e32 v29, vcc, v94, v29, vcc
	v_lshlrev_b64 v[30:31], 2, v[30:31]
	v_add_u32_e32 v32, s1, v89
	v_add_co_u32_e32 v30, vcc, s24, v30
	v_ashrrev_i32_e32 v33, 31, v32
	v_addc_co_u32_e32 v31, vcc, v94, v31, vcc
	;; [unrolled: 5-line block ×7, first 2 shown]
	v_lshlrev_b64 v[60:61], 2, v[60:61]
	v_add_co_u32_e32 v60, vcc, s24, v60
	v_addc_co_u32_e32 v61, vcc, v94, v61, vcc
	global_load_dword v78, v[28:29], off
	global_load_dword v79, v[30:31], off
	;; [unrolled: 1-line block ×8, first 2 shown]
	v_add_u32_e32 v28, s8, v89
	v_ashrrev_i32_e32 v29, 31, v28
	v_lshlrev_b64 v[28:29], 2, v[28:29]
	v_add_u32_e32 v30, s65, v89
	v_add_co_u32_e32 v28, vcc, s24, v28
	v_ashrrev_i32_e32 v31, 31, v30
	v_addc_co_u32_e32 v29, vcc, v94, v29, vcc
	v_lshlrev_b64 v[30:31], 2, v[30:31]
	v_add_u32_e32 v32, s67, v89
	v_add_co_u32_e32 v30, vcc, s24, v30
	v_ashrrev_i32_e32 v33, 31, v32
	v_addc_co_u32_e32 v31, vcc, v94, v31, vcc
	;; [unrolled: 5-line block ×5, first 2 shown]
	v_lshlrev_b64 v[56:57], 2, v[56:57]
	v_add_co_u32_e32 v56, vcc, s24, v56
	v_addc_co_u32_e32 v57, vcc, v94, v57, vcc
	global_load_dword v97, v[28:29], off
	global_load_dword v98, v[30:31], off
	;; [unrolled: 1-line block ×6, first 2 shown]
	s_waitcnt vmcnt(55)
	ds_write_b32 v91, v20 offset:2176
	s_waitcnt vmcnt(54)
	ds_write_b32 v91, v21 offset:2440
	s_waitcnt vmcnt(53)
	ds_write_b32 v91, v22 offset:2704
	s_waitcnt vmcnt(52)
	ds_write_b32 v91, v23 offset:2968
	s_waitcnt vmcnt(51)
	ds_write_b32 v91, v24 offset:3232
	s_waitcnt vmcnt(50)
	ds_write_b32 v91, v25 offset:3496
	s_waitcnt vmcnt(49)
	ds_write_b32 v91, v26 offset:3760
	s_waitcnt vmcnt(48)
	ds_write_b32 v91, v27 offset:4024
	ds_read_b64 v[36:37], v92 offset:64
	ds_read_b64 v[32:33], v92 offset:96
	ds_read_b64 v[30:31], v92 offset:128
	ds_read_b64 v[28:29], v92 offset:160
	ds_read_b64 v[26:27], v92 offset:192
	ds_read_b64 v[24:25], v92 offset:224
	ds_read_b64 v[22:23], v92 offset:256
	ds_read_b64 v[20:21], v92 offset:288
	s_waitcnt vmcnt(47)
	ds_write_b32 v91, v34 offset:64
	s_waitcnt vmcnt(46)
	ds_write_b32 v91, v35 offset:328
	s_waitcnt vmcnt(45)
	ds_write_b32 v91, v38 offset:592
	s_waitcnt vmcnt(44)
	ds_write_b32 v91, v39 offset:856
	s_waitcnt vmcnt(43)
	ds_write_b32 v91, v40 offset:1120
	s_waitcnt vmcnt(42)
	ds_write_b32 v91, v41 offset:1384
	s_waitcnt vmcnt(41)
	ds_write_b32 v91, v42 offset:1648
	s_waitcnt vmcnt(40)
	ds_write_b32 v91, v43 offset:1912
	s_waitcnt vmcnt(39)
	ds_write_b32 v91, v44 offset:2176
	s_waitcnt vmcnt(38)
	ds_write_b32 v91, v45 offset:2440
	s_waitcnt vmcnt(37)
	ds_write_b32 v91, v46 offset:2704
	s_waitcnt vmcnt(36)
	ds_write_b32 v91, v47 offset:2968
	s_waitcnt vmcnt(35)
	ds_write_b32 v91, v50 offset:3232
	s_waitcnt vmcnt(34)
	ds_write_b32 v91, v51 offset:3496
	s_waitcnt vmcnt(33)
	ds_write_b32 v91, v52 offset:3760
	s_waitcnt vmcnt(32)
	ds_write_b32 v91, v53 offset:4024
	ds_read_b64 v[52:53], v92 offset:64
	ds_read_b64 v[50:51], v92 offset:96
	ds_read_b64 v[46:47], v92 offset:128
	ds_read_b64 v[44:45], v92 offset:160
	ds_read_b64 v[42:43], v92 offset:192
	ds_read_b64 v[40:41], v92 offset:224
	ds_read_b64 v[38:39], v92 offset:256
	ds_read_b64 v[34:35], v92 offset:288
	s_waitcnt vmcnt(31)
	ds_write_b32 v91, v48 offset:64
	s_waitcnt vmcnt(30)
	ds_write_b32 v91, v49 offset:328
	s_waitcnt vmcnt(29)
	ds_write_b32 v91, v62 offset:592
	s_waitcnt vmcnt(28)
	ds_write_b32 v91, v63 offset:856
	s_waitcnt vmcnt(27)
	ds_write_b32 v91, v64 offset:1120
	s_waitcnt vmcnt(26)
	ds_write_b32 v91, v65 offset:1384
	s_waitcnt vmcnt(25)
	ds_write_b32 v91, v66 offset:1648
	s_waitcnt vmcnt(24)
	ds_write_b32 v91, v67 offset:1912
	;; [unrolled: 40-line block ×3, first 2 shown]
	s_waitcnt vmcnt(7)
	ds_write_b32 v91, v84 offset:2176
	s_waitcnt vmcnt(6)
	ds_write_b32 v91, v85 offset:2440
	;; [unrolled: 2-line block ×8, first 2 shown]
	ds_read_b64 v[82:83], v92 offset:64
	ds_read_b64 v[80:81], v92 offset:96
	;; [unrolled: 1-line block ×8, first 2 shown]
	s_andn2_b64 vcc, exec, s[6:7]
	v_mov_b32_e32 v84, 0
	v_mov_b32_e32 v85, 0
	s_cbranch_vccnz .LBB145_36
; %bb.34:                               ;   in Loop: Header=BB145_33 Depth=1
	ds_read_b32 v97, v90
	v_mov_b32_e32 v85, 0
	v_mov_b32_e32 v84, 0
	s_waitcnt lgkmcnt(0)
	v_cmp_gt_i32_e32 vcc, 0, v97
	s_cbranch_vccnz .LBB145_36
; %bb.35:                               ;   in Loop: Header=BB145_33 Depth=1
	v_mul_lo_u32 v84, v97, s25
	v_add_u32_e32 v84, v93, v84
	v_ashrrev_i32_e32 v85, 31, v84
	v_lshlrev_b64 v[84:85], 2, v[84:85]
	v_mov_b32_e32 v97, s33
	v_add_co_u32_e32 v84, vcc, s27, v84
	v_addc_co_u32_e32 v85, vcc, v97, v85, vcc
	global_load_dwordx2 v[84:85], v[84:85], off
.LBB145_36:                             ;   in Loop: Header=BB145_33 Depth=1
	s_waitcnt vmcnt(0)
	v_and_b32_e32 v97, 0x7f800000, v84
	v_cmp_ne_u32_e32 vcc, s72, v97
                                        ; implicit-def: $vgpr97
	s_and_saveexec_b64 s[28:29], vcc
	s_xor_b64 s[28:29], exec, s[28:29]
; %bb.37:                               ;   in Loop: Header=BB145_33 Depth=1
	v_bfe_u32 v97, v84, 16, 1
	v_add3_u32 v97, v84, v97, s73
; %bb.38:                               ;   in Loop: Header=BB145_33 Depth=1
	s_andn2_saveexec_b64 s[28:29], s[28:29]
; %bb.39:                               ;   in Loop: Header=BB145_33 Depth=1
	v_or_b32_e32 v97, 0x10000, v84
	v_cmp_eq_u32_sdwa vcc, v84, v95 src0_sel:WORD_0 src1_sel:DWORD
	v_cndmask_b32_e32 v97, v97, v84, vcc
; %bb.40:                               ;   in Loop: Header=BB145_33 Depth=1
	s_or_b64 exec, exec, s[28:29]
	v_and_b32_e32 v84, 0x7f800000, v85
	v_cmp_ne_u32_e32 vcc, s72, v84
                                        ; implicit-def: $vgpr84
	s_and_saveexec_b64 s[28:29], vcc
	s_xor_b64 s[28:29], exec, s[28:29]
; %bb.41:                               ;   in Loop: Header=BB145_33 Depth=1
	v_bfe_u32 v84, v85, 16, 1
	v_add3_u32 v84, v85, v84, s73
                                        ; implicit-def: $vgpr85
; %bb.42:                               ;   in Loop: Header=BB145_33 Depth=1
	s_andn2_saveexec_b64 s[28:29], s[28:29]
; %bb.43:                               ;   in Loop: Header=BB145_33 Depth=1
	v_or_b32_e32 v84, 0x10000, v85
	v_cmp_eq_u32_sdwa vcc, v85, v95 src0_sel:WORD_0 src1_sel:DWORD
	v_cndmask_b32_e32 v84, v84, v85, vcc
; %bb.44:                               ;   in Loop: Header=BB145_33 Depth=1
	s_or_b64 exec, exec, s[28:29]
	v_perm_b32 v84, v84, v97, s74
	ds_write_b32 v91, v84 offset:64
	s_andn2_b64 vcc, exec, s[12:13]
	v_mov_b32_e32 v84, 0
	v_mov_b32_e32 v85, 0
	s_cbranch_vccnz .LBB145_47
; %bb.45:                               ;   in Loop: Header=BB145_33 Depth=1
	ds_read_b32 v97, v90 offset:4
	v_mov_b32_e32 v85, 0
	v_mov_b32_e32 v84, 0
	s_waitcnt lgkmcnt(0)
	v_cmp_gt_i32_e32 vcc, 0, v97
	s_cbranch_vccnz .LBB145_47
; %bb.46:                               ;   in Loop: Header=BB145_33 Depth=1
	v_mul_lo_u32 v84, v97, s25
	v_readlane_b32 s28, v103, 26
	v_add_u32_e32 v84, s28, v84
	v_add_u32_e32 v84, v84, v93
	v_ashrrev_i32_e32 v85, 31, v84
	v_lshlrev_b64 v[84:85], 2, v[84:85]
	v_mov_b32_e32 v97, s33
	v_add_co_u32_e32 v84, vcc, s27, v84
	v_addc_co_u32_e32 v85, vcc, v97, v85, vcc
	global_load_dwordx2 v[84:85], v[84:85], off
.LBB145_47:                             ;   in Loop: Header=BB145_33 Depth=1
	s_waitcnt vmcnt(0)
	v_and_b32_e32 v97, 0x7f800000, v84
	v_cmp_ne_u32_e32 vcc, s72, v97
                                        ; implicit-def: $vgpr97
	s_and_saveexec_b64 s[28:29], vcc
	s_xor_b64 s[28:29], exec, s[28:29]
; %bb.48:                               ;   in Loop: Header=BB145_33 Depth=1
	v_bfe_u32 v97, v84, 16, 1
	v_add3_u32 v97, v84, v97, s73
; %bb.49:                               ;   in Loop: Header=BB145_33 Depth=1
	s_andn2_saveexec_b64 s[28:29], s[28:29]
; %bb.50:                               ;   in Loop: Header=BB145_33 Depth=1
	v_or_b32_e32 v97, 0x10000, v84
	v_cmp_eq_u32_sdwa vcc, v84, v95 src0_sel:WORD_0 src1_sel:DWORD
	v_cndmask_b32_e32 v97, v97, v84, vcc
; %bb.51:                               ;   in Loop: Header=BB145_33 Depth=1
	s_or_b64 exec, exec, s[28:29]
	v_and_b32_e32 v84, 0x7f800000, v85
	v_cmp_ne_u32_e32 vcc, s72, v84
                                        ; implicit-def: $vgpr84
	s_and_saveexec_b64 s[28:29], vcc
	s_xor_b64 s[28:29], exec, s[28:29]
; %bb.52:                               ;   in Loop: Header=BB145_33 Depth=1
	v_bfe_u32 v84, v85, 16, 1
	v_add3_u32 v84, v85, v84, s73
                                        ; implicit-def: $vgpr85
; %bb.53:                               ;   in Loop: Header=BB145_33 Depth=1
	s_andn2_saveexec_b64 s[28:29], s[28:29]
; %bb.54:                               ;   in Loop: Header=BB145_33 Depth=1
	v_or_b32_e32 v84, 0x10000, v85
	v_cmp_eq_u32_sdwa vcc, v85, v95 src0_sel:WORD_0 src1_sel:DWORD
	v_cndmask_b32_e32 v84, v84, v85, vcc
; %bb.55:                               ;   in Loop: Header=BB145_33 Depth=1
	s_or_b64 exec, exec, s[28:29]
	v_perm_b32 v84, v84, v97, s74
	ds_write_b32 v91, v84 offset:328
	s_andn2_b64 vcc, exec, s[22:23]
	v_mov_b32_e32 v84, 0
	v_mov_b32_e32 v85, 0
	s_cbranch_vccnz .LBB145_58
; %bb.56:                               ;   in Loop: Header=BB145_33 Depth=1
	ds_read_b32 v97, v90 offset:8
	v_mov_b32_e32 v85, 0
	v_mov_b32_e32 v84, 0
	s_waitcnt lgkmcnt(0)
	v_cmp_gt_i32_e32 vcc, 0, v97
	s_cbranch_vccnz .LBB145_58
; %bb.57:                               ;   in Loop: Header=BB145_33 Depth=1
	v_mul_lo_u32 v84, v97, s25
	v_readlane_b32 s28, v103, 14
	v_add_u32_e32 v84, s28, v84
	v_add_u32_e32 v84, v84, v93
	v_ashrrev_i32_e32 v85, 31, v84
	v_lshlrev_b64 v[84:85], 2, v[84:85]
	v_mov_b32_e32 v97, s33
	v_add_co_u32_e32 v84, vcc, s27, v84
	v_addc_co_u32_e32 v85, vcc, v97, v85, vcc
	global_load_dwordx2 v[84:85], v[84:85], off
.LBB145_58:                             ;   in Loop: Header=BB145_33 Depth=1
	;; [unrolled: 59-line block ×5, first 2 shown]
	s_waitcnt vmcnt(0)
	v_and_b32_e32 v97, 0x7f800000, v84
	v_cmp_ne_u32_e32 vcc, s72, v97
                                        ; implicit-def: $vgpr97
	s_and_saveexec_b64 s[28:29], vcc
	s_xor_b64 s[28:29], exec, s[28:29]
; %bb.92:                               ;   in Loop: Header=BB145_33 Depth=1
	v_bfe_u32 v97, v84, 16, 1
	v_add3_u32 v97, v84, v97, s73
; %bb.93:                               ;   in Loop: Header=BB145_33 Depth=1
	s_andn2_saveexec_b64 s[28:29], s[28:29]
; %bb.94:                               ;   in Loop: Header=BB145_33 Depth=1
	v_or_b32_e32 v97, 0x10000, v84
	v_cmp_eq_u32_sdwa vcc, v84, v95 src0_sel:WORD_0 src1_sel:DWORD
	v_cndmask_b32_e32 v97, v97, v84, vcc
; %bb.95:                               ;   in Loop: Header=BB145_33 Depth=1
	s_or_b64 exec, exec, s[28:29]
	v_and_b32_e32 v84, 0x7f800000, v85
	v_cmp_ne_u32_e32 vcc, s72, v84
                                        ; implicit-def: $vgpr84
	s_and_saveexec_b64 s[28:29], vcc
	s_xor_b64 s[28:29], exec, s[28:29]
; %bb.96:                               ;   in Loop: Header=BB145_33 Depth=1
	v_bfe_u32 v84, v85, 16, 1
	v_add3_u32 v84, v85, v84, s73
                                        ; implicit-def: $vgpr85
; %bb.97:                               ;   in Loop: Header=BB145_33 Depth=1
	s_andn2_saveexec_b64 s[28:29], s[28:29]
; %bb.98:                               ;   in Loop: Header=BB145_33 Depth=1
	v_or_b32_e32 v84, 0x10000, v85
	v_cmp_eq_u32_sdwa vcc, v85, v95 src0_sel:WORD_0 src1_sel:DWORD
	v_cndmask_b32_e32 v84, v84, v85, vcc
; %bb.99:                               ;   in Loop: Header=BB145_33 Depth=1
	s_or_b64 exec, exec, s[28:29]
	v_perm_b32 v84, v84, v97, s74
	ds_write_b32 v91, v84 offset:1384
	s_andn2_b64 vcc, exec, s[38:39]
	v_mov_b32_e32 v84, 0
	v_mov_b32_e32 v85, 0
	s_cbranch_vccnz .LBB145_102
; %bb.100:                              ;   in Loop: Header=BB145_33 Depth=1
	ds_read_b32 v97, v90 offset:24
	v_mov_b32_e32 v85, 0
	v_mov_b32_e32 v84, 0
	s_waitcnt lgkmcnt(0)
	v_cmp_gt_i32_e32 vcc, 0, v97
	s_cbranch_vccnz .LBB145_102
; %bb.101:                              ;   in Loop: Header=BB145_33 Depth=1
	v_mul_lo_u32 v84, v97, s25
	v_readlane_b32 s28, v103, 20
	v_add_u32_e32 v84, s28, v84
	v_add_u32_e32 v84, v84, v93
	v_ashrrev_i32_e32 v85, 31, v84
	v_lshlrev_b64 v[84:85], 2, v[84:85]
	v_mov_b32_e32 v97, s33
	v_add_co_u32_e32 v84, vcc, s27, v84
	v_addc_co_u32_e32 v85, vcc, v97, v85, vcc
	global_load_dwordx2 v[84:85], v[84:85], off
.LBB145_102:                            ;   in Loop: Header=BB145_33 Depth=1
	s_waitcnt vmcnt(0)
	v_and_b32_e32 v97, 0x7f800000, v84
	v_cmp_ne_u32_e32 vcc, s72, v97
                                        ; implicit-def: $vgpr97
	s_and_saveexec_b64 s[28:29], vcc
	s_xor_b64 s[28:29], exec, s[28:29]
; %bb.103:                              ;   in Loop: Header=BB145_33 Depth=1
	v_bfe_u32 v97, v84, 16, 1
	v_add3_u32 v97, v84, v97, s73
; %bb.104:                              ;   in Loop: Header=BB145_33 Depth=1
	s_andn2_saveexec_b64 s[28:29], s[28:29]
; %bb.105:                              ;   in Loop: Header=BB145_33 Depth=1
	v_or_b32_e32 v97, 0x10000, v84
	v_cmp_eq_u32_sdwa vcc, v84, v95 src0_sel:WORD_0 src1_sel:DWORD
	v_cndmask_b32_e32 v97, v97, v84, vcc
; %bb.106:                              ;   in Loop: Header=BB145_33 Depth=1
	s_or_b64 exec, exec, s[28:29]
	v_and_b32_e32 v84, 0x7f800000, v85
	v_cmp_ne_u32_e32 vcc, s72, v84
                                        ; implicit-def: $vgpr84
	s_and_saveexec_b64 s[28:29], vcc
	s_xor_b64 s[28:29], exec, s[28:29]
; %bb.107:                              ;   in Loop: Header=BB145_33 Depth=1
	v_bfe_u32 v84, v85, 16, 1
	v_add3_u32 v84, v85, v84, s73
                                        ; implicit-def: $vgpr85
; %bb.108:                              ;   in Loop: Header=BB145_33 Depth=1
	s_andn2_saveexec_b64 s[28:29], s[28:29]
; %bb.109:                              ;   in Loop: Header=BB145_33 Depth=1
	v_or_b32_e32 v84, 0x10000, v85
	v_cmp_eq_u32_sdwa vcc, v85, v95 src0_sel:WORD_0 src1_sel:DWORD
	v_cndmask_b32_e32 v84, v84, v85, vcc
; %bb.110:                              ;   in Loop: Header=BB145_33 Depth=1
	s_or_b64 exec, exec, s[28:29]
	v_perm_b32 v84, v84, v97, s74
	ds_write_b32 v91, v84 offset:1648
	s_andn2_b64 vcc, exec, s[40:41]
	v_mov_b32_e32 v84, 0
	v_mov_b32_e32 v85, 0
	s_cbranch_vccnz .LBB145_113
; %bb.111:                              ;   in Loop: Header=BB145_33 Depth=1
	ds_read_b32 v97, v90 offset:28
	v_mov_b32_e32 v85, 0
	v_mov_b32_e32 v84, 0
	s_waitcnt lgkmcnt(0)
	v_cmp_gt_i32_e32 vcc, 0, v97
	s_cbranch_vccnz .LBB145_113
; %bb.112:                              ;   in Loop: Header=BB145_33 Depth=1
	v_mul_lo_u32 v84, v97, s25
	v_readlane_b32 s28, v103, 25
	v_add_u32_e32 v84, s28, v84
	v_add_u32_e32 v84, v84, v93
	v_ashrrev_i32_e32 v85, 31, v84
	v_lshlrev_b64 v[84:85], 2, v[84:85]
	v_mov_b32_e32 v97, s33
	v_add_co_u32_e32 v84, vcc, s27, v84
	v_addc_co_u32_e32 v85, vcc, v97, v85, vcc
	global_load_dwordx2 v[84:85], v[84:85], off
.LBB145_113:                            ;   in Loop: Header=BB145_33 Depth=1
	s_waitcnt vmcnt(0)
	v_and_b32_e32 v97, 0x7f800000, v84
	v_cmp_ne_u32_e32 vcc, s72, v97
                                        ; implicit-def: $vgpr97
	s_and_saveexec_b64 s[28:29], vcc
	s_xor_b64 s[28:29], exec, s[28:29]
; %bb.114:                              ;   in Loop: Header=BB145_33 Depth=1
	v_bfe_u32 v97, v84, 16, 1
	v_add3_u32 v97, v84, v97, s73
; %bb.115:                              ;   in Loop: Header=BB145_33 Depth=1
	s_andn2_saveexec_b64 s[28:29], s[28:29]
; %bb.116:                              ;   in Loop: Header=BB145_33 Depth=1
	v_or_b32_e32 v97, 0x10000, v84
	v_cmp_eq_u32_sdwa vcc, v84, v95 src0_sel:WORD_0 src1_sel:DWORD
	v_cndmask_b32_e32 v97, v97, v84, vcc
; %bb.117:                              ;   in Loop: Header=BB145_33 Depth=1
	s_or_b64 exec, exec, s[28:29]
	v_and_b32_e32 v84, 0x7f800000, v85
	v_cmp_ne_u32_e32 vcc, s72, v84
                                        ; implicit-def: $vgpr84
	s_and_saveexec_b64 s[28:29], vcc
	s_xor_b64 s[28:29], exec, s[28:29]
; %bb.118:                              ;   in Loop: Header=BB145_33 Depth=1
	v_bfe_u32 v84, v85, 16, 1
	v_add3_u32 v84, v85, v84, s73
                                        ; implicit-def: $vgpr85
; %bb.119:                              ;   in Loop: Header=BB145_33 Depth=1
	s_andn2_saveexec_b64 s[28:29], s[28:29]
; %bb.120:                              ;   in Loop: Header=BB145_33 Depth=1
	v_or_b32_e32 v84, 0x10000, v85
	v_cmp_eq_u32_sdwa vcc, v85, v95 src0_sel:WORD_0 src1_sel:DWORD
	v_cndmask_b32_e32 v84, v84, v85, vcc
; %bb.121:                              ;   in Loop: Header=BB145_33 Depth=1
	;; [unrolled: 59-line block ×6, first 2 shown]
	s_or_b64 exec, exec, s[28:29]
	v_perm_b32 v84, v84, v97, s74
	ds_write_b32 v91, v84 offset:2968
	s_andn2_b64 vcc, exec, s[50:51]
	v_mov_b32_e32 v84, 0
	v_mov_b32_e32 v85, 0
	s_cbranch_vccnz .LBB145_168
; %bb.166:                              ;   in Loop: Header=BB145_33 Depth=1
	ds_read_b32 v97, v90 offset:48
	v_mov_b32_e32 v85, 0
	v_mov_b32_e32 v84, 0
	s_waitcnt lgkmcnt(0)
	v_cmp_gt_i32_e32 vcc, 0, v97
	s_cbranch_vccnz .LBB145_168
; %bb.167:                              ;   in Loop: Header=BB145_33 Depth=1
	v_mul_lo_u32 v84, v97, s25
	v_readlane_b32 s28, v103, 21
	v_add_u32_e32 v84, s28, v84
	v_add_u32_e32 v84, v84, v93
	v_ashrrev_i32_e32 v85, 31, v84
	v_lshlrev_b64 v[84:85], 2, v[84:85]
	v_mov_b32_e32 v97, s33
	v_add_co_u32_e32 v84, vcc, s27, v84
	v_addc_co_u32_e32 v85, vcc, v97, v85, vcc
	global_load_dwordx2 v[84:85], v[84:85], off
.LBB145_168:                            ;   in Loop: Header=BB145_33 Depth=1
	s_waitcnt vmcnt(0)
	v_and_b32_e32 v97, 0x7f800000, v84
	v_cmp_ne_u32_e32 vcc, s72, v97
                                        ; implicit-def: $vgpr97
	s_and_saveexec_b64 s[28:29], vcc
	s_xor_b64 s[28:29], exec, s[28:29]
; %bb.169:                              ;   in Loop: Header=BB145_33 Depth=1
	v_bfe_u32 v97, v84, 16, 1
	v_add3_u32 v97, v84, v97, s73
; %bb.170:                              ;   in Loop: Header=BB145_33 Depth=1
	s_andn2_saveexec_b64 s[28:29], s[28:29]
; %bb.171:                              ;   in Loop: Header=BB145_33 Depth=1
	v_or_b32_e32 v97, 0x10000, v84
	v_cmp_eq_u32_sdwa vcc, v84, v95 src0_sel:WORD_0 src1_sel:DWORD
	v_cndmask_b32_e32 v97, v97, v84, vcc
; %bb.172:                              ;   in Loop: Header=BB145_33 Depth=1
	s_or_b64 exec, exec, s[28:29]
	v_and_b32_e32 v84, 0x7f800000, v85
	v_cmp_ne_u32_e32 vcc, s72, v84
                                        ; implicit-def: $vgpr84
	s_and_saveexec_b64 s[28:29], vcc
	s_xor_b64 s[28:29], exec, s[28:29]
; %bb.173:                              ;   in Loop: Header=BB145_33 Depth=1
	v_bfe_u32 v84, v85, 16, 1
	v_add3_u32 v84, v85, v84, s73
                                        ; implicit-def: $vgpr85
; %bb.174:                              ;   in Loop: Header=BB145_33 Depth=1
	s_andn2_saveexec_b64 s[28:29], s[28:29]
	s_cbranch_execz .LBB145_32
; %bb.175:                              ;   in Loop: Header=BB145_33 Depth=1
	v_or_b32_e32 v84, 0x10000, v85
	v_cmp_eq_u32_sdwa vcc, v85, v95 src0_sel:WORD_0 src1_sel:DWORD
	v_cndmask_b32_e32 v84, v84, v85, vcc
	s_branch .LBB145_32
.LBB145_176:
	s_or_b64 exec, exec, s[18:19]
	v_readlane_b32 s40, v103, 6
	v_readlane_b32 s44, v103, 10
	;; [unrolled: 1-line block ×9, first 2 shown]
.LBB145_177:
	v_readlane_b32 s0, v103, 4
	v_readlane_b32 s1, v103, 5
	s_or_b64 exec, exec, s[0:1]
	v_mul_u32_u24_e32 v18, 0x808, v88
	s_movk_i32 s1, 0x100
	v_lshlrev_b32_e32 v19, 2, v87
	v_add3_u32 v18, s1, v18, v19
	v_and_b32_e32 v20, 0x3f0, v16
	v_add_u32_e32 v21, v18, v20
	s_barrier
	v_add_u32_e32 v19, 64, v18
	ds_write2_b32 v21, v8, v9 offset0:16 offset1:17
	v_or_b32_e32 v9, 12, v16
	v_add_u32_e32 v8, v19, v20
	v_and_b32_e32 v9, 0x3fc, v9
	ds_write_b32 v8, v10 offset:8
	v_add_u32_e32 v10, v18, v9
	ds_write_b32 v10, v11 offset:64
	ds_write2_b32 v8, v4, v5 offset0:16 offset1:17
	ds_write_b32 v8, v6 offset:72
	v_add_u32_e32 v4, v19, v9
	ds_write_b32 v4, v7 offset:64
	ds_write2_b32 v8, v0, v1 offset0:32 offset1:33
	ds_write_b32 v8, v2 offset:136
	ds_write_b32 v4, v3 offset:128
	ds_write2_b32 v8, v12, v13 offset0:48 offset1:49
	ds_write_b32 v8, v14 offset:200
	ds_write_b32 v4, v15 offset:192
	v_mov_b32_e32 v8, 0x100
	s_movk_i32 s0, 0x808
	v_lshl_add_u32 v9, v16, 2, v8
	v_mad_u32_u24 v0, v17, s0, v9
	s_waitcnt lgkmcnt(0)
	s_barrier
	ds_read2_b32 v[6:7], v0 offset0:16 offset1:80
	ds_read2_b32 v[2:3], v0 offset0:144 offset1:208
	v_add_u32_e32 v0, 64, v0
	ds_read2st64_b32 v[4:5], v0 offset0:4 offset1:5
	ds_read2st64_b32 v[0:1], v0 offset0:6 offset1:7
	v_cmp_gt_u32_e32 vcc, 13, v17
	v_mov_b32_e32 v10, -1
	s_and_saveexec_b64 s[4:5], vcc
	s_cbranch_execz .LBB145_179
; %bb.178:
	v_lshl_add_u32 v8, v17, 2, v8
	ds_read_b32 v10, v8
.LBB145_179:
	s_or_b64 exec, exec, s[4:5]
	s_mul_hi_i32 s1, s46, s8
	s_mul_i32 s0, s46, s8
	s_lshl_b64 s[0:1], s[0:1], 2
	v_readlane_b32 s4, v103, 2
	s_mul_hi_i32 s3, s50, s21
	s_mul_i32 s2, s50, s21
	v_readlane_b32 s5, v103, 3
	s_add_u32 s4, s4, s0
	s_addc_u32 s5, s5, s1
	s_lshl_b64 s[0:1], s[2:3], 2
	s_add_u32 s2, s4, s0
	s_waitcnt lgkmcnt(0)
	v_cmp_lt_i32_e32 vcc, -1, v10
	v_add_u32_e32 v8, s6, v16
	s_addc_u32 s3, s5, s1
	s_and_b64 s[4:5], vcc, s[40:41]
	s_and_saveexec_b64 s[0:1], s[4:5]
	s_cbranch_execz .LBB145_181
; %bb.180:
	v_add_f32_e32 v6, 0, v6
	v_add_f32_e32 v6, v6, v7
	;; [unrolled: 1-line block ×8, first 2 shown]
	v_mul_lo_u32 v0, v10, s26
	v_mul_lo_u32 v1, v17, s21
	v_add3_u32 v0, v8, v1, v0
	v_mov_b32_e32 v1, 0
	v_lshlrev_b64 v[0:1], 2, v[0:1]
	v_mov_b32_e32 v3, s3
	v_add_co_u32_e32 v0, vcc, s2, v0
	v_addc_co_u32_e32 v1, vcc, v3, v1, vcc
	global_store_dword v[0:1], v2, off
.LBB145_181:
	s_or_b64 exec, exec, s[0:1]
	v_cmp_gt_u32_e32 vcc, 5, v17
	s_and_saveexec_b64 s[0:1], vcc
	s_cbranch_execz .LBB145_184
; %bb.182:
	v_mov_b32_e32 v0, 0x100
	v_lshl_add_u32 v0, v17, 2, v0
	ds_read_b32 v0, v0 offset:32
	v_readlane_b32 s0, v103, 0
	v_readlane_b32 s1, v103, 1
	s_waitcnt lgkmcnt(0)
	v_cmp_lt_i32_e32 vcc, -1, v0
	s_and_b64 s[0:1], vcc, s[0:1]
	s_and_b64 exec, exec, s[0:1]
	s_cbranch_execz .LBB145_184
; %bb.183:
	v_mul_u32_u24_e32 v1, 0x808, v17
	v_add_u32_e32 v1, v1, v9
	v_add_u32_e32 v6, 0x80, v1
	ds_read2st64_b32 v[2:3], v6 offset0:64 offset1:65
	v_mul_lo_u32 v9, v0, s26
	ds_read2st64_b32 v[0:1], v6 offset0:66 offset1:67
	ds_read2st64_b32 v[4:5], v6 offset0:68 offset1:69
	;; [unrolled: 1-line block ×3, first 2 shown]
	s_waitcnt lgkmcnt(3)
	v_add_f32_e32 v2, 0, v2
	v_add_f32_e32 v2, v2, v3
	s_waitcnt lgkmcnt(2)
	v_add_f32_e32 v0, v2, v0
	v_add_f32_e32 v0, v0, v1
	;; [unrolled: 3-line block ×4, first 2 shown]
	v_mul_lo_u32 v0, v86, s21
	v_add3_u32 v0, v8, v0, v9
	v_mov_b32_e32 v1, 0
	v_lshlrev_b64 v[0:1], 2, v[0:1]
	v_mov_b32_e32 v3, s3
	v_add_co_u32_e32 v0, vcc, s2, v0
	v_addc_co_u32_e32 v1, vcc, v3, v1, vcc
	global_store_dword v[0:1], v2, off
.LBB145_184:
	s_endpgm
	.section	.rodata,"a",@progbits
	.p2align	6, 0x0
	.amdhsa_kernel _ZL9mul_mat_fI15__hip_bfloat162Li64ELi13ELi8ELb1EEvPKT_PKfPKiPfiiiiiiiiiiiiiiii
		.amdhsa_group_segment_fixed_size 256
		.amdhsa_private_segment_fixed_size 0
		.amdhsa_kernarg_size 352
		.amdhsa_user_sgpr_count 6
		.amdhsa_user_sgpr_private_segment_buffer 1
		.amdhsa_user_sgpr_dispatch_ptr 0
		.amdhsa_user_sgpr_queue_ptr 0
		.amdhsa_user_sgpr_kernarg_segment_ptr 1
		.amdhsa_user_sgpr_dispatch_id 0
		.amdhsa_user_sgpr_flat_scratch_init 0
		.amdhsa_user_sgpr_kernarg_preload_length 0
		.amdhsa_user_sgpr_kernarg_preload_offset 0
		.amdhsa_user_sgpr_private_segment_size 0
		.amdhsa_uses_dynamic_stack 0
		.amdhsa_system_sgpr_private_segment_wavefront_offset 0
		.amdhsa_system_sgpr_workgroup_id_x 1
		.amdhsa_system_sgpr_workgroup_id_y 1
		.amdhsa_system_sgpr_workgroup_id_z 1
		.amdhsa_system_sgpr_workgroup_info 0
		.amdhsa_system_vgpr_workitem_id 2
		.amdhsa_next_free_vgpr 104
		.amdhsa_next_free_sgpr 96
		.amdhsa_accum_offset 104
		.amdhsa_reserve_vcc 1
		.amdhsa_reserve_flat_scratch 0
		.amdhsa_float_round_mode_32 0
		.amdhsa_float_round_mode_16_64 0
		.amdhsa_float_denorm_mode_32 3
		.amdhsa_float_denorm_mode_16_64 3
		.amdhsa_dx10_clamp 1
		.amdhsa_ieee_mode 1
		.amdhsa_fp16_overflow 0
		.amdhsa_tg_split 0
		.amdhsa_exception_fp_ieee_invalid_op 0
		.amdhsa_exception_fp_denorm_src 0
		.amdhsa_exception_fp_ieee_div_zero 0
		.amdhsa_exception_fp_ieee_overflow 0
		.amdhsa_exception_fp_ieee_underflow 0
		.amdhsa_exception_fp_ieee_inexact 0
		.amdhsa_exception_int_div_zero 0
	.end_amdhsa_kernel
	.section	.text._ZL9mul_mat_fI15__hip_bfloat162Li64ELi13ELi8ELb1EEvPKT_PKfPKiPfiiiiiiiiiiiiiiii,"axG",@progbits,_ZL9mul_mat_fI15__hip_bfloat162Li64ELi13ELi8ELb1EEvPKT_PKfPKiPfiiiiiiiiiiiiiiii,comdat
.Lfunc_end145:
	.size	_ZL9mul_mat_fI15__hip_bfloat162Li64ELi13ELi8ELb1EEvPKT_PKfPKiPfiiiiiiiiiiiiiiii, .Lfunc_end145-_ZL9mul_mat_fI15__hip_bfloat162Li64ELi13ELi8ELb1EEvPKT_PKfPKiPfiiiiiiiiiiiiiiii
                                        ; -- End function
	.section	.AMDGPU.csdata,"",@progbits
; Kernel info:
; codeLenInByte = 10028
; NumSgprs: 100
; NumVgprs: 104
; NumAgprs: 0
; TotalNumVgprs: 104
; ScratchSize: 0
; MemoryBound: 0
; FloatMode: 240
; IeeeMode: 1
; LDSByteSize: 256 bytes/workgroup (compile time only)
; SGPRBlocks: 12
; VGPRBlocks: 12
; NumSGPRsForWavesPerEU: 100
; NumVGPRsForWavesPerEU: 104
; AccumOffset: 104
; Occupancy: 4
; WaveLimiterHint : 0
; COMPUTE_PGM_RSRC2:SCRATCH_EN: 0
; COMPUTE_PGM_RSRC2:USER_SGPR: 6
; COMPUTE_PGM_RSRC2:TRAP_HANDLER: 0
; COMPUTE_PGM_RSRC2:TGID_X_EN: 1
; COMPUTE_PGM_RSRC2:TGID_Y_EN: 1
; COMPUTE_PGM_RSRC2:TGID_Z_EN: 1
; COMPUTE_PGM_RSRC2:TIDIG_COMP_CNT: 2
; COMPUTE_PGM_RSRC3_GFX90A:ACCUM_OFFSET: 25
; COMPUTE_PGM_RSRC3_GFX90A:TG_SPLIT: 0
	.section	.text._ZL9mul_mat_fI15__hip_bfloat162Li64ELi13ELi8ELb0EEvPKT_PKfPKiPfiiiiiiiiiiiiiiii,"axG",@progbits,_ZL9mul_mat_fI15__hip_bfloat162Li64ELi13ELi8ELb0EEvPKT_PKfPKiPfiiiiiiiiiiiiiiii,comdat
	.globl	_ZL9mul_mat_fI15__hip_bfloat162Li64ELi13ELi8ELb0EEvPKT_PKfPKiPfiiiiiiiiiiiiiiii ; -- Begin function _ZL9mul_mat_fI15__hip_bfloat162Li64ELi13ELi8ELb0EEvPKT_PKfPKiPfiiiiiiiiiiiiiiii
	.p2align	8
	.type	_ZL9mul_mat_fI15__hip_bfloat162Li64ELi13ELi8ELb0EEvPKT_PKfPKiPfiiiiiiiiiiiiiiii,@function
_ZL9mul_mat_fI15__hip_bfloat162Li64ELi13ELi8ELb0EEvPKT_PKfPKiPfiiiiiiiiiiiiiiii: ; @_ZL9mul_mat_fI15__hip_bfloat162Li64ELi13ELi8ELb0EEvPKT_PKfPKiPfiiiiiiiiiiiiiiii
; %bb.0:
	s_load_dwordx8 s[12:19], s[4:5], 0x40
	s_load_dword s9, s[4:5], 0x20
	s_load_dwordx4 s[0:3], s[4:5], 0x2c
	v_bfe_u32 v86, v0, 10, 10
	v_lshlrev_b32_e32 v88, 6, v86
	v_and_b32_e32 v87, 0x3ff, v0
	s_waitcnt lgkmcnt(0)
	s_abs_i32 s27, s12
	s_abs_i32 s26, s16
	v_cvt_f32_u32_e32 v1, s27
	v_cvt_f32_u32_e32 v2, s26
	v_add_u32_e32 v90, v88, v87
	s_mov_b32 s22, 0
	v_rcp_iflag_f32_e32 v1, v1
	v_rcp_iflag_f32_e32 v2, v2
	s_ashr_i32 s28, s8, 31
	v_cmp_le_i32_e32 vcc, s9, v90
	v_mul_f32_e32 v1, 0x4f7ffffe, v1
	v_mul_f32_e32 v2, 0x4f7ffffe, v2
	v_cvt_u32_f32_e32 v1, v1
	v_cvt_u32_f32_e32 v2, v2
	v_and_b32_e32 v89, 15, v87
	v_readfirstlane_b32 s21, v1
	v_readfirstlane_b32 s20, v2
	s_and_saveexec_b64 s[10:11], vcc
	s_xor_b64 s[10:11], exec, s[10:11]
; %bb.1:
	v_and_b32_e32 v89, 15, v87
                                        ; implicit-def: $vgpr90
; %bb.2:
	s_or_saveexec_b64 s[24:25], s[10:11]
	s_load_dwordx2 s[10:11], s[4:5], 0x18
	s_lshl_b32 s3, s6, 6
	v_mov_b32_e32 v7, s22
	v_mov_b32_e32 v6, s22
	;; [unrolled: 1-line block ×16, first 2 shown]
	s_xor_b64 exec, exec, s[24:25]
	s_cbranch_execz .LBB146_110
; %bb.3:
                                        ; implicit-def: $vgpr104 : SGPR spill to VGPR lane
	s_sub_i32 s6, 0, s27
	s_waitcnt lgkmcnt(0)
	v_writelane_b32 v104, s10, 0
	v_writelane_b32 v104, s11, 1
	s_sub_i32 s10, 0, s26
	s_mul_i32 s6, s6, s21
	s_mul_i32 s10, s10, s20
	s_mul_hi_u32 s6, s21, s6
	s_mul_hi_u32 s10, s20, s10
	s_abs_i32 s11, s7
	s_add_i32 s6, s21, s6
	s_abs_i32 s29, s8
	s_add_i32 s10, s20, s10
	s_load_dwordx4 s[20:23], s[4:5], 0x0
	s_mul_hi_u32 s4, s11, s6
	s_mul_hi_u32 s5, s29, s10
	s_ashr_i32 s6, s7, 31
	s_ashr_i32 s10, s12, 31
	s_xor_b32 s6, s6, s10
	s_mul_i32 s10, s4, s27
	s_sub_i32 s10, s11, s10
	s_ashr_i32 s12, s16, 31
	s_add_i32 s11, s4, 1
	s_sub_i32 s16, s10, s27
	s_cmp_ge_u32 s10, s27
	s_cselect_b32 s4, s11, s4
	s_cselect_b32 s10, s16, s10
	s_add_i32 s11, s4, 1
	s_cmp_ge_u32 s10, s27
	s_cselect_b32 s4, s11, s4
	s_mul_i32 s10, s5, s26
	s_xor_b32 s4, s4, s6
	s_sub_i32 s10, s29, s10
	s_sub_i32 s6, s4, s6
	s_xor_b32 s4, s28, s12
	s_add_i32 s11, s5, 1
	s_sub_i32 s12, s10, s26
	s_cmp_ge_u32 s10, s26
	s_cselect_b32 s5, s11, s5
	s_cselect_b32 s10, s12, s10
	s_add_i32 s11, s5, 1
	s_cmp_ge_u32 s10, s26
	s_cselect_b32 s5, s11, s5
	s_xor_b32 s5, s5, s4
	s_sub_i32 s4, s5, s4
	s_mul_hi_i32 s5, s4, s17
	s_mul_i32 s4, s4, s17
	s_mul_i32 s10, s6, s13
	s_ashr_i32 s11, s10, 31
	s_lshl_b64 s[16:17], s[4:5], 2
	s_mul_i32 s12, s3, s0
	s_waitcnt lgkmcnt(0)
	s_add_u32 s6, s20, s16
	s_addc_u32 s27, s21, s17
	s_ashr_i32 s13, s12, 31
	s_lshl_b64 s[12:13], s[12:13], 2
	s_lshl_b64 s[10:11], s[10:11], 2
	s_add_u32 s28, s10, s12
	s_addc_u32 s29, s11, s13
	s_mul_i32 s26, s7, s14
	s_add_u32 s6, s28, s6
	s_mul_hi_i32 s5, s18, s8
	s_mul_i32 s4, s18, s8
	s_addc_u32 s76, s29, s27
	s_ashr_i32 s27, s26, 31
	s_lshl_b64 s[10:11], s[4:5], 2
	s_lshl_b64 s[4:5], s[26:27], 2
	s_add_u32 s22, s22, s4
	s_addc_u32 s23, s23, s5
	s_add_u32 s14, s22, s10
	s_movk_i32 s4, 0x1080
	s_addc_u32 s18, s23, s11
	v_mad_u32_u24 v0, v86, s4, 0
	s_ashr_i32 s5, s0, 31
	s_mov_b32 s4, s0
	v_lshrrev_b32_e32 v3, 1, v87
	s_ashr_i32 s13, s1, 31
	s_lshl_b64 s[4:5], s[4:5], 2
	v_lshlrev_b32_e32 v1, 2, v87
	v_mul_u32_u24_e32 v2, 0x108, v89
	v_and_b32_e32 v3, 0x1f8, v3
	s_add_u32 s16, s28, s16
	v_add_u32_e32 v91, v0, v1
	v_add3_u32 v92, v0, v2, v3
	v_lshlrev_b32_e32 v0, 8, v86
	s_addc_u32 s17, s29, s17
	v_mov_b32_e32 v2, s17
	v_add_co_u32_e32 v0, vcc, s16, v0
	v_addc_co_u32_e32 v2, vcc, 0, v2, vcc
	v_add_co_u32_e32 v0, vcc, v0, v1
	v_addc_co_u32_e32 v1, vcc, 0, v2, vcc
	v_mov_b32_e32 v2, s21
	v_add_co_u32_e32 v16, vcc, s20, v0
	v_addc_co_u32_e32 v17, vcc, v2, v1, vcc
	v_lshlrev_b32_e32 v0, 9, v86
	v_mov_b32_e32 v1, s11
	v_add_co_u32_e32 v0, vcc, s10, v0
	v_addc_co_u32_e32 v1, vcc, 0, v1, vcc
	v_lshlrev_b32_e32 v2, 3, v87
	v_add_co_u32_e32 v0, vcc, v0, v2
	v_addc_co_u32_e32 v1, vcc, 0, v1, vcc
	s_mov_b32 s12, s1
	v_mov_b32_e32 v2, s23
	v_add_co_u32_e32 v18, vcc, s22, v0
	v_mov_b32_e32 v94, 0
	s_lshl_b64 s[12:13], s[12:13], 3
	v_addc_co_u32_e32 v19, vcc, v2, v1, vcc
	s_mul_i32 s20, s0, 63
	s_lshl_b32 s21, s1, 1
	s_mul_i32 s22, s1, 3
	s_lshl_b32 s23, s1, 2
	s_mul_i32 s26, s1, 5
	s_mul_i32 s27, s1, 6
	;; [unrolled: 1-line block ×3, first 2 shown]
	s_lshl_b32 s29, s1, 3
	s_mul_i32 s30, s1, 9
	s_mul_i32 s31, s1, 10
	;; [unrolled: 1-line block ×4, first 2 shown]
	s_lshl_b32 s35, s0, 1
	s_mul_i32 s36, s0, 3
	s_lshl_b32 s37, s0, 2
	s_mul_i32 s38, s0, 5
	s_mul_i32 s39, s0, 6
	;; [unrolled: 1-line block ×3, first 2 shown]
	s_lshl_b32 s41, s0, 3
	s_mul_i32 s42, s0, 9
	s_mul_i32 s43, s0, 10
	s_mul_i32 s44, s0, 11
	s_mul_i32 s45, s0, 12
	s_mul_i32 s46, s0, 13
	s_mul_i32 s47, s0, 14
	s_mul_i32 s48, s0, 15
	s_lshl_b32 s49, s0, 4
	s_mul_i32 s50, s0, 17
	s_mul_i32 s51, s0, 18
	;; [unrolled: 1-line block ×15, first 2 shown]
	s_lshl_b32 s65, s0, 5
	s_mul_i32 s66, s0, 33
	s_mul_i32 s67, s0, 34
	;; [unrolled: 1-line block ×10, first 2 shown]
	v_mov_b32_e32 v93, s76
	s_mul_i32 s76, s0, 43
	v_mov_b32_e32 v95, s5
	v_mov_b32_e32 v12, 0
	;; [unrolled: 1-line block ×17, first 2 shown]
	s_mul_i32 s5, s0, 44
	s_mul_i32 s77, s0, 45
	;; [unrolled: 1-line block ×19, first 2 shown]
	s_mov_b32 s95, 0x7f800000
	s_movk_i32 s10, 0x7fff
	s_mov_b32 s11, 0x7060302
	s_mov_b64 s[0:1], 0
	s_branch .LBB146_5
.LBB146_4:                              ;   in Loop: Header=BB146_5 Depth=1
	s_or_b64 exec, exec, s[16:17]
	v_perm_b32 v84, v97, v96, s11
	v_add_u32_e32 v85, 0xc00, v91
	ds_write2_b32 v85, v84, v94 offset0:24 offset1:90
	ds_write2_b32 v85, v94, v94 offset0:156 offset1:222
	ds_read2_b64 v[96:99], v92 offset1:4
	v_add_co_u32_e32 v16, vcc, 0x800, v16
	v_addc_co_u32_e32 v17, vcc, 0, v17, vcc
	s_waitcnt lgkmcnt(0)
	v_mfma_f32_16x16x16bf16_1k v[4:7], v[36:37], v[96:97], v[4:7]
	v_add_co_u32_e32 v18, vcc, 0x1000, v18
	v_add_u32_e32 v90, 0x200, v90
	v_addc_co_u32_e32 v19, vcc, 0, v19, vcc
	v_cmp_le_i32_e32 vcc, s9, v90
	s_or_b64 s[0:1], vcc, s[0:1]
	v_mfma_f32_16x16x16bf16_1k v[0:3], v[54:55], v[96:97], v[0:3]
	v_mfma_f32_16x16x16bf16_1k v[8:11], v[68:69], v[96:97], v[8:11]
	;; [unrolled: 1-line block ×5, first 2 shown]
	ds_read2_b64 v[52:55], v92 offset0:8 offset1:12
	v_mfma_f32_16x16x16bf16_1k v[8:11], v[66:67], v[98:99], v[8:11]
	v_mfma_f32_16x16x16bf16_1k v[12:15], v[80:81], v[98:99], v[12:15]
	s_waitcnt lgkmcnt(0)
	v_mfma_f32_16x16x16bf16_1k v[4:7], v[30:31], v[52:53], v[4:7]
	v_mfma_f32_16x16x16bf16_1k v[0:3], v[50:51], v[52:53], v[0:3]
	;; [unrolled: 1-line block ×5, first 2 shown]
	ds_read2_b64 v[28:31], v92 offset0:16 offset1:20
	v_mfma_f32_16x16x16bf16_1k v[0:3], v[48:49], v[54:55], v[0:3]
	v_mfma_f32_16x16x16bf16_1k v[8:11], v[62:63], v[54:55], v[8:11]
	;; [unrolled: 1-line block ×3, first 2 shown]
	s_waitcnt lgkmcnt(0)
	v_mfma_f32_16x16x16bf16_1k v[4:7], v[26:27], v[28:29], v[4:7]
	v_mfma_f32_16x16x16bf16_1k v[0:3], v[44:45], v[28:29], v[0:3]
	;; [unrolled: 1-line block ×5, first 2 shown]
	ds_read2_b64 v[24:27], v92 offset0:24 offset1:28
	v_mfma_f32_16x16x16bf16_1k v[0:3], v[42:43], v[30:31], v[0:3]
	v_mfma_f32_16x16x16bf16_1k v[8:11], v[58:59], v[30:31], v[8:11]
	v_mfma_f32_16x16x16bf16_1k v[12:15], v[72:73], v[30:31], v[12:15]
	s_waitcnt lgkmcnt(0)
	v_mfma_f32_16x16x16bf16_1k v[4:7], v[22:23], v[24:25], v[4:7]
	v_mfma_f32_16x16x16bf16_1k v[0:3], v[40:41], v[24:25], v[0:3]
	;; [unrolled: 1-line block ×8, first 2 shown]
	s_andn2_b64 exec, exec, s[0:1]
	s_cbranch_execz .LBB146_109
.LBB146_5:                              ; =>This Inner Loop Header: Depth=1
	v_add_co_u32_e32 v20, vcc, s4, v16
	v_addc_co_u32_e32 v21, vcc, v17, v95, vcc
	global_load_dword v34, v[16:17], off
	global_load_dword v35, v[20:21], off
	v_add_u32_e32 v20, s35, v90
	v_ashrrev_i32_e32 v21, 31, v20
	v_lshlrev_b64 v[20:21], 2, v[20:21]
	v_add_u32_e32 v22, s36, v90
	v_add_co_u32_e32 v20, vcc, s6, v20
	v_ashrrev_i32_e32 v23, 31, v22
	v_addc_co_u32_e32 v21, vcc, v93, v21, vcc
	v_lshlrev_b64 v[22:23], 2, v[22:23]
	v_add_u32_e32 v24, s37, v90
	v_add_co_u32_e32 v22, vcc, s6, v22
	v_ashrrev_i32_e32 v25, 31, v24
	v_addc_co_u32_e32 v23, vcc, v93, v23, vcc
	;; [unrolled: 5-line block ×6, first 2 shown]
	v_lshlrev_b64 v[32:33], 2, v[32:33]
	v_add_co_u32_e32 v32, vcc, s6, v32
	v_addc_co_u32_e32 v33, vcc, v93, v33, vcc
	global_load_dword v36, v[20:21], off
	global_load_dword v37, v[22:23], off
	s_nop 0
	global_load_dword v24, v[24:25], off
	s_nop 0
	;; [unrolled: 2-line block ×3, first 2 shown]
	global_load_dword v26, v[28:29], off
	global_load_dword v27, v[30:31], off
	s_nop 0
	global_load_dword v28, v[32:33], off
	v_add_u32_e32 v20, s42, v90
	v_ashrrev_i32_e32 v21, 31, v20
	v_lshlrev_b64 v[20:21], 2, v[20:21]
	v_add_u32_e32 v22, s43, v90
	v_add_co_u32_e32 v20, vcc, s6, v20
	v_ashrrev_i32_e32 v23, 31, v22
	v_addc_co_u32_e32 v21, vcc, v93, v21, vcc
	v_lshlrev_b64 v[22:23], 2, v[22:23]
	global_load_dword v20, v[20:21], off
	v_add_co_u32_e32 v22, vcc, s6, v22
	v_addc_co_u32_e32 v23, vcc, v93, v23, vcc
	v_add_u32_e32 v30, s47, v90
	v_ashrrev_i32_e32 v31, 31, v30
	v_lshlrev_b64 v[30:31], 2, v[30:31]
	v_add_u32_e32 v32, s48, v90
	v_ashrrev_i32_e32 v33, 31, v32
	v_lshlrev_b64 v[32:33], 2, v[32:33]
	v_add_u32_e32 v38, s55, v90
	v_ashrrev_i32_e32 v39, 31, v38
	v_lshlrev_b64 v[38:39], 2, v[38:39]
	v_add_u32_e32 v40, s56, v90
	v_ashrrev_i32_e32 v41, 31, v40
	v_lshlrev_b64 v[40:41], 2, v[40:41]
	v_add_u32_e32 v42, s57, v90
	v_ashrrev_i32_e32 v43, 31, v42
	v_lshlrev_b64 v[42:43], 2, v[42:43]
	v_add_u32_e32 v44, s58, v90
	v_ashrrev_i32_e32 v45, 31, v44
	v_lshlrev_b64 v[44:45], 2, v[44:45]
	s_waitcnt vmcnt(9)
	ds_write_b32 v91, v34
	s_waitcnt vmcnt(8)
	ds_write_b32 v91, v35 offset:264
	s_waitcnt vmcnt(7)
	ds_write_b32 v91, v36 offset:528
	;; [unrolled: 2-line block ×8, first 2 shown]
	v_add_u32_e32 v24, s44, v90
	v_ashrrev_i32_e32 v25, 31, v24
	v_lshlrev_b64 v[24:25], 2, v[24:25]
	v_add_u32_e32 v26, s45, v90
	v_add_co_u32_e32 v24, vcc, s6, v24
	v_ashrrev_i32_e32 v27, 31, v26
	v_addc_co_u32_e32 v25, vcc, v93, v25, vcc
	v_lshlrev_b64 v[26:27], 2, v[26:27]
	v_add_u32_e32 v28, s46, v90
	v_add_co_u32_e32 v26, vcc, s6, v26
	v_ashrrev_i32_e32 v29, 31, v28
	v_addc_co_u32_e32 v27, vcc, v93, v27, vcc
	v_lshlrev_b64 v[28:29], 2, v[28:29]
	v_add_co_u32_e32 v28, vcc, s6, v28
	v_addc_co_u32_e32 v29, vcc, v93, v29, vcc
	v_add_co_u32_e32 v30, vcc, s6, v30
	v_addc_co_u32_e32 v31, vcc, v93, v31, vcc
	v_add_u32_e32 v34, s49, v90
	v_add_co_u32_e32 v32, vcc, s6, v32
	v_ashrrev_i32_e32 v35, 31, v34
	v_addc_co_u32_e32 v33, vcc, v93, v33, vcc
	v_lshlrev_b64 v[34:35], 2, v[34:35]
	v_add_u32_e32 v36, s50, v90
	v_add_co_u32_e32 v34, vcc, s6, v34
	v_ashrrev_i32_e32 v37, 31, v36
	v_addc_co_u32_e32 v35, vcc, v93, v35, vcc
	v_lshlrev_b64 v[36:37], 2, v[36:37]
	v_add_co_u32_e32 v36, vcc, s6, v36
	v_addc_co_u32_e32 v37, vcc, v93, v37, vcc
	global_load_dword v21, v[22:23], off
	s_nop 0
	global_load_dword v22, v[24:25], off
	global_load_dword v23, v[26:27], off
	s_nop 0
	global_load_dword v24, v[28:29], off
	global_load_dword v25, v[30:31], off
	global_load_dword v26, v[32:33], off
	s_nop 0
	global_load_dword v34, v[34:35], off
	s_nop 0
	global_load_dword v35, v[36:37], off
	v_add_u32_e32 v28, s51, v90
	v_ashrrev_i32_e32 v29, 31, v28
	v_lshlrev_b64 v[28:29], 2, v[28:29]
	v_add_u32_e32 v30, s52, v90
	v_add_co_u32_e32 v28, vcc, s6, v28
	v_ashrrev_i32_e32 v31, 31, v30
	v_addc_co_u32_e32 v29, vcc, v93, v29, vcc
	v_lshlrev_b64 v[30:31], 2, v[30:31]
	v_add_u32_e32 v32, s53, v90
	v_add_co_u32_e32 v30, vcc, s6, v30
	v_ashrrev_i32_e32 v33, 31, v32
	v_addc_co_u32_e32 v31, vcc, v93, v31, vcc
	;; [unrolled: 5-line block ×3, first 2 shown]
	v_lshlrev_b64 v[36:37], 2, v[36:37]
	v_add_co_u32_e32 v36, vcc, s6, v36
	v_addc_co_u32_e32 v37, vcc, v93, v37, vcc
	v_add_co_u32_e32 v38, vcc, s6, v38
	v_addc_co_u32_e32 v39, vcc, v93, v39, vcc
	;; [unrolled: 2-line block ×5, first 2 shown]
	global_load_dword v46, v[28:29], off
	global_load_dword v47, v[30:31], off
	global_load_dword v48, v[32:33], off
	global_load_dword v49, v[36:37], off
	global_load_dword v50, v[38:39], off
	global_load_dword v51, v[40:41], off
	global_load_dword v52, v[42:43], off
	global_load_dword v53, v[44:45], off
	v_add_u32_e32 v28, s59, v90
	v_ashrrev_i32_e32 v29, 31, v28
	v_lshlrev_b64 v[28:29], 2, v[28:29]
	v_add_u32_e32 v30, s60, v90
	v_add_co_u32_e32 v28, vcc, s6, v28
	v_ashrrev_i32_e32 v31, 31, v30
	v_addc_co_u32_e32 v29, vcc, v93, v29, vcc
	v_lshlrev_b64 v[30:31], 2, v[30:31]
	v_add_u32_e32 v32, s61, v90
	v_add_co_u32_e32 v30, vcc, s6, v30
	v_ashrrev_i32_e32 v33, 31, v32
	v_addc_co_u32_e32 v31, vcc, v93, v31, vcc
	v_lshlrev_b64 v[32:33], 2, v[32:33]
	v_add_u32_e32 v36, s62, v90
	v_add_co_u32_e32 v32, vcc, s6, v32
	v_ashrrev_i32_e32 v37, 31, v36
	v_addc_co_u32_e32 v33, vcc, v93, v33, vcc
	v_lshlrev_b64 v[36:37], 2, v[36:37]
	v_add_u32_e32 v38, s63, v90
	v_add_co_u32_e32 v36, vcc, s6, v36
	v_ashrrev_i32_e32 v39, 31, v38
	v_addc_co_u32_e32 v37, vcc, v93, v37, vcc
	v_lshlrev_b64 v[38:39], 2, v[38:39]
	v_add_u32_e32 v40, s64, v90
	v_add_co_u32_e32 v38, vcc, s6, v38
	v_ashrrev_i32_e32 v41, 31, v40
	v_addc_co_u32_e32 v39, vcc, v93, v39, vcc
	v_lshlrev_b64 v[40:41], 2, v[40:41]
	v_add_u32_e32 v42, s65, v90
	v_add_co_u32_e32 v40, vcc, s6, v40
	v_ashrrev_i32_e32 v43, 31, v42
	v_addc_co_u32_e32 v41, vcc, v93, v41, vcc
	v_lshlrev_b64 v[42:43], 2, v[42:43]
	v_add_u32_e32 v44, s66, v90
	v_add_co_u32_e32 v42, vcc, s6, v42
	v_ashrrev_i32_e32 v45, 31, v44
	v_addc_co_u32_e32 v43, vcc, v93, v43, vcc
	v_lshlrev_b64 v[44:45], 2, v[44:45]
	v_add_co_u32_e32 v44, vcc, s6, v44
	v_addc_co_u32_e32 v45, vcc, v93, v45, vcc
	global_load_dword v54, v[28:29], off
	global_load_dword v55, v[30:31], off
	global_load_dword v56, v[32:33], off
	global_load_dword v57, v[36:37], off
	global_load_dword v58, v[38:39], off
	global_load_dword v59, v[40:41], off
	global_load_dword v60, v[42:43], off
	global_load_dword v61, v[44:45], off
	v_add_u32_e32 v28, s67, v90
	v_ashrrev_i32_e32 v29, 31, v28
	v_lshlrev_b64 v[28:29], 2, v[28:29]
	v_add_u32_e32 v30, s68, v90
	v_add_co_u32_e32 v28, vcc, s6, v28
	v_ashrrev_i32_e32 v31, 31, v30
	v_addc_co_u32_e32 v29, vcc, v93, v29, vcc
	v_lshlrev_b64 v[30:31], 2, v[30:31]
	v_add_u32_e32 v32, s69, v90
	v_add_co_u32_e32 v30, vcc, s6, v30
	v_ashrrev_i32_e32 v33, 31, v32
	v_addc_co_u32_e32 v31, vcc, v93, v31, vcc
	v_lshlrev_b64 v[32:33], 2, v[32:33]
	v_add_u32_e32 v36, s70, v90
	v_add_co_u32_e32 v32, vcc, s6, v32
	v_ashrrev_i32_e32 v37, 31, v36
	v_addc_co_u32_e32 v33, vcc, v93, v33, vcc
	v_lshlrev_b64 v[36:37], 2, v[36:37]
	v_add_u32_e32 v38, s71, v90
	v_add_co_u32_e32 v36, vcc, s6, v36
	v_ashrrev_i32_e32 v39, 31, v38
	v_addc_co_u32_e32 v37, vcc, v93, v37, vcc
	v_lshlrev_b64 v[38:39], 2, v[38:39]
	v_add_u32_e32 v40, s72, v90
	v_add_co_u32_e32 v38, vcc, s6, v38
	v_ashrrev_i32_e32 v41, 31, v40
	v_addc_co_u32_e32 v39, vcc, v93, v39, vcc
	v_lshlrev_b64 v[40:41], 2, v[40:41]
	v_add_u32_e32 v42, s73, v90
	v_add_co_u32_e32 v40, vcc, s6, v40
	v_ashrrev_i32_e32 v43, 31, v42
	v_addc_co_u32_e32 v41, vcc, v93, v41, vcc
	v_lshlrev_b64 v[42:43], 2, v[42:43]
	v_add_u32_e32 v44, s74, v90
	v_add_co_u32_e32 v42, vcc, s6, v42
	v_ashrrev_i32_e32 v45, 31, v44
	v_addc_co_u32_e32 v43, vcc, v93, v43, vcc
	v_lshlrev_b64 v[44:45], 2, v[44:45]
	v_add_co_u32_e32 v44, vcc, s6, v44
	v_addc_co_u32_e32 v45, vcc, v93, v45, vcc
	;; [unrolled: 48-line block ×4, first 2 shown]
	global_load_dword v78, v[28:29], off
	global_load_dword v79, v[30:31], off
	;; [unrolled: 1-line block ×8, first 2 shown]
	v_add_u32_e32 v28, s90, v90
	v_ashrrev_i32_e32 v29, 31, v28
	v_lshlrev_b64 v[28:29], 2, v[28:29]
	v_add_u32_e32 v30, s91, v90
	v_add_co_u32_e32 v28, vcc, s6, v28
	v_ashrrev_i32_e32 v31, 31, v30
	v_addc_co_u32_e32 v29, vcc, v93, v29, vcc
	v_lshlrev_b64 v[30:31], 2, v[30:31]
	v_add_u32_e32 v32, s92, v90
	v_add_co_u32_e32 v30, vcc, s6, v30
	v_ashrrev_i32_e32 v33, 31, v32
	v_addc_co_u32_e32 v31, vcc, v93, v31, vcc
	;; [unrolled: 5-line block ×5, first 2 shown]
	v_lshlrev_b64 v[40:41], 2, v[40:41]
	v_add_co_u32_e32 v40, vcc, s6, v40
	v_addc_co_u32_e32 v41, vcc, v93, v41, vcc
	global_load_dword v98, v[28:29], off
	global_load_dword v99, v[30:31], off
	global_load_dword v100, v[32:33], off
	global_load_dword v101, v[36:37], off
	global_load_dword v102, v[38:39], off
	global_load_dword v103, v[40:41], off
	s_waitcnt vmcnt(54)
	ds_write_b32 v91, v20 offset:2376
	s_waitcnt vmcnt(53)
	ds_write_b32 v91, v21 offset:2640
	;; [unrolled: 2-line block ×7, first 2 shown]
	global_load_dwordx2 v[84:85], v[18:19], off
	ds_read_b64 v[36:37], v92
	ds_read_b64 v[32:33], v92 offset:32
	ds_read_b64 v[30:31], v92 offset:64
	ds_read_b64 v[28:29], v92 offset:96
	ds_read_b64 v[26:27], v92 offset:128
	ds_read_b64 v[24:25], v92 offset:160
	ds_read_b64 v[22:23], v92 offset:192
	ds_read_b64 v[20:21], v92 offset:224
	s_waitcnt vmcnt(48)
	ds_write_b32 v91, v34
	s_waitcnt vmcnt(47)
	ds_write_b32 v91, v35 offset:264
	s_waitcnt vmcnt(46)
	ds_write_b32 v91, v46 offset:528
	s_waitcnt vmcnt(45)
	ds_write_b32 v91, v47 offset:792
	s_waitcnt vmcnt(44)
	ds_write_b32 v91, v48 offset:1056
	s_waitcnt vmcnt(43)
	ds_write_b32 v91, v49 offset:1320
	s_waitcnt vmcnt(42)
	ds_write_b32 v91, v50 offset:1584
	s_waitcnt vmcnt(41)
	ds_write_b32 v91, v51 offset:1848
	s_waitcnt vmcnt(40)
	ds_write_b32 v91, v52 offset:2112
	s_waitcnt vmcnt(39)
	ds_write_b32 v91, v53 offset:2376
	s_waitcnt vmcnt(38)
	ds_write_b32 v91, v54 offset:2640
	s_waitcnt vmcnt(37)
	ds_write_b32 v91, v55 offset:2904
	s_waitcnt vmcnt(36)
	ds_write_b32 v91, v56 offset:3168
	s_waitcnt vmcnt(35)
	ds_write_b32 v91, v57 offset:3432
	s_waitcnt vmcnt(34)
	ds_write_b32 v91, v58 offset:3696
	s_waitcnt vmcnt(33)
	ds_write_b32 v91, v59 offset:3960
	ds_read_b64 v[54:55], v92
	ds_read_b64 v[52:53], v92 offset:32
	ds_read_b64 v[50:51], v92 offset:64
	ds_read_b64 v[48:49], v92 offset:96
	ds_read_b64 v[44:45], v92 offset:128
	ds_read_b64 v[42:43], v92 offset:160
	ds_read_b64 v[40:41], v92 offset:192
	ds_read_b64 v[34:35], v92 offset:224
	s_waitcnt vmcnt(32)
	ds_write_b32 v91, v60
	s_waitcnt vmcnt(31)
	ds_write_b32 v91, v61 offset:264
	s_waitcnt vmcnt(30)
	ds_write_b32 v91, v62 offset:528
	s_waitcnt vmcnt(29)
	ds_write_b32 v91, v63 offset:792
	s_waitcnt vmcnt(28)
	ds_write_b32 v91, v64 offset:1056
	s_waitcnt vmcnt(27)
	ds_write_b32 v91, v65 offset:1320
	s_waitcnt vmcnt(26)
	ds_write_b32 v91, v66 offset:1584
	s_waitcnt vmcnt(25)
	ds_write_b32 v91, v67 offset:1848
	s_waitcnt vmcnt(24)
	ds_write_b32 v91, v68 offset:2112
	s_waitcnt vmcnt(23)
	ds_write_b32 v91, v69 offset:2376
	s_waitcnt vmcnt(22)
	ds_write_b32 v91, v70 offset:2640
	s_waitcnt vmcnt(21)
	ds_write_b32 v91, v71 offset:2904
	s_waitcnt vmcnt(20)
	ds_write_b32 v91, v72 offset:3168
	s_waitcnt vmcnt(19)
	ds_write_b32 v91, v73 offset:3432
	s_waitcnt vmcnt(18)
	ds_write_b32 v91, v74 offset:3696
	s_waitcnt vmcnt(17)
	ds_write_b32 v91, v75 offset:3960
	;; [unrolled: 40-line block ×3, first 2 shown]
	ds_read_b64 v[82:83], v92
	ds_read_b64 v[80:81], v92 offset:32
	ds_read_b64 v[78:79], v92 offset:64
	;; [unrolled: 1-line block ×7, first 2 shown]
	s_waitcnt vmcnt(0)
	v_and_b32_e32 v96, 0x7f800000, v84
	v_cmp_ne_u32_e32 vcc, s95, v96
                                        ; implicit-def: $vgpr96
	s_and_saveexec_b64 s[16:17], vcc
	s_xor_b64 s[16:17], exec, s[16:17]
; %bb.6:                                ;   in Loop: Header=BB146_5 Depth=1
	v_bfe_u32 v96, v84, 16, 1
	v_add3_u32 v96, v84, v96, s10
; %bb.7:                                ;   in Loop: Header=BB146_5 Depth=1
	s_andn2_saveexec_b64 s[16:17], s[16:17]
; %bb.8:                                ;   in Loop: Header=BB146_5 Depth=1
	v_or_b32_e32 v96, 0x10000, v84
	v_cmp_eq_u32_sdwa vcc, v84, v94 src0_sel:WORD_0 src1_sel:DWORD
	v_cndmask_b32_e32 v96, v96, v84, vcc
; %bb.9:                                ;   in Loop: Header=BB146_5 Depth=1
	s_or_b64 exec, exec, s[16:17]
	v_and_b32_e32 v84, 0x7f800000, v85
	v_cmp_ne_u32_e32 vcc, s95, v84
                                        ; implicit-def: $vgpr97
	s_and_saveexec_b64 s[16:17], vcc
	s_xor_b64 s[16:17], exec, s[16:17]
; %bb.10:                               ;   in Loop: Header=BB146_5 Depth=1
	v_bfe_u32 v84, v85, 16, 1
	v_add3_u32 v97, v85, v84, s10
                                        ; implicit-def: $vgpr84_vgpr85
; %bb.11:                               ;   in Loop: Header=BB146_5 Depth=1
	s_andn2_saveexec_b64 s[16:17], s[16:17]
; %bb.12:                               ;   in Loop: Header=BB146_5 Depth=1
	v_or_b32_e32 v84, 0x10000, v85
	v_cmp_eq_u32_sdwa vcc, v85, v94 src0_sel:WORD_0 src1_sel:DWORD
	v_cndmask_b32_e32 v97, v84, v85, vcc
; %bb.13:                               ;   in Loop: Header=BB146_5 Depth=1
	s_or_b64 exec, exec, s[16:17]
	v_mov_b32_e32 v85, s13
	v_add_co_u32_e32 v84, vcc, s12, v18
	v_addc_co_u32_e32 v85, vcc, v19, v85, vcc
	global_load_dwordx2 v[84:85], v[84:85], off
	v_perm_b32 v96, v97, v96, s11
	ds_write_b32 v91, v96
	s_waitcnt vmcnt(0)
	v_and_b32_e32 v96, 0x7f800000, v84
	v_cmp_ne_u32_e32 vcc, s95, v96
                                        ; implicit-def: $vgpr96
	s_and_saveexec_b64 s[16:17], vcc
	s_xor_b64 s[16:17], exec, s[16:17]
; %bb.14:                               ;   in Loop: Header=BB146_5 Depth=1
	v_bfe_u32 v96, v84, 16, 1
	v_add3_u32 v96, v84, v96, s10
; %bb.15:                               ;   in Loop: Header=BB146_5 Depth=1
	s_andn2_saveexec_b64 s[16:17], s[16:17]
; %bb.16:                               ;   in Loop: Header=BB146_5 Depth=1
	v_or_b32_e32 v96, 0x10000, v84
	v_cmp_eq_u32_sdwa vcc, v84, v94 src0_sel:WORD_0 src1_sel:DWORD
	v_cndmask_b32_e32 v96, v96, v84, vcc
; %bb.17:                               ;   in Loop: Header=BB146_5 Depth=1
	s_or_b64 exec, exec, s[16:17]
	v_and_b32_e32 v84, 0x7f800000, v85
	v_cmp_ne_u32_e32 vcc, s95, v84
                                        ; implicit-def: $vgpr97
	s_and_saveexec_b64 s[16:17], vcc
	s_xor_b64 s[16:17], exec, s[16:17]
; %bb.18:                               ;   in Loop: Header=BB146_5 Depth=1
	v_bfe_u32 v84, v85, 16, 1
	v_add3_u32 v97, v85, v84, s10
                                        ; implicit-def: $vgpr84_vgpr85
; %bb.19:                               ;   in Loop: Header=BB146_5 Depth=1
	s_andn2_saveexec_b64 s[16:17], s[16:17]
; %bb.20:                               ;   in Loop: Header=BB146_5 Depth=1
	v_or_b32_e32 v84, 0x10000, v85
	v_cmp_eq_u32_sdwa vcc, v85, v94 src0_sel:WORD_0 src1_sel:DWORD
	v_cndmask_b32_e32 v97, v84, v85, vcc
; %bb.21:                               ;   in Loop: Header=BB146_5 Depth=1
	s_or_b64 exec, exec, s[16:17]
	v_add_u32_e32 v84, s21, v90
	v_ashrrev_i32_e32 v85, 31, v84
	v_lshlrev_b64 v[84:85], 3, v[84:85]
	v_mov_b32_e32 v98, s18
	v_add_co_u32_e32 v84, vcc, s14, v84
	v_addc_co_u32_e32 v85, vcc, v98, v85, vcc
	global_load_dwordx2 v[84:85], v[84:85], off
	v_perm_b32 v96, v97, v96, s11
	ds_write_b32 v91, v96 offset:264
	s_waitcnt vmcnt(0)
	v_and_b32_e32 v96, 0x7f800000, v84
	v_cmp_ne_u32_e32 vcc, s95, v96
                                        ; implicit-def: $vgpr96
	s_and_saveexec_b64 s[16:17], vcc
	s_xor_b64 s[16:17], exec, s[16:17]
; %bb.22:                               ;   in Loop: Header=BB146_5 Depth=1
	v_bfe_u32 v96, v84, 16, 1
	v_add3_u32 v96, v84, v96, s10
; %bb.23:                               ;   in Loop: Header=BB146_5 Depth=1
	s_andn2_saveexec_b64 s[16:17], s[16:17]
; %bb.24:                               ;   in Loop: Header=BB146_5 Depth=1
	v_or_b32_e32 v96, 0x10000, v84
	v_cmp_eq_u32_sdwa vcc, v84, v94 src0_sel:WORD_0 src1_sel:DWORD
	v_cndmask_b32_e32 v96, v96, v84, vcc
; %bb.25:                               ;   in Loop: Header=BB146_5 Depth=1
	s_or_b64 exec, exec, s[16:17]
	v_and_b32_e32 v84, 0x7f800000, v85
	v_cmp_ne_u32_e32 vcc, s95, v84
                                        ; implicit-def: $vgpr97
	s_and_saveexec_b64 s[16:17], vcc
	s_xor_b64 s[16:17], exec, s[16:17]
; %bb.26:                               ;   in Loop: Header=BB146_5 Depth=1
	v_bfe_u32 v84, v85, 16, 1
	v_add3_u32 v97, v85, v84, s10
                                        ; implicit-def: $vgpr84_vgpr85
; %bb.27:                               ;   in Loop: Header=BB146_5 Depth=1
	s_andn2_saveexec_b64 s[16:17], s[16:17]
; %bb.28:                               ;   in Loop: Header=BB146_5 Depth=1
	v_or_b32_e32 v84, 0x10000, v85
	v_cmp_eq_u32_sdwa vcc, v85, v94 src0_sel:WORD_0 src1_sel:DWORD
	v_cndmask_b32_e32 v97, v84, v85, vcc
; %bb.29:                               ;   in Loop: Header=BB146_5 Depth=1
	s_or_b64 exec, exec, s[16:17]
	v_add_u32_e32 v84, s22, v90
	v_ashrrev_i32_e32 v85, 31, v84
	v_lshlrev_b64 v[84:85], 3, v[84:85]
	v_mov_b32_e32 v98, s18
	v_add_co_u32_e32 v84, vcc, s14, v84
	v_addc_co_u32_e32 v85, vcc, v98, v85, vcc
	global_load_dwordx2 v[84:85], v[84:85], off
	v_perm_b32 v96, v97, v96, s11
	ds_write_b32 v91, v96 offset:528
	;; [unrolled: 43-line block ×10, first 2 shown]
	s_waitcnt vmcnt(0)
	v_and_b32_e32 v96, 0x7f800000, v84
	v_cmp_ne_u32_e32 vcc, s95, v96
                                        ; implicit-def: $vgpr96
	s_and_saveexec_b64 s[16:17], vcc
	s_xor_b64 s[16:17], exec, s[16:17]
; %bb.94:                               ;   in Loop: Header=BB146_5 Depth=1
	v_bfe_u32 v96, v84, 16, 1
	v_add3_u32 v96, v84, v96, s10
; %bb.95:                               ;   in Loop: Header=BB146_5 Depth=1
	s_andn2_saveexec_b64 s[16:17], s[16:17]
; %bb.96:                               ;   in Loop: Header=BB146_5 Depth=1
	v_or_b32_e32 v96, 0x10000, v84
	v_cmp_eq_u32_sdwa vcc, v84, v94 src0_sel:WORD_0 src1_sel:DWORD
	v_cndmask_b32_e32 v96, v96, v84, vcc
; %bb.97:                               ;   in Loop: Header=BB146_5 Depth=1
	s_or_b64 exec, exec, s[16:17]
	v_and_b32_e32 v84, 0x7f800000, v85
	v_cmp_ne_u32_e32 vcc, s95, v84
                                        ; implicit-def: $vgpr97
	s_and_saveexec_b64 s[16:17], vcc
	s_xor_b64 s[16:17], exec, s[16:17]
; %bb.98:                               ;   in Loop: Header=BB146_5 Depth=1
	v_bfe_u32 v84, v85, 16, 1
	v_add3_u32 v97, v85, v84, s10
                                        ; implicit-def: $vgpr84_vgpr85
; %bb.99:                               ;   in Loop: Header=BB146_5 Depth=1
	s_andn2_saveexec_b64 s[16:17], s[16:17]
; %bb.100:                              ;   in Loop: Header=BB146_5 Depth=1
	v_or_b32_e32 v84, 0x10000, v85
	v_cmp_eq_u32_sdwa vcc, v85, v94 src0_sel:WORD_0 src1_sel:DWORD
	v_cndmask_b32_e32 v97, v84, v85, vcc
; %bb.101:                              ;   in Loop: Header=BB146_5 Depth=1
	s_or_b64 exec, exec, s[16:17]
	v_add_u32_e32 v84, s34, v90
	v_ashrrev_i32_e32 v85, 31, v84
	v_lshlrev_b64 v[84:85], 3, v[84:85]
	v_mov_b32_e32 v98, s18
	v_add_co_u32_e32 v84, vcc, s14, v84
	v_addc_co_u32_e32 v85, vcc, v98, v85, vcc
	global_load_dwordx2 v[84:85], v[84:85], off
	v_perm_b32 v96, v97, v96, s11
	ds_write_b32 v91, v96 offset:2904
	s_waitcnt vmcnt(0)
	v_and_b32_e32 v96, 0x7f800000, v84
	v_cmp_ne_u32_e32 vcc, s95, v96
                                        ; implicit-def: $vgpr96
	s_and_saveexec_b64 s[16:17], vcc
	s_xor_b64 s[16:17], exec, s[16:17]
; %bb.102:                              ;   in Loop: Header=BB146_5 Depth=1
	v_bfe_u32 v96, v84, 16, 1
	v_add3_u32 v96, v84, v96, s10
; %bb.103:                              ;   in Loop: Header=BB146_5 Depth=1
	s_andn2_saveexec_b64 s[16:17], s[16:17]
; %bb.104:                              ;   in Loop: Header=BB146_5 Depth=1
	v_or_b32_e32 v96, 0x10000, v84
	v_cmp_eq_u32_sdwa vcc, v84, v94 src0_sel:WORD_0 src1_sel:DWORD
	v_cndmask_b32_e32 v96, v96, v84, vcc
; %bb.105:                              ;   in Loop: Header=BB146_5 Depth=1
	s_or_b64 exec, exec, s[16:17]
	v_and_b32_e32 v84, 0x7f800000, v85
	v_cmp_ne_u32_e32 vcc, s95, v84
                                        ; implicit-def: $vgpr97
	s_and_saveexec_b64 s[16:17], vcc
	s_xor_b64 s[16:17], exec, s[16:17]
; %bb.106:                              ;   in Loop: Header=BB146_5 Depth=1
	v_bfe_u32 v84, v85, 16, 1
	v_add3_u32 v97, v85, v84, s10
                                        ; implicit-def: $vgpr84_vgpr85
; %bb.107:                              ;   in Loop: Header=BB146_5 Depth=1
	s_andn2_saveexec_b64 s[16:17], s[16:17]
	s_cbranch_execz .LBB146_4
; %bb.108:                              ;   in Loop: Header=BB146_5 Depth=1
	v_or_b32_e32 v84, 0x10000, v85
	v_cmp_eq_u32_sdwa vcc, v85, v94 src0_sel:WORD_0 src1_sel:DWORD
	v_cndmask_b32_e32 v97, v84, v85, vcc
	s_branch .LBB146_4
.LBB146_109:
	s_or_b64 exec, exec, s[0:1]
	v_readlane_b32 s10, v104, 0
	v_readlane_b32 s11, v104, 1
.LBB146_110:
	s_or_b64 exec, exec, s[24:25]
	v_mul_u32_u24_e32 v16, 0x808, v89
	v_lshlrev_b32_e32 v17, 2, v88
	v_add3_u32 v16, 0, v16, v17
	v_and_b32_e32 v17, 0x3f0, v87
	s_mul_hi_i32 s1, s19, s8
	s_mul_i32 s0, s19, s8
	v_add_u32_e32 v17, v16, v17
	s_lshl_b64 s[0:1], s[0:1], 2
	s_waitcnt lgkmcnt(0)
	s_barrier
	ds_write2_b32 v17, v4, v5 offset1:1
	ds_write_b32 v17, v6 offset:8
	v_or_b32_e32 v4, 12, v87
	s_mul_i32 s4, s7, s15
	s_add_u32 s6, s10, s0
	v_and_b32_e32 v4, 0x3fc, v4
	s_addc_u32 s7, s11, s1
	s_ashr_i32 s5, s4, 31
	v_add_u32_e32 v4, v16, v4
	s_lshl_b64 s[0:1], s[4:5], 2
	s_movk_i32 s4, 0x808
	ds_write_b32 v4, v7
	ds_write2_b32 v17, v0, v1 offset0:16 offset1:17
	ds_write_b32 v17, v2 offset:72
	ds_write_b32 v4, v3 offset:64
	ds_write2_b32 v17, v8, v9 offset0:32 offset1:33
	ds_write_b32 v17, v10 offset:136
	ds_write_b32 v4, v11 offset:128
	;; [unrolled: 3-line block ×3, first 2 shown]
	v_lshl_add_u32 v1, v87, 2, 0
	v_mad_u32_u24 v8, v86, s4, v1
	s_waitcnt lgkmcnt(0)
	s_barrier
	ds_read2st64_b32 v[2:3], v8 offset1:1
	ds_read2st64_b32 v[4:5], v8 offset0:2 offset1:3
	ds_read2st64_b32 v[6:7], v8 offset0:4 offset1:5
	;; [unrolled: 1-line block ×3, first 2 shown]
	s_add_u32 s0, s6, s0
	v_add_u32_e32 v0, s3, v87
	s_addc_u32 s1, s7, s1
	s_waitcnt lgkmcnt(3)
	v_add_f32_e32 v2, 0, v2
	v_add_f32_e32 v2, v2, v3
	s_waitcnt lgkmcnt(2)
	v_add_f32_e32 v2, v2, v4
	v_add_f32_e32 v2, v2, v5
	;; [unrolled: 3-line block ×4, first 2 shown]
	v_mad_u64_u32 v[2:3], s[6:7], v86, s2, v[0:1]
	v_mov_b32_e32 v3, 0
	v_lshlrev_b64 v[4:5], 2, v[2:3]
	v_mov_b32_e32 v2, s1
	v_add_co_u32_e32 v4, vcc, s0, v4
	v_addc_co_u32_e32 v5, vcc, v2, v5, vcc
	v_cmp_gt_u32_e32 vcc, 5, v86
	global_store_dword v[4:5], v6, off
	s_and_saveexec_b64 s[6:7], vcc
	s_cbranch_execz .LBB146_112
; %bb.111:
	v_or_b32_e32 v2, 8, v86
	v_mad_u32_u24 v1, v2, s4, v1
	ds_read2st64_b32 v[4:5], v1 offset1:1
	ds_read2st64_b32 v[6:7], v1 offset0:2 offset1:3
	ds_read2st64_b32 v[8:9], v1 offset0:4 offset1:5
	;; [unrolled: 1-line block ×3, first 2 shown]
	s_waitcnt lgkmcnt(3)
	v_add_f32_e32 v1, 0, v4
	v_add_f32_e32 v1, v1, v5
	s_waitcnt lgkmcnt(2)
	v_add_f32_e32 v1, v1, v6
	v_add_f32_e32 v1, v1, v7
	;; [unrolled: 3-line block ×4, first 2 shown]
	v_mad_u64_u32 v[0:1], s[2:3], v2, s2, v[0:1]
	v_mov_b32_e32 v1, v3
	v_lshlrev_b64 v[0:1], 2, v[0:1]
	v_mov_b32_e32 v2, s1
	v_add_co_u32_e32 v0, vcc, s0, v0
	v_addc_co_u32_e32 v1, vcc, v2, v1, vcc
	global_store_dword v[0:1], v4, off
.LBB146_112:
	s_endpgm
	.section	.rodata,"a",@progbits
	.p2align	6, 0x0
	.amdhsa_kernel _ZL9mul_mat_fI15__hip_bfloat162Li64ELi13ELi8ELb0EEvPKT_PKfPKiPfiiiiiiiiiiiiiiii
		.amdhsa_group_segment_fixed_size 0
		.amdhsa_private_segment_fixed_size 0
		.amdhsa_kernarg_size 96
		.amdhsa_user_sgpr_count 6
		.amdhsa_user_sgpr_private_segment_buffer 1
		.amdhsa_user_sgpr_dispatch_ptr 0
		.amdhsa_user_sgpr_queue_ptr 0
		.amdhsa_user_sgpr_kernarg_segment_ptr 1
		.amdhsa_user_sgpr_dispatch_id 0
		.amdhsa_user_sgpr_flat_scratch_init 0
		.amdhsa_user_sgpr_kernarg_preload_length 0
		.amdhsa_user_sgpr_kernarg_preload_offset 0
		.amdhsa_user_sgpr_private_segment_size 0
		.amdhsa_uses_dynamic_stack 0
		.amdhsa_system_sgpr_private_segment_wavefront_offset 0
		.amdhsa_system_sgpr_workgroup_id_x 1
		.amdhsa_system_sgpr_workgroup_id_y 1
		.amdhsa_system_sgpr_workgroup_id_z 1
		.amdhsa_system_sgpr_workgroup_info 0
		.amdhsa_system_vgpr_workitem_id 1
		.amdhsa_next_free_vgpr 105
		.amdhsa_next_free_sgpr 96
		.amdhsa_accum_offset 108
		.amdhsa_reserve_vcc 1
		.amdhsa_reserve_flat_scratch 0
		.amdhsa_float_round_mode_32 0
		.amdhsa_float_round_mode_16_64 0
		.amdhsa_float_denorm_mode_32 3
		.amdhsa_float_denorm_mode_16_64 3
		.amdhsa_dx10_clamp 1
		.amdhsa_ieee_mode 1
		.amdhsa_fp16_overflow 0
		.amdhsa_tg_split 0
		.amdhsa_exception_fp_ieee_invalid_op 0
		.amdhsa_exception_fp_denorm_src 0
		.amdhsa_exception_fp_ieee_div_zero 0
		.amdhsa_exception_fp_ieee_overflow 0
		.amdhsa_exception_fp_ieee_underflow 0
		.amdhsa_exception_fp_ieee_inexact 0
		.amdhsa_exception_int_div_zero 0
	.end_amdhsa_kernel
	.section	.text._ZL9mul_mat_fI15__hip_bfloat162Li64ELi13ELi8ELb0EEvPKT_PKfPKiPfiiiiiiiiiiiiiiii,"axG",@progbits,_ZL9mul_mat_fI15__hip_bfloat162Li64ELi13ELi8ELb0EEvPKT_PKfPKiPfiiiiiiiiiiiiiiii,comdat
.Lfunc_end146:
	.size	_ZL9mul_mat_fI15__hip_bfloat162Li64ELi13ELi8ELb0EEvPKT_PKfPKiPfiiiiiiiiiiiiiiii, .Lfunc_end146-_ZL9mul_mat_fI15__hip_bfloat162Li64ELi13ELi8ELb0EEvPKT_PKfPKiPfiiiiiiiiiiiiiiii
                                        ; -- End function
	.section	.AMDGPU.csdata,"",@progbits
; Kernel info:
; codeLenInByte = 7376
; NumSgprs: 100
; NumVgprs: 105
; NumAgprs: 0
; TotalNumVgprs: 105
; ScratchSize: 0
; MemoryBound: 0
; FloatMode: 240
; IeeeMode: 1
; LDSByteSize: 0 bytes/workgroup (compile time only)
; SGPRBlocks: 12
; VGPRBlocks: 13
; NumSGPRsForWavesPerEU: 100
; NumVGPRsForWavesPerEU: 105
; AccumOffset: 108
; Occupancy: 4
; WaveLimiterHint : 0
; COMPUTE_PGM_RSRC2:SCRATCH_EN: 0
; COMPUTE_PGM_RSRC2:USER_SGPR: 6
; COMPUTE_PGM_RSRC2:TRAP_HANDLER: 0
; COMPUTE_PGM_RSRC2:TGID_X_EN: 1
; COMPUTE_PGM_RSRC2:TGID_Y_EN: 1
; COMPUTE_PGM_RSRC2:TGID_Z_EN: 1
; COMPUTE_PGM_RSRC2:TIDIG_COMP_CNT: 1
; COMPUTE_PGM_RSRC3_GFX90A:ACCUM_OFFSET: 26
; COMPUTE_PGM_RSRC3_GFX90A:TG_SPLIT: 0
	.text
	.p2alignl 6, 3212836864
	.fill 256, 4, 3212836864
	.type	.str,@object                    ; @.str
	.section	.rodata.str1.1,"aMS",@progbits,1
.str:
	.asciz	"/root/src/amdgpu-assembly/repos/ggml-org__llama.cpp/ggml/src/ggml-cuda/template-instances/../mmf.cuh"
	.size	.str, 101

	.type	__FUNCTION__._ZL13mul_mat_f_idsIfLi32ELi13ELi1EEvPKT_PKfPKiS6_S6_Pfiiiiiiiiiiiiii15HIP_vector_typeIjLj3EES9_,@object ; @__FUNCTION__._ZL13mul_mat_f_idsIfLi32ELi13ELi1EEvPKT_PKfPKiS6_S6_Pfiiiiiiiiiiiiii15HIP_vector_typeIjLj3EES9_
__FUNCTION__._ZL13mul_mat_f_idsIfLi32ELi13ELi1EEvPKT_PKfPKiS6_S6_Pfiiiiiiiiiiiiii15HIP_vector_typeIjLj3EES9_:
	.asciz	"mul_mat_f_ids"
	.size	__FUNCTION__._ZL13mul_mat_f_idsIfLi32ELi13ELi1EEvPKT_PKfPKiS6_S6_Pfiiiiiiiiiiiiii15HIP_vector_typeIjLj3EES9_, 14

	.type	.str.2,@object                  ; @.str.2
.str.2:
	.asciz	"%s:%d: ERROR: HIP kernel %s has no device code compatible with HIP arch %d.\n"
	.size	.str.2, 77

	.type	__FUNCTION__._ZL9mul_mat_fIfLi32ELi13ELi1ELb1EEvPKT_PKfPKiPfiiiiiiiiiiiiiiii,@object ; @__FUNCTION__._ZL9mul_mat_fIfLi32ELi13ELi1ELb1EEvPKT_PKfPKiPfiiiiiiiiiiiiiiii
__FUNCTION__._ZL9mul_mat_fIfLi32ELi13ELi1ELb1EEvPKT_PKfPKiPfiiiiiiiiiiiiiiii:
	.asciz	"mul_mat_f"
	.size	__FUNCTION__._ZL9mul_mat_fIfLi32ELi13ELi1ELb1EEvPKT_PKfPKiPfiiiiiiiiiiiiiiii, 10

	.type	__hip_cuid_2ec2ec8b11bd29b6,@object ; @__hip_cuid_2ec2ec8b11bd29b6
	.section	.bss,"aw",@nobits
	.globl	__hip_cuid_2ec2ec8b11bd29b6
__hip_cuid_2ec2ec8b11bd29b6:
	.byte	0                               ; 0x0
	.size	__hip_cuid_2ec2ec8b11bd29b6, 1

	.ident	"AMD clang version 19.0.0git (https://github.com/RadeonOpenCompute/llvm-project roc-6.4.0 25133 c7fe45cf4b819c5991fe208aaa96edf142730f1d)"
	.section	".note.GNU-stack","",@progbits
	.addrsig
	.addrsig_sym __hip_cuid_2ec2ec8b11bd29b6
	.amdgpu_metadata
---
amdhsa.kernels:
  - .agpr_count:     0
    .args:
      - .actual_access:  read_only
        .address_space:  global
        .offset:         0
        .size:           8
        .value_kind:     global_buffer
      - .actual_access:  read_only
        .address_space:  global
        .offset:         8
        .size:           8
        .value_kind:     global_buffer
      - .actual_access:  read_only
        .address_space:  global
        .offset:         16
        .size:           8
        .value_kind:     global_buffer
      - .actual_access:  read_only
        .address_space:  global
        .offset:         24
        .size:           8
        .value_kind:     global_buffer
      - .actual_access:  read_only
        .address_space:  global
        .offset:         32
        .size:           8
        .value_kind:     global_buffer
      - .actual_access:  read_only
        .address_space:  global
        .offset:         40
        .size:           8
        .value_kind:     global_buffer
      - .offset:         48
        .size:           4
        .value_kind:     by_value
      - .offset:         52
        .size:           4
        .value_kind:     by_value
      - .offset:         56
        .size:           4
        .value_kind:     by_value
      - .offset:         60
        .size:           4
        .value_kind:     by_value
      - .offset:         64
        .size:           4
        .value_kind:     by_value
      - .offset:         68
        .size:           4
        .value_kind:     by_value
      - .offset:         72
        .size:           4
        .value_kind:     by_value
      - .offset:         76
        .size:           4
        .value_kind:     by_value
      - .offset:         80
        .size:           4
        .value_kind:     by_value
      - .offset:         84
        .size:           4
        .value_kind:     by_value
      - .offset:         88
        .size:           4
        .value_kind:     by_value
      - .offset:         92
        .size:           4
        .value_kind:     by_value
      - .offset:         96
        .size:           4
        .value_kind:     by_value
      - .offset:         100
        .size:           4
        .value_kind:     by_value
      - .offset:         104
        .size:           12
        .value_kind:     by_value
      - .offset:         116
        .size:           12
        .value_kind:     by_value
      - .offset:         128
        .size:           4
        .value_kind:     hidden_block_count_x
      - .offset:         132
        .size:           4
        .value_kind:     hidden_block_count_y
      - .offset:         136
        .size:           4
        .value_kind:     hidden_block_count_z
      - .offset:         140
        .size:           2
        .value_kind:     hidden_group_size_x
      - .offset:         142
        .size:           2
        .value_kind:     hidden_group_size_y
      - .offset:         144
        .size:           2
        .value_kind:     hidden_group_size_z
      - .offset:         146
        .size:           2
        .value_kind:     hidden_remainder_x
      - .offset:         148
        .size:           2
        .value_kind:     hidden_remainder_y
      - .offset:         150
        .size:           2
        .value_kind:     hidden_remainder_z
      - .offset:         168
        .size:           8
        .value_kind:     hidden_global_offset_x
      - .offset:         176
        .size:           8
        .value_kind:     hidden_global_offset_y
      - .offset:         184
        .size:           8
        .value_kind:     hidden_global_offset_z
      - .offset:         192
        .size:           2
        .value_kind:     hidden_grid_dims
      - .offset:         208
        .size:           8
        .value_kind:     hidden_hostcall_buffer
    .group_segment_fixed_size: 0
    .kernarg_segment_align: 8
    .kernarg_segment_size: 384
    .language:       OpenCL C
    .language_version:
      - 2
      - 0
    .max_flat_workgroup_size: 64
    .name:           _ZL13mul_mat_f_idsIfLi32ELi13ELi1EEvPKT_PKfPKiS6_S6_Pfiiiiiiiiiiiiii15HIP_vector_typeIjLj3EES9_
    .private_segment_fixed_size: 16
    .sgpr_count:     40
    .sgpr_spill_count: 0
    .symbol:         _ZL13mul_mat_f_idsIfLi32ELi13ELi1EEvPKT_PKfPKiS6_S6_Pfiiiiiiiiiiiiii15HIP_vector_typeIjLj3EES9_.kd
    .uniform_work_group_size: 1
    .uses_dynamic_stack: false
    .vgpr_count:     41
    .vgpr_spill_count: 0
    .wavefront_size: 64
  - .agpr_count:     0
    .args:
      - .actual_access:  read_only
        .address_space:  global
        .offset:         0
        .size:           8
        .value_kind:     global_buffer
      - .actual_access:  read_only
        .address_space:  global
        .offset:         8
        .size:           8
        .value_kind:     global_buffer
      - .actual_access:  read_only
        .address_space:  global
        .offset:         16
        .size:           8
        .value_kind:     global_buffer
      - .actual_access:  read_only
        .address_space:  global
        .offset:         24
        .size:           8
        .value_kind:     global_buffer
      - .offset:         32
        .size:           4
        .value_kind:     by_value
      - .offset:         36
        .size:           4
        .value_kind:     by_value
      - .offset:         40
        .size:           4
        .value_kind:     by_value
      - .offset:         44
        .size:           4
        .value_kind:     by_value
      - .offset:         48
        .size:           4
        .value_kind:     by_value
      - .offset:         52
        .size:           4
        .value_kind:     by_value
      - .offset:         56
        .size:           4
        .value_kind:     by_value
      - .offset:         60
        .size:           4
        .value_kind:     by_value
      - .offset:         64
        .size:           4
        .value_kind:     by_value
      - .offset:         68
        .size:           4
        .value_kind:     by_value
      - .offset:         72
        .size:           4
        .value_kind:     by_value
      - .offset:         76
        .size:           4
        .value_kind:     by_value
      - .offset:         80
        .size:           4
        .value_kind:     by_value
      - .offset:         84
        .size:           4
        .value_kind:     by_value
      - .offset:         88
        .size:           4
        .value_kind:     by_value
      - .offset:         92
        .size:           4
        .value_kind:     by_value
      - .offset:         96
        .size:           4
        .value_kind:     hidden_block_count_x
      - .offset:         100
        .size:           4
        .value_kind:     hidden_block_count_y
      - .offset:         104
        .size:           4
        .value_kind:     hidden_block_count_z
      - .offset:         108
        .size:           2
        .value_kind:     hidden_group_size_x
      - .offset:         110
        .size:           2
        .value_kind:     hidden_group_size_y
      - .offset:         112
        .size:           2
        .value_kind:     hidden_group_size_z
      - .offset:         114
        .size:           2
        .value_kind:     hidden_remainder_x
      - .offset:         116
        .size:           2
        .value_kind:     hidden_remainder_y
      - .offset:         118
        .size:           2
        .value_kind:     hidden_remainder_z
      - .offset:         136
        .size:           8
        .value_kind:     hidden_global_offset_x
      - .offset:         144
        .size:           8
        .value_kind:     hidden_global_offset_y
      - .offset:         152
        .size:           8
        .value_kind:     hidden_global_offset_z
      - .offset:         160
        .size:           2
        .value_kind:     hidden_grid_dims
      - .offset:         176
        .size:           8
        .value_kind:     hidden_hostcall_buffer
    .group_segment_fixed_size: 0
    .kernarg_segment_align: 8
    .kernarg_segment_size: 352
    .language:       OpenCL C
    .language_version:
      - 2
      - 0
    .max_flat_workgroup_size: 64
    .name:           _ZL9mul_mat_fIfLi32ELi13ELi1ELb1EEvPKT_PKfPKiPfiiiiiiiiiiiiiiii
    .private_segment_fixed_size: 16
    .sgpr_count:     40
    .sgpr_spill_count: 0
    .symbol:         _ZL9mul_mat_fIfLi32ELi13ELi1ELb1EEvPKT_PKfPKiPfiiiiiiiiiiiiiiii.kd
    .uniform_work_group_size: 1
    .uses_dynamic_stack: false
    .vgpr_count:     41
    .vgpr_spill_count: 0
    .wavefront_size: 64
  - .agpr_count:     0
    .args:
      - .actual_access:  read_only
        .address_space:  global
        .offset:         0
        .size:           8
        .value_kind:     global_buffer
      - .actual_access:  read_only
        .address_space:  global
        .offset:         8
        .size:           8
        .value_kind:     global_buffer
      - .actual_access:  read_only
        .address_space:  global
        .offset:         16
        .size:           8
        .value_kind:     global_buffer
      - .actual_access:  read_only
        .address_space:  global
        .offset:         24
        .size:           8
        .value_kind:     global_buffer
      - .offset:         32
        .size:           4
        .value_kind:     by_value
      - .offset:         36
        .size:           4
        .value_kind:     by_value
      - .offset:         40
        .size:           4
        .value_kind:     by_value
      - .offset:         44
        .size:           4
        .value_kind:     by_value
      - .offset:         48
        .size:           4
        .value_kind:     by_value
      - .offset:         52
        .size:           4
        .value_kind:     by_value
      - .offset:         56
        .size:           4
        .value_kind:     by_value
      - .offset:         60
        .size:           4
        .value_kind:     by_value
      - .offset:         64
        .size:           4
        .value_kind:     by_value
      - .offset:         68
        .size:           4
        .value_kind:     by_value
      - .offset:         72
        .size:           4
        .value_kind:     by_value
      - .offset:         76
        .size:           4
        .value_kind:     by_value
      - .offset:         80
        .size:           4
        .value_kind:     by_value
      - .offset:         84
        .size:           4
        .value_kind:     by_value
      - .offset:         88
        .size:           4
        .value_kind:     by_value
      - .offset:         92
        .size:           4
        .value_kind:     by_value
      - .offset:         96
        .size:           4
        .value_kind:     hidden_block_count_x
      - .offset:         100
        .size:           4
        .value_kind:     hidden_block_count_y
      - .offset:         104
        .size:           4
        .value_kind:     hidden_block_count_z
      - .offset:         108
        .size:           2
        .value_kind:     hidden_group_size_x
      - .offset:         110
        .size:           2
        .value_kind:     hidden_group_size_y
      - .offset:         112
        .size:           2
        .value_kind:     hidden_group_size_z
      - .offset:         114
        .size:           2
        .value_kind:     hidden_remainder_x
      - .offset:         116
        .size:           2
        .value_kind:     hidden_remainder_y
      - .offset:         118
        .size:           2
        .value_kind:     hidden_remainder_z
      - .offset:         136
        .size:           8
        .value_kind:     hidden_global_offset_x
      - .offset:         144
        .size:           8
        .value_kind:     hidden_global_offset_y
      - .offset:         152
        .size:           8
        .value_kind:     hidden_global_offset_z
      - .offset:         160
        .size:           2
        .value_kind:     hidden_grid_dims
      - .offset:         176
        .size:           8
        .value_kind:     hidden_hostcall_buffer
    .group_segment_fixed_size: 0
    .kernarg_segment_align: 8
    .kernarg_segment_size: 352
    .language:       OpenCL C
    .language_version:
      - 2
      - 0
    .max_flat_workgroup_size: 64
    .name:           _ZL9mul_mat_fIfLi32ELi13ELi1ELb0EEvPKT_PKfPKiPfiiiiiiiiiiiiiiii
    .private_segment_fixed_size: 16
    .sgpr_count:     40
    .sgpr_spill_count: 0
    .symbol:         _ZL9mul_mat_fIfLi32ELi13ELi1ELb0EEvPKT_PKfPKiPfiiiiiiiiiiiiiiii.kd
    .uniform_work_group_size: 1
    .uses_dynamic_stack: false
    .vgpr_count:     41
    .vgpr_spill_count: 0
    .wavefront_size: 64
  - .agpr_count:     0
    .args:
      - .actual_access:  read_only
        .address_space:  global
        .offset:         0
        .size:           8
        .value_kind:     global_buffer
      - .actual_access:  read_only
        .address_space:  global
        .offset:         8
        .size:           8
        .value_kind:     global_buffer
      - .actual_access:  read_only
        .address_space:  global
        .offset:         16
        .size:           8
        .value_kind:     global_buffer
      - .actual_access:  read_only
        .address_space:  global
        .offset:         24
        .size:           8
        .value_kind:     global_buffer
      - .actual_access:  read_only
        .address_space:  global
        .offset:         32
        .size:           8
        .value_kind:     global_buffer
      - .actual_access:  read_only
        .address_space:  global
        .offset:         40
        .size:           8
        .value_kind:     global_buffer
      - .offset:         48
        .size:           4
        .value_kind:     by_value
      - .offset:         52
        .size:           4
        .value_kind:     by_value
      - .offset:         56
        .size:           4
        .value_kind:     by_value
      - .offset:         60
        .size:           4
        .value_kind:     by_value
      - .offset:         64
        .size:           4
        .value_kind:     by_value
      - .offset:         68
        .size:           4
        .value_kind:     by_value
      - .offset:         72
        .size:           4
        .value_kind:     by_value
      - .offset:         76
        .size:           4
        .value_kind:     by_value
      - .offset:         80
        .size:           4
        .value_kind:     by_value
      - .offset:         84
        .size:           4
        .value_kind:     by_value
      - .offset:         88
        .size:           4
        .value_kind:     by_value
      - .offset:         92
        .size:           4
        .value_kind:     by_value
      - .offset:         96
        .size:           4
        .value_kind:     by_value
      - .offset:         100
        .size:           4
        .value_kind:     by_value
      - .offset:         104
        .size:           12
        .value_kind:     by_value
      - .offset:         116
        .size:           12
        .value_kind:     by_value
      - .offset:         128
        .size:           4
        .value_kind:     hidden_block_count_x
      - .offset:         132
        .size:           4
        .value_kind:     hidden_block_count_y
      - .offset:         136
        .size:           4
        .value_kind:     hidden_block_count_z
      - .offset:         140
        .size:           2
        .value_kind:     hidden_group_size_x
      - .offset:         142
        .size:           2
        .value_kind:     hidden_group_size_y
      - .offset:         144
        .size:           2
        .value_kind:     hidden_group_size_z
      - .offset:         146
        .size:           2
        .value_kind:     hidden_remainder_x
      - .offset:         148
        .size:           2
        .value_kind:     hidden_remainder_y
      - .offset:         150
        .size:           2
        .value_kind:     hidden_remainder_z
      - .offset:         168
        .size:           8
        .value_kind:     hidden_global_offset_x
      - .offset:         176
        .size:           8
        .value_kind:     hidden_global_offset_y
      - .offset:         184
        .size:           8
        .value_kind:     hidden_global_offset_z
      - .offset:         192
        .size:           2
        .value_kind:     hidden_grid_dims
      - .offset:         208
        .size:           8
        .value_kind:     hidden_hostcall_buffer
    .group_segment_fixed_size: 0
    .kernarg_segment_align: 8
    .kernarg_segment_size: 384
    .language:       OpenCL C
    .language_version:
      - 2
      - 0
    .max_flat_workgroup_size: 128
    .name:           _ZL13mul_mat_f_idsIfLi32ELi13ELi2EEvPKT_PKfPKiS6_S6_Pfiiiiiiiiiiiiii15HIP_vector_typeIjLj3EES9_
    .private_segment_fixed_size: 16
    .sgpr_count:     40
    .sgpr_spill_count: 0
    .symbol:         _ZL13mul_mat_f_idsIfLi32ELi13ELi2EEvPKT_PKfPKiS6_S6_Pfiiiiiiiiiiiiii15HIP_vector_typeIjLj3EES9_.kd
    .uniform_work_group_size: 1
    .uses_dynamic_stack: false
    .vgpr_count:     41
    .vgpr_spill_count: 0
    .wavefront_size: 64
  - .agpr_count:     0
    .args:
      - .actual_access:  read_only
        .address_space:  global
        .offset:         0
        .size:           8
        .value_kind:     global_buffer
      - .actual_access:  read_only
        .address_space:  global
        .offset:         8
        .size:           8
        .value_kind:     global_buffer
      - .actual_access:  read_only
        .address_space:  global
        .offset:         16
        .size:           8
        .value_kind:     global_buffer
      - .actual_access:  read_only
        .address_space:  global
        .offset:         24
        .size:           8
        .value_kind:     global_buffer
      - .offset:         32
        .size:           4
        .value_kind:     by_value
      - .offset:         36
        .size:           4
        .value_kind:     by_value
      - .offset:         40
        .size:           4
        .value_kind:     by_value
      - .offset:         44
        .size:           4
        .value_kind:     by_value
      - .offset:         48
        .size:           4
        .value_kind:     by_value
      - .offset:         52
        .size:           4
        .value_kind:     by_value
      - .offset:         56
        .size:           4
        .value_kind:     by_value
      - .offset:         60
        .size:           4
        .value_kind:     by_value
      - .offset:         64
        .size:           4
        .value_kind:     by_value
      - .offset:         68
        .size:           4
        .value_kind:     by_value
      - .offset:         72
        .size:           4
        .value_kind:     by_value
      - .offset:         76
        .size:           4
        .value_kind:     by_value
      - .offset:         80
        .size:           4
        .value_kind:     by_value
      - .offset:         84
        .size:           4
        .value_kind:     by_value
      - .offset:         88
        .size:           4
        .value_kind:     by_value
      - .offset:         92
        .size:           4
        .value_kind:     by_value
      - .offset:         96
        .size:           4
        .value_kind:     hidden_block_count_x
      - .offset:         100
        .size:           4
        .value_kind:     hidden_block_count_y
      - .offset:         104
        .size:           4
        .value_kind:     hidden_block_count_z
      - .offset:         108
        .size:           2
        .value_kind:     hidden_group_size_x
      - .offset:         110
        .size:           2
        .value_kind:     hidden_group_size_y
      - .offset:         112
        .size:           2
        .value_kind:     hidden_group_size_z
      - .offset:         114
        .size:           2
        .value_kind:     hidden_remainder_x
      - .offset:         116
        .size:           2
        .value_kind:     hidden_remainder_y
      - .offset:         118
        .size:           2
        .value_kind:     hidden_remainder_z
      - .offset:         136
        .size:           8
        .value_kind:     hidden_global_offset_x
      - .offset:         144
        .size:           8
        .value_kind:     hidden_global_offset_y
      - .offset:         152
        .size:           8
        .value_kind:     hidden_global_offset_z
      - .offset:         160
        .size:           2
        .value_kind:     hidden_grid_dims
      - .offset:         176
        .size:           8
        .value_kind:     hidden_hostcall_buffer
    .group_segment_fixed_size: 0
    .kernarg_segment_align: 8
    .kernarg_segment_size: 352
    .language:       OpenCL C
    .language_version:
      - 2
      - 0
    .max_flat_workgroup_size: 128
    .name:           _ZL9mul_mat_fIfLi32ELi13ELi2ELb1EEvPKT_PKfPKiPfiiiiiiiiiiiiiiii
    .private_segment_fixed_size: 16
    .sgpr_count:     40
    .sgpr_spill_count: 0
    .symbol:         _ZL9mul_mat_fIfLi32ELi13ELi2ELb1EEvPKT_PKfPKiPfiiiiiiiiiiiiiiii.kd
    .uniform_work_group_size: 1
    .uses_dynamic_stack: false
    .vgpr_count:     41
    .vgpr_spill_count: 0
    .wavefront_size: 64
  - .agpr_count:     0
    .args:
      - .actual_access:  read_only
        .address_space:  global
        .offset:         0
        .size:           8
        .value_kind:     global_buffer
      - .actual_access:  read_only
        .address_space:  global
        .offset:         8
        .size:           8
        .value_kind:     global_buffer
      - .actual_access:  read_only
        .address_space:  global
        .offset:         16
        .size:           8
        .value_kind:     global_buffer
      - .actual_access:  read_only
        .address_space:  global
        .offset:         24
        .size:           8
        .value_kind:     global_buffer
      - .offset:         32
        .size:           4
        .value_kind:     by_value
      - .offset:         36
        .size:           4
        .value_kind:     by_value
      - .offset:         40
        .size:           4
        .value_kind:     by_value
      - .offset:         44
        .size:           4
        .value_kind:     by_value
      - .offset:         48
        .size:           4
        .value_kind:     by_value
      - .offset:         52
        .size:           4
        .value_kind:     by_value
      - .offset:         56
        .size:           4
        .value_kind:     by_value
      - .offset:         60
        .size:           4
        .value_kind:     by_value
      - .offset:         64
        .size:           4
        .value_kind:     by_value
      - .offset:         68
        .size:           4
        .value_kind:     by_value
      - .offset:         72
        .size:           4
        .value_kind:     by_value
      - .offset:         76
        .size:           4
        .value_kind:     by_value
      - .offset:         80
        .size:           4
        .value_kind:     by_value
      - .offset:         84
        .size:           4
        .value_kind:     by_value
      - .offset:         88
        .size:           4
        .value_kind:     by_value
      - .offset:         92
        .size:           4
        .value_kind:     by_value
      - .offset:         96
        .size:           4
        .value_kind:     hidden_block_count_x
      - .offset:         100
        .size:           4
        .value_kind:     hidden_block_count_y
      - .offset:         104
        .size:           4
        .value_kind:     hidden_block_count_z
      - .offset:         108
        .size:           2
        .value_kind:     hidden_group_size_x
      - .offset:         110
        .size:           2
        .value_kind:     hidden_group_size_y
      - .offset:         112
        .size:           2
        .value_kind:     hidden_group_size_z
      - .offset:         114
        .size:           2
        .value_kind:     hidden_remainder_x
      - .offset:         116
        .size:           2
        .value_kind:     hidden_remainder_y
      - .offset:         118
        .size:           2
        .value_kind:     hidden_remainder_z
      - .offset:         136
        .size:           8
        .value_kind:     hidden_global_offset_x
      - .offset:         144
        .size:           8
        .value_kind:     hidden_global_offset_y
      - .offset:         152
        .size:           8
        .value_kind:     hidden_global_offset_z
      - .offset:         160
        .size:           2
        .value_kind:     hidden_grid_dims
      - .offset:         176
        .size:           8
        .value_kind:     hidden_hostcall_buffer
    .group_segment_fixed_size: 0
    .kernarg_segment_align: 8
    .kernarg_segment_size: 352
    .language:       OpenCL C
    .language_version:
      - 2
      - 0
    .max_flat_workgroup_size: 128
    .name:           _ZL9mul_mat_fIfLi32ELi13ELi2ELb0EEvPKT_PKfPKiPfiiiiiiiiiiiiiiii
    .private_segment_fixed_size: 16
    .sgpr_count:     40
    .sgpr_spill_count: 0
    .symbol:         _ZL9mul_mat_fIfLi32ELi13ELi2ELb0EEvPKT_PKfPKiPfiiiiiiiiiiiiiiii.kd
    .uniform_work_group_size: 1
    .uses_dynamic_stack: false
    .vgpr_count:     41
    .vgpr_spill_count: 0
    .wavefront_size: 64
  - .agpr_count:     0
    .args:
      - .actual_access:  read_only
        .address_space:  global
        .offset:         0
        .size:           8
        .value_kind:     global_buffer
      - .actual_access:  read_only
        .address_space:  global
        .offset:         8
        .size:           8
        .value_kind:     global_buffer
      - .actual_access:  read_only
        .address_space:  global
        .offset:         16
        .size:           8
        .value_kind:     global_buffer
      - .actual_access:  read_only
        .address_space:  global
        .offset:         24
        .size:           8
        .value_kind:     global_buffer
      - .actual_access:  read_only
        .address_space:  global
        .offset:         32
        .size:           8
        .value_kind:     global_buffer
      - .actual_access:  read_only
        .address_space:  global
        .offset:         40
        .size:           8
        .value_kind:     global_buffer
      - .offset:         48
        .size:           4
        .value_kind:     by_value
      - .offset:         52
        .size:           4
        .value_kind:     by_value
      - .offset:         56
        .size:           4
        .value_kind:     by_value
      - .offset:         60
        .size:           4
        .value_kind:     by_value
      - .offset:         64
        .size:           4
        .value_kind:     by_value
      - .offset:         68
        .size:           4
        .value_kind:     by_value
      - .offset:         72
        .size:           4
        .value_kind:     by_value
      - .offset:         76
        .size:           4
        .value_kind:     by_value
      - .offset:         80
        .size:           4
        .value_kind:     by_value
      - .offset:         84
        .size:           4
        .value_kind:     by_value
      - .offset:         88
        .size:           4
        .value_kind:     by_value
      - .offset:         92
        .size:           4
        .value_kind:     by_value
      - .offset:         96
        .size:           4
        .value_kind:     by_value
      - .offset:         100
        .size:           4
        .value_kind:     by_value
      - .offset:         104
        .size:           12
        .value_kind:     by_value
      - .offset:         116
        .size:           12
        .value_kind:     by_value
      - .offset:         128
        .size:           4
        .value_kind:     hidden_block_count_x
      - .offset:         132
        .size:           4
        .value_kind:     hidden_block_count_y
      - .offset:         136
        .size:           4
        .value_kind:     hidden_block_count_z
      - .offset:         140
        .size:           2
        .value_kind:     hidden_group_size_x
      - .offset:         142
        .size:           2
        .value_kind:     hidden_group_size_y
      - .offset:         144
        .size:           2
        .value_kind:     hidden_group_size_z
      - .offset:         146
        .size:           2
        .value_kind:     hidden_remainder_x
      - .offset:         148
        .size:           2
        .value_kind:     hidden_remainder_y
      - .offset:         150
        .size:           2
        .value_kind:     hidden_remainder_z
      - .offset:         168
        .size:           8
        .value_kind:     hidden_global_offset_x
      - .offset:         176
        .size:           8
        .value_kind:     hidden_global_offset_y
      - .offset:         184
        .size:           8
        .value_kind:     hidden_global_offset_z
      - .offset:         192
        .size:           2
        .value_kind:     hidden_grid_dims
      - .offset:         208
        .size:           8
        .value_kind:     hidden_hostcall_buffer
    .group_segment_fixed_size: 0
    .kernarg_segment_align: 8
    .kernarg_segment_size: 384
    .language:       OpenCL C
    .language_version:
      - 2
      - 0
    .max_flat_workgroup_size: 192
    .name:           _ZL13mul_mat_f_idsIfLi32ELi13ELi3EEvPKT_PKfPKiS6_S6_Pfiiiiiiiiiiiiii15HIP_vector_typeIjLj3EES9_
    .private_segment_fixed_size: 16
    .sgpr_count:     40
    .sgpr_spill_count: 0
    .symbol:         _ZL13mul_mat_f_idsIfLi32ELi13ELi3EEvPKT_PKfPKiS6_S6_Pfiiiiiiiiiiiiii15HIP_vector_typeIjLj3EES9_.kd
    .uniform_work_group_size: 1
    .uses_dynamic_stack: false
    .vgpr_count:     41
    .vgpr_spill_count: 0
    .wavefront_size: 64
  - .agpr_count:     0
    .args:
      - .actual_access:  read_only
        .address_space:  global
        .offset:         0
        .size:           8
        .value_kind:     global_buffer
      - .actual_access:  read_only
        .address_space:  global
        .offset:         8
        .size:           8
        .value_kind:     global_buffer
      - .actual_access:  read_only
        .address_space:  global
        .offset:         16
        .size:           8
        .value_kind:     global_buffer
      - .actual_access:  read_only
        .address_space:  global
        .offset:         24
        .size:           8
        .value_kind:     global_buffer
      - .offset:         32
        .size:           4
        .value_kind:     by_value
      - .offset:         36
        .size:           4
        .value_kind:     by_value
      - .offset:         40
        .size:           4
        .value_kind:     by_value
      - .offset:         44
        .size:           4
        .value_kind:     by_value
      - .offset:         48
        .size:           4
        .value_kind:     by_value
      - .offset:         52
        .size:           4
        .value_kind:     by_value
      - .offset:         56
        .size:           4
        .value_kind:     by_value
      - .offset:         60
        .size:           4
        .value_kind:     by_value
      - .offset:         64
        .size:           4
        .value_kind:     by_value
      - .offset:         68
        .size:           4
        .value_kind:     by_value
      - .offset:         72
        .size:           4
        .value_kind:     by_value
      - .offset:         76
        .size:           4
        .value_kind:     by_value
      - .offset:         80
        .size:           4
        .value_kind:     by_value
      - .offset:         84
        .size:           4
        .value_kind:     by_value
      - .offset:         88
        .size:           4
        .value_kind:     by_value
      - .offset:         92
        .size:           4
        .value_kind:     by_value
      - .offset:         96
        .size:           4
        .value_kind:     hidden_block_count_x
      - .offset:         100
        .size:           4
        .value_kind:     hidden_block_count_y
      - .offset:         104
        .size:           4
        .value_kind:     hidden_block_count_z
      - .offset:         108
        .size:           2
        .value_kind:     hidden_group_size_x
      - .offset:         110
        .size:           2
        .value_kind:     hidden_group_size_y
      - .offset:         112
        .size:           2
        .value_kind:     hidden_group_size_z
      - .offset:         114
        .size:           2
        .value_kind:     hidden_remainder_x
      - .offset:         116
        .size:           2
        .value_kind:     hidden_remainder_y
      - .offset:         118
        .size:           2
        .value_kind:     hidden_remainder_z
      - .offset:         136
        .size:           8
        .value_kind:     hidden_global_offset_x
      - .offset:         144
        .size:           8
        .value_kind:     hidden_global_offset_y
      - .offset:         152
        .size:           8
        .value_kind:     hidden_global_offset_z
      - .offset:         160
        .size:           2
        .value_kind:     hidden_grid_dims
      - .offset:         176
        .size:           8
        .value_kind:     hidden_hostcall_buffer
    .group_segment_fixed_size: 0
    .kernarg_segment_align: 8
    .kernarg_segment_size: 352
    .language:       OpenCL C
    .language_version:
      - 2
      - 0
    .max_flat_workgroup_size: 192
    .name:           _ZL9mul_mat_fIfLi32ELi13ELi3ELb1EEvPKT_PKfPKiPfiiiiiiiiiiiiiiii
    .private_segment_fixed_size: 16
    .sgpr_count:     40
    .sgpr_spill_count: 0
    .symbol:         _ZL9mul_mat_fIfLi32ELi13ELi3ELb1EEvPKT_PKfPKiPfiiiiiiiiiiiiiiii.kd
    .uniform_work_group_size: 1
    .uses_dynamic_stack: false
    .vgpr_count:     41
    .vgpr_spill_count: 0
    .wavefront_size: 64
  - .agpr_count:     0
    .args:
      - .actual_access:  read_only
        .address_space:  global
        .offset:         0
        .size:           8
        .value_kind:     global_buffer
      - .actual_access:  read_only
        .address_space:  global
        .offset:         8
        .size:           8
        .value_kind:     global_buffer
      - .actual_access:  read_only
        .address_space:  global
        .offset:         16
        .size:           8
        .value_kind:     global_buffer
      - .actual_access:  read_only
        .address_space:  global
        .offset:         24
        .size:           8
        .value_kind:     global_buffer
      - .offset:         32
        .size:           4
        .value_kind:     by_value
      - .offset:         36
        .size:           4
        .value_kind:     by_value
      - .offset:         40
        .size:           4
        .value_kind:     by_value
      - .offset:         44
        .size:           4
        .value_kind:     by_value
      - .offset:         48
        .size:           4
        .value_kind:     by_value
      - .offset:         52
        .size:           4
        .value_kind:     by_value
      - .offset:         56
        .size:           4
        .value_kind:     by_value
      - .offset:         60
        .size:           4
        .value_kind:     by_value
      - .offset:         64
        .size:           4
        .value_kind:     by_value
      - .offset:         68
        .size:           4
        .value_kind:     by_value
      - .offset:         72
        .size:           4
        .value_kind:     by_value
      - .offset:         76
        .size:           4
        .value_kind:     by_value
      - .offset:         80
        .size:           4
        .value_kind:     by_value
      - .offset:         84
        .size:           4
        .value_kind:     by_value
      - .offset:         88
        .size:           4
        .value_kind:     by_value
      - .offset:         92
        .size:           4
        .value_kind:     by_value
      - .offset:         96
        .size:           4
        .value_kind:     hidden_block_count_x
      - .offset:         100
        .size:           4
        .value_kind:     hidden_block_count_y
      - .offset:         104
        .size:           4
        .value_kind:     hidden_block_count_z
      - .offset:         108
        .size:           2
        .value_kind:     hidden_group_size_x
      - .offset:         110
        .size:           2
        .value_kind:     hidden_group_size_y
      - .offset:         112
        .size:           2
        .value_kind:     hidden_group_size_z
      - .offset:         114
        .size:           2
        .value_kind:     hidden_remainder_x
      - .offset:         116
        .size:           2
        .value_kind:     hidden_remainder_y
      - .offset:         118
        .size:           2
        .value_kind:     hidden_remainder_z
      - .offset:         136
        .size:           8
        .value_kind:     hidden_global_offset_x
      - .offset:         144
        .size:           8
        .value_kind:     hidden_global_offset_y
      - .offset:         152
        .size:           8
        .value_kind:     hidden_global_offset_z
      - .offset:         160
        .size:           2
        .value_kind:     hidden_grid_dims
      - .offset:         176
        .size:           8
        .value_kind:     hidden_hostcall_buffer
    .group_segment_fixed_size: 0
    .kernarg_segment_align: 8
    .kernarg_segment_size: 352
    .language:       OpenCL C
    .language_version:
      - 2
      - 0
    .max_flat_workgroup_size: 192
    .name:           _ZL9mul_mat_fIfLi32ELi13ELi3ELb0EEvPKT_PKfPKiPfiiiiiiiiiiiiiiii
    .private_segment_fixed_size: 16
    .sgpr_count:     40
    .sgpr_spill_count: 0
    .symbol:         _ZL9mul_mat_fIfLi32ELi13ELi3ELb0EEvPKT_PKfPKiPfiiiiiiiiiiiiiiii.kd
    .uniform_work_group_size: 1
    .uses_dynamic_stack: false
    .vgpr_count:     41
    .vgpr_spill_count: 0
    .wavefront_size: 64
  - .agpr_count:     0
    .args:
      - .actual_access:  read_only
        .address_space:  global
        .offset:         0
        .size:           8
        .value_kind:     global_buffer
      - .actual_access:  read_only
        .address_space:  global
        .offset:         8
        .size:           8
        .value_kind:     global_buffer
      - .actual_access:  read_only
        .address_space:  global
        .offset:         16
        .size:           8
        .value_kind:     global_buffer
      - .actual_access:  read_only
        .address_space:  global
        .offset:         24
        .size:           8
        .value_kind:     global_buffer
      - .actual_access:  read_only
        .address_space:  global
        .offset:         32
        .size:           8
        .value_kind:     global_buffer
      - .actual_access:  read_only
        .address_space:  global
        .offset:         40
        .size:           8
        .value_kind:     global_buffer
      - .offset:         48
        .size:           4
        .value_kind:     by_value
      - .offset:         52
        .size:           4
        .value_kind:     by_value
      - .offset:         56
        .size:           4
        .value_kind:     by_value
      - .offset:         60
        .size:           4
        .value_kind:     by_value
      - .offset:         64
        .size:           4
        .value_kind:     by_value
      - .offset:         68
        .size:           4
        .value_kind:     by_value
      - .offset:         72
        .size:           4
        .value_kind:     by_value
      - .offset:         76
        .size:           4
        .value_kind:     by_value
      - .offset:         80
        .size:           4
        .value_kind:     by_value
      - .offset:         84
        .size:           4
        .value_kind:     by_value
      - .offset:         88
        .size:           4
        .value_kind:     by_value
      - .offset:         92
        .size:           4
        .value_kind:     by_value
      - .offset:         96
        .size:           4
        .value_kind:     by_value
      - .offset:         100
        .size:           4
        .value_kind:     by_value
      - .offset:         104
        .size:           12
        .value_kind:     by_value
      - .offset:         116
        .size:           12
        .value_kind:     by_value
      - .offset:         128
        .size:           4
        .value_kind:     hidden_block_count_x
      - .offset:         132
        .size:           4
        .value_kind:     hidden_block_count_y
      - .offset:         136
        .size:           4
        .value_kind:     hidden_block_count_z
      - .offset:         140
        .size:           2
        .value_kind:     hidden_group_size_x
      - .offset:         142
        .size:           2
        .value_kind:     hidden_group_size_y
      - .offset:         144
        .size:           2
        .value_kind:     hidden_group_size_z
      - .offset:         146
        .size:           2
        .value_kind:     hidden_remainder_x
      - .offset:         148
        .size:           2
        .value_kind:     hidden_remainder_y
      - .offset:         150
        .size:           2
        .value_kind:     hidden_remainder_z
      - .offset:         168
        .size:           8
        .value_kind:     hidden_global_offset_x
      - .offset:         176
        .size:           8
        .value_kind:     hidden_global_offset_y
      - .offset:         184
        .size:           8
        .value_kind:     hidden_global_offset_z
      - .offset:         192
        .size:           2
        .value_kind:     hidden_grid_dims
      - .offset:         208
        .size:           8
        .value_kind:     hidden_hostcall_buffer
    .group_segment_fixed_size: 0
    .kernarg_segment_align: 8
    .kernarg_segment_size: 384
    .language:       OpenCL C
    .language_version:
      - 2
      - 0
    .max_flat_workgroup_size: 256
    .name:           _ZL13mul_mat_f_idsIfLi32ELi13ELi4EEvPKT_PKfPKiS6_S6_Pfiiiiiiiiiiiiii15HIP_vector_typeIjLj3EES9_
    .private_segment_fixed_size: 16
    .sgpr_count:     40
    .sgpr_spill_count: 0
    .symbol:         _ZL13mul_mat_f_idsIfLi32ELi13ELi4EEvPKT_PKfPKiS6_S6_Pfiiiiiiiiiiiiii15HIP_vector_typeIjLj3EES9_.kd
    .uniform_work_group_size: 1
    .uses_dynamic_stack: false
    .vgpr_count:     41
    .vgpr_spill_count: 0
    .wavefront_size: 64
  - .agpr_count:     0
    .args:
      - .actual_access:  read_only
        .address_space:  global
        .offset:         0
        .size:           8
        .value_kind:     global_buffer
      - .actual_access:  read_only
        .address_space:  global
        .offset:         8
        .size:           8
        .value_kind:     global_buffer
      - .actual_access:  read_only
        .address_space:  global
        .offset:         16
        .size:           8
        .value_kind:     global_buffer
      - .actual_access:  read_only
        .address_space:  global
        .offset:         24
        .size:           8
        .value_kind:     global_buffer
      - .offset:         32
        .size:           4
        .value_kind:     by_value
      - .offset:         36
        .size:           4
        .value_kind:     by_value
      - .offset:         40
        .size:           4
        .value_kind:     by_value
      - .offset:         44
        .size:           4
        .value_kind:     by_value
      - .offset:         48
        .size:           4
        .value_kind:     by_value
      - .offset:         52
        .size:           4
        .value_kind:     by_value
      - .offset:         56
        .size:           4
        .value_kind:     by_value
      - .offset:         60
        .size:           4
        .value_kind:     by_value
      - .offset:         64
        .size:           4
        .value_kind:     by_value
      - .offset:         68
        .size:           4
        .value_kind:     by_value
      - .offset:         72
        .size:           4
        .value_kind:     by_value
      - .offset:         76
        .size:           4
        .value_kind:     by_value
      - .offset:         80
        .size:           4
        .value_kind:     by_value
      - .offset:         84
        .size:           4
        .value_kind:     by_value
      - .offset:         88
        .size:           4
        .value_kind:     by_value
      - .offset:         92
        .size:           4
        .value_kind:     by_value
      - .offset:         96
        .size:           4
        .value_kind:     hidden_block_count_x
      - .offset:         100
        .size:           4
        .value_kind:     hidden_block_count_y
      - .offset:         104
        .size:           4
        .value_kind:     hidden_block_count_z
      - .offset:         108
        .size:           2
        .value_kind:     hidden_group_size_x
      - .offset:         110
        .size:           2
        .value_kind:     hidden_group_size_y
      - .offset:         112
        .size:           2
        .value_kind:     hidden_group_size_z
      - .offset:         114
        .size:           2
        .value_kind:     hidden_remainder_x
      - .offset:         116
        .size:           2
        .value_kind:     hidden_remainder_y
      - .offset:         118
        .size:           2
        .value_kind:     hidden_remainder_z
      - .offset:         136
        .size:           8
        .value_kind:     hidden_global_offset_x
      - .offset:         144
        .size:           8
        .value_kind:     hidden_global_offset_y
      - .offset:         152
        .size:           8
        .value_kind:     hidden_global_offset_z
      - .offset:         160
        .size:           2
        .value_kind:     hidden_grid_dims
      - .offset:         176
        .size:           8
        .value_kind:     hidden_hostcall_buffer
    .group_segment_fixed_size: 0
    .kernarg_segment_align: 8
    .kernarg_segment_size: 352
    .language:       OpenCL C
    .language_version:
      - 2
      - 0
    .max_flat_workgroup_size: 256
    .name:           _ZL9mul_mat_fIfLi32ELi13ELi4ELb1EEvPKT_PKfPKiPfiiiiiiiiiiiiiiii
    .private_segment_fixed_size: 16
    .sgpr_count:     40
    .sgpr_spill_count: 0
    .symbol:         _ZL9mul_mat_fIfLi32ELi13ELi4ELb1EEvPKT_PKfPKiPfiiiiiiiiiiiiiiii.kd
    .uniform_work_group_size: 1
    .uses_dynamic_stack: false
    .vgpr_count:     41
    .vgpr_spill_count: 0
    .wavefront_size: 64
  - .agpr_count:     0
    .args:
      - .actual_access:  read_only
        .address_space:  global
        .offset:         0
        .size:           8
        .value_kind:     global_buffer
      - .actual_access:  read_only
        .address_space:  global
        .offset:         8
        .size:           8
        .value_kind:     global_buffer
      - .actual_access:  read_only
        .address_space:  global
        .offset:         16
        .size:           8
        .value_kind:     global_buffer
      - .actual_access:  read_only
        .address_space:  global
        .offset:         24
        .size:           8
        .value_kind:     global_buffer
      - .offset:         32
        .size:           4
        .value_kind:     by_value
      - .offset:         36
        .size:           4
        .value_kind:     by_value
      - .offset:         40
        .size:           4
        .value_kind:     by_value
      - .offset:         44
        .size:           4
        .value_kind:     by_value
      - .offset:         48
        .size:           4
        .value_kind:     by_value
      - .offset:         52
        .size:           4
        .value_kind:     by_value
      - .offset:         56
        .size:           4
        .value_kind:     by_value
      - .offset:         60
        .size:           4
        .value_kind:     by_value
      - .offset:         64
        .size:           4
        .value_kind:     by_value
      - .offset:         68
        .size:           4
        .value_kind:     by_value
      - .offset:         72
        .size:           4
        .value_kind:     by_value
      - .offset:         76
        .size:           4
        .value_kind:     by_value
      - .offset:         80
        .size:           4
        .value_kind:     by_value
      - .offset:         84
        .size:           4
        .value_kind:     by_value
      - .offset:         88
        .size:           4
        .value_kind:     by_value
      - .offset:         92
        .size:           4
        .value_kind:     by_value
      - .offset:         96
        .size:           4
        .value_kind:     hidden_block_count_x
      - .offset:         100
        .size:           4
        .value_kind:     hidden_block_count_y
      - .offset:         104
        .size:           4
        .value_kind:     hidden_block_count_z
      - .offset:         108
        .size:           2
        .value_kind:     hidden_group_size_x
      - .offset:         110
        .size:           2
        .value_kind:     hidden_group_size_y
      - .offset:         112
        .size:           2
        .value_kind:     hidden_group_size_z
      - .offset:         114
        .size:           2
        .value_kind:     hidden_remainder_x
      - .offset:         116
        .size:           2
        .value_kind:     hidden_remainder_y
      - .offset:         118
        .size:           2
        .value_kind:     hidden_remainder_z
      - .offset:         136
        .size:           8
        .value_kind:     hidden_global_offset_x
      - .offset:         144
        .size:           8
        .value_kind:     hidden_global_offset_y
      - .offset:         152
        .size:           8
        .value_kind:     hidden_global_offset_z
      - .offset:         160
        .size:           2
        .value_kind:     hidden_grid_dims
      - .offset:         176
        .size:           8
        .value_kind:     hidden_hostcall_buffer
    .group_segment_fixed_size: 0
    .kernarg_segment_align: 8
    .kernarg_segment_size: 352
    .language:       OpenCL C
    .language_version:
      - 2
      - 0
    .max_flat_workgroup_size: 256
    .name:           _ZL9mul_mat_fIfLi32ELi13ELi4ELb0EEvPKT_PKfPKiPfiiiiiiiiiiiiiiii
    .private_segment_fixed_size: 16
    .sgpr_count:     40
    .sgpr_spill_count: 0
    .symbol:         _ZL9mul_mat_fIfLi32ELi13ELi4ELb0EEvPKT_PKfPKiPfiiiiiiiiiiiiiiii.kd
    .uniform_work_group_size: 1
    .uses_dynamic_stack: false
    .vgpr_count:     41
    .vgpr_spill_count: 0
    .wavefront_size: 64
  - .agpr_count:     0
    .args:
      - .actual_access:  read_only
        .address_space:  global
        .offset:         0
        .size:           8
        .value_kind:     global_buffer
      - .actual_access:  read_only
        .address_space:  global
        .offset:         8
        .size:           8
        .value_kind:     global_buffer
      - .actual_access:  read_only
        .address_space:  global
        .offset:         16
        .size:           8
        .value_kind:     global_buffer
      - .actual_access:  read_only
        .address_space:  global
        .offset:         24
        .size:           8
        .value_kind:     global_buffer
      - .actual_access:  read_only
        .address_space:  global
        .offset:         32
        .size:           8
        .value_kind:     global_buffer
      - .actual_access:  read_only
        .address_space:  global
        .offset:         40
        .size:           8
        .value_kind:     global_buffer
      - .offset:         48
        .size:           4
        .value_kind:     by_value
      - .offset:         52
        .size:           4
        .value_kind:     by_value
      - .offset:         56
        .size:           4
        .value_kind:     by_value
      - .offset:         60
        .size:           4
        .value_kind:     by_value
      - .offset:         64
        .size:           4
        .value_kind:     by_value
      - .offset:         68
        .size:           4
        .value_kind:     by_value
      - .offset:         72
        .size:           4
        .value_kind:     by_value
      - .offset:         76
        .size:           4
        .value_kind:     by_value
      - .offset:         80
        .size:           4
        .value_kind:     by_value
      - .offset:         84
        .size:           4
        .value_kind:     by_value
      - .offset:         88
        .size:           4
        .value_kind:     by_value
      - .offset:         92
        .size:           4
        .value_kind:     by_value
      - .offset:         96
        .size:           4
        .value_kind:     by_value
      - .offset:         100
        .size:           4
        .value_kind:     by_value
      - .offset:         104
        .size:           12
        .value_kind:     by_value
      - .offset:         116
        .size:           12
        .value_kind:     by_value
      - .offset:         128
        .size:           4
        .value_kind:     hidden_block_count_x
      - .offset:         132
        .size:           4
        .value_kind:     hidden_block_count_y
      - .offset:         136
        .size:           4
        .value_kind:     hidden_block_count_z
      - .offset:         140
        .size:           2
        .value_kind:     hidden_group_size_x
      - .offset:         142
        .size:           2
        .value_kind:     hidden_group_size_y
      - .offset:         144
        .size:           2
        .value_kind:     hidden_group_size_z
      - .offset:         146
        .size:           2
        .value_kind:     hidden_remainder_x
      - .offset:         148
        .size:           2
        .value_kind:     hidden_remainder_y
      - .offset:         150
        .size:           2
        .value_kind:     hidden_remainder_z
      - .offset:         168
        .size:           8
        .value_kind:     hidden_global_offset_x
      - .offset:         176
        .size:           8
        .value_kind:     hidden_global_offset_y
      - .offset:         184
        .size:           8
        .value_kind:     hidden_global_offset_z
      - .offset:         192
        .size:           2
        .value_kind:     hidden_grid_dims
      - .offset:         208
        .size:           8
        .value_kind:     hidden_hostcall_buffer
    .group_segment_fixed_size: 0
    .kernarg_segment_align: 8
    .kernarg_segment_size: 384
    .language:       OpenCL C
    .language_version:
      - 2
      - 0
    .max_flat_workgroup_size: 320
    .name:           _ZL13mul_mat_f_idsIfLi32ELi13ELi5EEvPKT_PKfPKiS6_S6_Pfiiiiiiiiiiiiii15HIP_vector_typeIjLj3EES9_
    .private_segment_fixed_size: 16
    .sgpr_count:     40
    .sgpr_spill_count: 0
    .symbol:         _ZL13mul_mat_f_idsIfLi32ELi13ELi5EEvPKT_PKfPKiS6_S6_Pfiiiiiiiiiiiiii15HIP_vector_typeIjLj3EES9_.kd
    .uniform_work_group_size: 1
    .uses_dynamic_stack: false
    .vgpr_count:     41
    .vgpr_spill_count: 0
    .wavefront_size: 64
  - .agpr_count:     0
    .args:
      - .actual_access:  read_only
        .address_space:  global
        .offset:         0
        .size:           8
        .value_kind:     global_buffer
      - .actual_access:  read_only
        .address_space:  global
        .offset:         8
        .size:           8
        .value_kind:     global_buffer
      - .actual_access:  read_only
        .address_space:  global
        .offset:         16
        .size:           8
        .value_kind:     global_buffer
      - .actual_access:  read_only
        .address_space:  global
        .offset:         24
        .size:           8
        .value_kind:     global_buffer
      - .offset:         32
        .size:           4
        .value_kind:     by_value
      - .offset:         36
        .size:           4
        .value_kind:     by_value
      - .offset:         40
        .size:           4
        .value_kind:     by_value
      - .offset:         44
        .size:           4
        .value_kind:     by_value
      - .offset:         48
        .size:           4
        .value_kind:     by_value
      - .offset:         52
        .size:           4
        .value_kind:     by_value
      - .offset:         56
        .size:           4
        .value_kind:     by_value
      - .offset:         60
        .size:           4
        .value_kind:     by_value
      - .offset:         64
        .size:           4
        .value_kind:     by_value
      - .offset:         68
        .size:           4
        .value_kind:     by_value
      - .offset:         72
        .size:           4
        .value_kind:     by_value
      - .offset:         76
        .size:           4
        .value_kind:     by_value
      - .offset:         80
        .size:           4
        .value_kind:     by_value
      - .offset:         84
        .size:           4
        .value_kind:     by_value
      - .offset:         88
        .size:           4
        .value_kind:     by_value
      - .offset:         92
        .size:           4
        .value_kind:     by_value
      - .offset:         96
        .size:           4
        .value_kind:     hidden_block_count_x
      - .offset:         100
        .size:           4
        .value_kind:     hidden_block_count_y
      - .offset:         104
        .size:           4
        .value_kind:     hidden_block_count_z
      - .offset:         108
        .size:           2
        .value_kind:     hidden_group_size_x
      - .offset:         110
        .size:           2
        .value_kind:     hidden_group_size_y
      - .offset:         112
        .size:           2
        .value_kind:     hidden_group_size_z
      - .offset:         114
        .size:           2
        .value_kind:     hidden_remainder_x
      - .offset:         116
        .size:           2
        .value_kind:     hidden_remainder_y
      - .offset:         118
        .size:           2
        .value_kind:     hidden_remainder_z
      - .offset:         136
        .size:           8
        .value_kind:     hidden_global_offset_x
      - .offset:         144
        .size:           8
        .value_kind:     hidden_global_offset_y
      - .offset:         152
        .size:           8
        .value_kind:     hidden_global_offset_z
      - .offset:         160
        .size:           2
        .value_kind:     hidden_grid_dims
      - .offset:         176
        .size:           8
        .value_kind:     hidden_hostcall_buffer
    .group_segment_fixed_size: 0
    .kernarg_segment_align: 8
    .kernarg_segment_size: 352
    .language:       OpenCL C
    .language_version:
      - 2
      - 0
    .max_flat_workgroup_size: 320
    .name:           _ZL9mul_mat_fIfLi32ELi13ELi5ELb1EEvPKT_PKfPKiPfiiiiiiiiiiiiiiii
    .private_segment_fixed_size: 16
    .sgpr_count:     40
    .sgpr_spill_count: 0
    .symbol:         _ZL9mul_mat_fIfLi32ELi13ELi5ELb1EEvPKT_PKfPKiPfiiiiiiiiiiiiiiii.kd
    .uniform_work_group_size: 1
    .uses_dynamic_stack: false
    .vgpr_count:     41
    .vgpr_spill_count: 0
    .wavefront_size: 64
  - .agpr_count:     0
    .args:
      - .actual_access:  read_only
        .address_space:  global
        .offset:         0
        .size:           8
        .value_kind:     global_buffer
      - .actual_access:  read_only
        .address_space:  global
        .offset:         8
        .size:           8
        .value_kind:     global_buffer
      - .actual_access:  read_only
        .address_space:  global
        .offset:         16
        .size:           8
        .value_kind:     global_buffer
      - .actual_access:  read_only
        .address_space:  global
        .offset:         24
        .size:           8
        .value_kind:     global_buffer
      - .offset:         32
        .size:           4
        .value_kind:     by_value
      - .offset:         36
        .size:           4
        .value_kind:     by_value
      - .offset:         40
        .size:           4
        .value_kind:     by_value
      - .offset:         44
        .size:           4
        .value_kind:     by_value
      - .offset:         48
        .size:           4
        .value_kind:     by_value
      - .offset:         52
        .size:           4
        .value_kind:     by_value
      - .offset:         56
        .size:           4
        .value_kind:     by_value
      - .offset:         60
        .size:           4
        .value_kind:     by_value
      - .offset:         64
        .size:           4
        .value_kind:     by_value
      - .offset:         68
        .size:           4
        .value_kind:     by_value
      - .offset:         72
        .size:           4
        .value_kind:     by_value
      - .offset:         76
        .size:           4
        .value_kind:     by_value
      - .offset:         80
        .size:           4
        .value_kind:     by_value
      - .offset:         84
        .size:           4
        .value_kind:     by_value
      - .offset:         88
        .size:           4
        .value_kind:     by_value
      - .offset:         92
        .size:           4
        .value_kind:     by_value
      - .offset:         96
        .size:           4
        .value_kind:     hidden_block_count_x
      - .offset:         100
        .size:           4
        .value_kind:     hidden_block_count_y
      - .offset:         104
        .size:           4
        .value_kind:     hidden_block_count_z
      - .offset:         108
        .size:           2
        .value_kind:     hidden_group_size_x
      - .offset:         110
        .size:           2
        .value_kind:     hidden_group_size_y
      - .offset:         112
        .size:           2
        .value_kind:     hidden_group_size_z
      - .offset:         114
        .size:           2
        .value_kind:     hidden_remainder_x
      - .offset:         116
        .size:           2
        .value_kind:     hidden_remainder_y
      - .offset:         118
        .size:           2
        .value_kind:     hidden_remainder_z
      - .offset:         136
        .size:           8
        .value_kind:     hidden_global_offset_x
      - .offset:         144
        .size:           8
        .value_kind:     hidden_global_offset_y
      - .offset:         152
        .size:           8
        .value_kind:     hidden_global_offset_z
      - .offset:         160
        .size:           2
        .value_kind:     hidden_grid_dims
      - .offset:         176
        .size:           8
        .value_kind:     hidden_hostcall_buffer
    .group_segment_fixed_size: 0
    .kernarg_segment_align: 8
    .kernarg_segment_size: 352
    .language:       OpenCL C
    .language_version:
      - 2
      - 0
    .max_flat_workgroup_size: 320
    .name:           _ZL9mul_mat_fIfLi32ELi13ELi5ELb0EEvPKT_PKfPKiPfiiiiiiiiiiiiiiii
    .private_segment_fixed_size: 16
    .sgpr_count:     40
    .sgpr_spill_count: 0
    .symbol:         _ZL9mul_mat_fIfLi32ELi13ELi5ELb0EEvPKT_PKfPKiPfiiiiiiiiiiiiiiii.kd
    .uniform_work_group_size: 1
    .uses_dynamic_stack: false
    .vgpr_count:     41
    .vgpr_spill_count: 0
    .wavefront_size: 64
  - .agpr_count:     0
    .args:
      - .actual_access:  read_only
        .address_space:  global
        .offset:         0
        .size:           8
        .value_kind:     global_buffer
      - .actual_access:  read_only
        .address_space:  global
        .offset:         8
        .size:           8
        .value_kind:     global_buffer
      - .actual_access:  read_only
        .address_space:  global
        .offset:         16
        .size:           8
        .value_kind:     global_buffer
      - .actual_access:  read_only
        .address_space:  global
        .offset:         24
        .size:           8
        .value_kind:     global_buffer
      - .actual_access:  read_only
        .address_space:  global
        .offset:         32
        .size:           8
        .value_kind:     global_buffer
      - .actual_access:  read_only
        .address_space:  global
        .offset:         40
        .size:           8
        .value_kind:     global_buffer
      - .offset:         48
        .size:           4
        .value_kind:     by_value
      - .offset:         52
        .size:           4
        .value_kind:     by_value
      - .offset:         56
        .size:           4
        .value_kind:     by_value
      - .offset:         60
        .size:           4
        .value_kind:     by_value
      - .offset:         64
        .size:           4
        .value_kind:     by_value
      - .offset:         68
        .size:           4
        .value_kind:     by_value
      - .offset:         72
        .size:           4
        .value_kind:     by_value
      - .offset:         76
        .size:           4
        .value_kind:     by_value
      - .offset:         80
        .size:           4
        .value_kind:     by_value
      - .offset:         84
        .size:           4
        .value_kind:     by_value
      - .offset:         88
        .size:           4
        .value_kind:     by_value
      - .offset:         92
        .size:           4
        .value_kind:     by_value
      - .offset:         96
        .size:           4
        .value_kind:     by_value
      - .offset:         100
        .size:           4
        .value_kind:     by_value
      - .offset:         104
        .size:           12
        .value_kind:     by_value
      - .offset:         116
        .size:           12
        .value_kind:     by_value
      - .offset:         128
        .size:           4
        .value_kind:     hidden_block_count_x
      - .offset:         132
        .size:           4
        .value_kind:     hidden_block_count_y
      - .offset:         136
        .size:           4
        .value_kind:     hidden_block_count_z
      - .offset:         140
        .size:           2
        .value_kind:     hidden_group_size_x
      - .offset:         142
        .size:           2
        .value_kind:     hidden_group_size_y
      - .offset:         144
        .size:           2
        .value_kind:     hidden_group_size_z
      - .offset:         146
        .size:           2
        .value_kind:     hidden_remainder_x
      - .offset:         148
        .size:           2
        .value_kind:     hidden_remainder_y
      - .offset:         150
        .size:           2
        .value_kind:     hidden_remainder_z
      - .offset:         168
        .size:           8
        .value_kind:     hidden_global_offset_x
      - .offset:         176
        .size:           8
        .value_kind:     hidden_global_offset_y
      - .offset:         184
        .size:           8
        .value_kind:     hidden_global_offset_z
      - .offset:         192
        .size:           2
        .value_kind:     hidden_grid_dims
      - .offset:         208
        .size:           8
        .value_kind:     hidden_hostcall_buffer
    .group_segment_fixed_size: 0
    .kernarg_segment_align: 8
    .kernarg_segment_size: 384
    .language:       OpenCL C
    .language_version:
      - 2
      - 0
    .max_flat_workgroup_size: 384
    .name:           _ZL13mul_mat_f_idsIfLi32ELi13ELi6EEvPKT_PKfPKiS6_S6_Pfiiiiiiiiiiiiii15HIP_vector_typeIjLj3EES9_
    .private_segment_fixed_size: 16
    .sgpr_count:     40
    .sgpr_spill_count: 0
    .symbol:         _ZL13mul_mat_f_idsIfLi32ELi13ELi6EEvPKT_PKfPKiS6_S6_Pfiiiiiiiiiiiiii15HIP_vector_typeIjLj3EES9_.kd
    .uniform_work_group_size: 1
    .uses_dynamic_stack: false
    .vgpr_count:     41
    .vgpr_spill_count: 0
    .wavefront_size: 64
  - .agpr_count:     0
    .args:
      - .actual_access:  read_only
        .address_space:  global
        .offset:         0
        .size:           8
        .value_kind:     global_buffer
      - .actual_access:  read_only
        .address_space:  global
        .offset:         8
        .size:           8
        .value_kind:     global_buffer
      - .actual_access:  read_only
        .address_space:  global
        .offset:         16
        .size:           8
        .value_kind:     global_buffer
      - .actual_access:  read_only
        .address_space:  global
        .offset:         24
        .size:           8
        .value_kind:     global_buffer
      - .offset:         32
        .size:           4
        .value_kind:     by_value
      - .offset:         36
        .size:           4
        .value_kind:     by_value
      - .offset:         40
        .size:           4
        .value_kind:     by_value
      - .offset:         44
        .size:           4
        .value_kind:     by_value
      - .offset:         48
        .size:           4
        .value_kind:     by_value
      - .offset:         52
        .size:           4
        .value_kind:     by_value
      - .offset:         56
        .size:           4
        .value_kind:     by_value
      - .offset:         60
        .size:           4
        .value_kind:     by_value
      - .offset:         64
        .size:           4
        .value_kind:     by_value
      - .offset:         68
        .size:           4
        .value_kind:     by_value
      - .offset:         72
        .size:           4
        .value_kind:     by_value
      - .offset:         76
        .size:           4
        .value_kind:     by_value
      - .offset:         80
        .size:           4
        .value_kind:     by_value
      - .offset:         84
        .size:           4
        .value_kind:     by_value
      - .offset:         88
        .size:           4
        .value_kind:     by_value
      - .offset:         92
        .size:           4
        .value_kind:     by_value
      - .offset:         96
        .size:           4
        .value_kind:     hidden_block_count_x
      - .offset:         100
        .size:           4
        .value_kind:     hidden_block_count_y
      - .offset:         104
        .size:           4
        .value_kind:     hidden_block_count_z
      - .offset:         108
        .size:           2
        .value_kind:     hidden_group_size_x
      - .offset:         110
        .size:           2
        .value_kind:     hidden_group_size_y
      - .offset:         112
        .size:           2
        .value_kind:     hidden_group_size_z
      - .offset:         114
        .size:           2
        .value_kind:     hidden_remainder_x
      - .offset:         116
        .size:           2
        .value_kind:     hidden_remainder_y
      - .offset:         118
        .size:           2
        .value_kind:     hidden_remainder_z
      - .offset:         136
        .size:           8
        .value_kind:     hidden_global_offset_x
      - .offset:         144
        .size:           8
        .value_kind:     hidden_global_offset_y
      - .offset:         152
        .size:           8
        .value_kind:     hidden_global_offset_z
      - .offset:         160
        .size:           2
        .value_kind:     hidden_grid_dims
      - .offset:         176
        .size:           8
        .value_kind:     hidden_hostcall_buffer
    .group_segment_fixed_size: 0
    .kernarg_segment_align: 8
    .kernarg_segment_size: 352
    .language:       OpenCL C
    .language_version:
      - 2
      - 0
    .max_flat_workgroup_size: 384
    .name:           _ZL9mul_mat_fIfLi32ELi13ELi6ELb1EEvPKT_PKfPKiPfiiiiiiiiiiiiiiii
    .private_segment_fixed_size: 16
    .sgpr_count:     40
    .sgpr_spill_count: 0
    .symbol:         _ZL9mul_mat_fIfLi32ELi13ELi6ELb1EEvPKT_PKfPKiPfiiiiiiiiiiiiiiii.kd
    .uniform_work_group_size: 1
    .uses_dynamic_stack: false
    .vgpr_count:     41
    .vgpr_spill_count: 0
    .wavefront_size: 64
  - .agpr_count:     0
    .args:
      - .actual_access:  read_only
        .address_space:  global
        .offset:         0
        .size:           8
        .value_kind:     global_buffer
      - .actual_access:  read_only
        .address_space:  global
        .offset:         8
        .size:           8
        .value_kind:     global_buffer
      - .actual_access:  read_only
        .address_space:  global
        .offset:         16
        .size:           8
        .value_kind:     global_buffer
      - .actual_access:  read_only
        .address_space:  global
        .offset:         24
        .size:           8
        .value_kind:     global_buffer
      - .offset:         32
        .size:           4
        .value_kind:     by_value
      - .offset:         36
        .size:           4
        .value_kind:     by_value
      - .offset:         40
        .size:           4
        .value_kind:     by_value
      - .offset:         44
        .size:           4
        .value_kind:     by_value
      - .offset:         48
        .size:           4
        .value_kind:     by_value
      - .offset:         52
        .size:           4
        .value_kind:     by_value
      - .offset:         56
        .size:           4
        .value_kind:     by_value
      - .offset:         60
        .size:           4
        .value_kind:     by_value
      - .offset:         64
        .size:           4
        .value_kind:     by_value
      - .offset:         68
        .size:           4
        .value_kind:     by_value
      - .offset:         72
        .size:           4
        .value_kind:     by_value
      - .offset:         76
        .size:           4
        .value_kind:     by_value
      - .offset:         80
        .size:           4
        .value_kind:     by_value
      - .offset:         84
        .size:           4
        .value_kind:     by_value
      - .offset:         88
        .size:           4
        .value_kind:     by_value
      - .offset:         92
        .size:           4
        .value_kind:     by_value
      - .offset:         96
        .size:           4
        .value_kind:     hidden_block_count_x
      - .offset:         100
        .size:           4
        .value_kind:     hidden_block_count_y
      - .offset:         104
        .size:           4
        .value_kind:     hidden_block_count_z
      - .offset:         108
        .size:           2
        .value_kind:     hidden_group_size_x
      - .offset:         110
        .size:           2
        .value_kind:     hidden_group_size_y
      - .offset:         112
        .size:           2
        .value_kind:     hidden_group_size_z
      - .offset:         114
        .size:           2
        .value_kind:     hidden_remainder_x
      - .offset:         116
        .size:           2
        .value_kind:     hidden_remainder_y
      - .offset:         118
        .size:           2
        .value_kind:     hidden_remainder_z
      - .offset:         136
        .size:           8
        .value_kind:     hidden_global_offset_x
      - .offset:         144
        .size:           8
        .value_kind:     hidden_global_offset_y
      - .offset:         152
        .size:           8
        .value_kind:     hidden_global_offset_z
      - .offset:         160
        .size:           2
        .value_kind:     hidden_grid_dims
      - .offset:         176
        .size:           8
        .value_kind:     hidden_hostcall_buffer
    .group_segment_fixed_size: 0
    .kernarg_segment_align: 8
    .kernarg_segment_size: 352
    .language:       OpenCL C
    .language_version:
      - 2
      - 0
    .max_flat_workgroup_size: 384
    .name:           _ZL9mul_mat_fIfLi32ELi13ELi6ELb0EEvPKT_PKfPKiPfiiiiiiiiiiiiiiii
    .private_segment_fixed_size: 16
    .sgpr_count:     40
    .sgpr_spill_count: 0
    .symbol:         _ZL9mul_mat_fIfLi32ELi13ELi6ELb0EEvPKT_PKfPKiPfiiiiiiiiiiiiiiii.kd
    .uniform_work_group_size: 1
    .uses_dynamic_stack: false
    .vgpr_count:     41
    .vgpr_spill_count: 0
    .wavefront_size: 64
  - .agpr_count:     0
    .args:
      - .actual_access:  read_only
        .address_space:  global
        .offset:         0
        .size:           8
        .value_kind:     global_buffer
      - .actual_access:  read_only
        .address_space:  global
        .offset:         8
        .size:           8
        .value_kind:     global_buffer
      - .actual_access:  read_only
        .address_space:  global
        .offset:         16
        .size:           8
        .value_kind:     global_buffer
      - .actual_access:  read_only
        .address_space:  global
        .offset:         24
        .size:           8
        .value_kind:     global_buffer
      - .actual_access:  read_only
        .address_space:  global
        .offset:         32
        .size:           8
        .value_kind:     global_buffer
      - .actual_access:  read_only
        .address_space:  global
        .offset:         40
        .size:           8
        .value_kind:     global_buffer
      - .offset:         48
        .size:           4
        .value_kind:     by_value
      - .offset:         52
        .size:           4
        .value_kind:     by_value
      - .offset:         56
        .size:           4
        .value_kind:     by_value
      - .offset:         60
        .size:           4
        .value_kind:     by_value
      - .offset:         64
        .size:           4
        .value_kind:     by_value
      - .offset:         68
        .size:           4
        .value_kind:     by_value
      - .offset:         72
        .size:           4
        .value_kind:     by_value
      - .offset:         76
        .size:           4
        .value_kind:     by_value
      - .offset:         80
        .size:           4
        .value_kind:     by_value
      - .offset:         84
        .size:           4
        .value_kind:     by_value
      - .offset:         88
        .size:           4
        .value_kind:     by_value
      - .offset:         92
        .size:           4
        .value_kind:     by_value
      - .offset:         96
        .size:           4
        .value_kind:     by_value
      - .offset:         100
        .size:           4
        .value_kind:     by_value
      - .offset:         104
        .size:           12
        .value_kind:     by_value
      - .offset:         116
        .size:           12
        .value_kind:     by_value
      - .offset:         128
        .size:           4
        .value_kind:     hidden_block_count_x
      - .offset:         132
        .size:           4
        .value_kind:     hidden_block_count_y
      - .offset:         136
        .size:           4
        .value_kind:     hidden_block_count_z
      - .offset:         140
        .size:           2
        .value_kind:     hidden_group_size_x
      - .offset:         142
        .size:           2
        .value_kind:     hidden_group_size_y
      - .offset:         144
        .size:           2
        .value_kind:     hidden_group_size_z
      - .offset:         146
        .size:           2
        .value_kind:     hidden_remainder_x
      - .offset:         148
        .size:           2
        .value_kind:     hidden_remainder_y
      - .offset:         150
        .size:           2
        .value_kind:     hidden_remainder_z
      - .offset:         168
        .size:           8
        .value_kind:     hidden_global_offset_x
      - .offset:         176
        .size:           8
        .value_kind:     hidden_global_offset_y
      - .offset:         184
        .size:           8
        .value_kind:     hidden_global_offset_z
      - .offset:         192
        .size:           2
        .value_kind:     hidden_grid_dims
      - .offset:         208
        .size:           8
        .value_kind:     hidden_hostcall_buffer
    .group_segment_fixed_size: 0
    .kernarg_segment_align: 8
    .kernarg_segment_size: 384
    .language:       OpenCL C
    .language_version:
      - 2
      - 0
    .max_flat_workgroup_size: 448
    .name:           _ZL13mul_mat_f_idsIfLi32ELi13ELi7EEvPKT_PKfPKiS6_S6_Pfiiiiiiiiiiiiii15HIP_vector_typeIjLj3EES9_
    .private_segment_fixed_size: 16
    .sgpr_count:     40
    .sgpr_spill_count: 0
    .symbol:         _ZL13mul_mat_f_idsIfLi32ELi13ELi7EEvPKT_PKfPKiS6_S6_Pfiiiiiiiiiiiiii15HIP_vector_typeIjLj3EES9_.kd
    .uniform_work_group_size: 1
    .uses_dynamic_stack: false
    .vgpr_count:     41
    .vgpr_spill_count: 0
    .wavefront_size: 64
  - .agpr_count:     0
    .args:
      - .actual_access:  read_only
        .address_space:  global
        .offset:         0
        .size:           8
        .value_kind:     global_buffer
      - .actual_access:  read_only
        .address_space:  global
        .offset:         8
        .size:           8
        .value_kind:     global_buffer
      - .actual_access:  read_only
        .address_space:  global
        .offset:         16
        .size:           8
        .value_kind:     global_buffer
      - .actual_access:  read_only
        .address_space:  global
        .offset:         24
        .size:           8
        .value_kind:     global_buffer
      - .offset:         32
        .size:           4
        .value_kind:     by_value
      - .offset:         36
        .size:           4
        .value_kind:     by_value
      - .offset:         40
        .size:           4
        .value_kind:     by_value
      - .offset:         44
        .size:           4
        .value_kind:     by_value
      - .offset:         48
        .size:           4
        .value_kind:     by_value
      - .offset:         52
        .size:           4
        .value_kind:     by_value
      - .offset:         56
        .size:           4
        .value_kind:     by_value
      - .offset:         60
        .size:           4
        .value_kind:     by_value
      - .offset:         64
        .size:           4
        .value_kind:     by_value
      - .offset:         68
        .size:           4
        .value_kind:     by_value
      - .offset:         72
        .size:           4
        .value_kind:     by_value
      - .offset:         76
        .size:           4
        .value_kind:     by_value
      - .offset:         80
        .size:           4
        .value_kind:     by_value
      - .offset:         84
        .size:           4
        .value_kind:     by_value
      - .offset:         88
        .size:           4
        .value_kind:     by_value
      - .offset:         92
        .size:           4
        .value_kind:     by_value
      - .offset:         96
        .size:           4
        .value_kind:     hidden_block_count_x
      - .offset:         100
        .size:           4
        .value_kind:     hidden_block_count_y
      - .offset:         104
        .size:           4
        .value_kind:     hidden_block_count_z
      - .offset:         108
        .size:           2
        .value_kind:     hidden_group_size_x
      - .offset:         110
        .size:           2
        .value_kind:     hidden_group_size_y
      - .offset:         112
        .size:           2
        .value_kind:     hidden_group_size_z
      - .offset:         114
        .size:           2
        .value_kind:     hidden_remainder_x
      - .offset:         116
        .size:           2
        .value_kind:     hidden_remainder_y
      - .offset:         118
        .size:           2
        .value_kind:     hidden_remainder_z
      - .offset:         136
        .size:           8
        .value_kind:     hidden_global_offset_x
      - .offset:         144
        .size:           8
        .value_kind:     hidden_global_offset_y
      - .offset:         152
        .size:           8
        .value_kind:     hidden_global_offset_z
      - .offset:         160
        .size:           2
        .value_kind:     hidden_grid_dims
      - .offset:         176
        .size:           8
        .value_kind:     hidden_hostcall_buffer
    .group_segment_fixed_size: 0
    .kernarg_segment_align: 8
    .kernarg_segment_size: 352
    .language:       OpenCL C
    .language_version:
      - 2
      - 0
    .max_flat_workgroup_size: 448
    .name:           _ZL9mul_mat_fIfLi32ELi13ELi7ELb1EEvPKT_PKfPKiPfiiiiiiiiiiiiiiii
    .private_segment_fixed_size: 16
    .sgpr_count:     40
    .sgpr_spill_count: 0
    .symbol:         _ZL9mul_mat_fIfLi32ELi13ELi7ELb1EEvPKT_PKfPKiPfiiiiiiiiiiiiiiii.kd
    .uniform_work_group_size: 1
    .uses_dynamic_stack: false
    .vgpr_count:     41
    .vgpr_spill_count: 0
    .wavefront_size: 64
  - .agpr_count:     0
    .args:
      - .actual_access:  read_only
        .address_space:  global
        .offset:         0
        .size:           8
        .value_kind:     global_buffer
      - .actual_access:  read_only
        .address_space:  global
        .offset:         8
        .size:           8
        .value_kind:     global_buffer
      - .actual_access:  read_only
        .address_space:  global
        .offset:         16
        .size:           8
        .value_kind:     global_buffer
      - .actual_access:  read_only
        .address_space:  global
        .offset:         24
        .size:           8
        .value_kind:     global_buffer
      - .offset:         32
        .size:           4
        .value_kind:     by_value
      - .offset:         36
        .size:           4
        .value_kind:     by_value
      - .offset:         40
        .size:           4
        .value_kind:     by_value
      - .offset:         44
        .size:           4
        .value_kind:     by_value
      - .offset:         48
        .size:           4
        .value_kind:     by_value
      - .offset:         52
        .size:           4
        .value_kind:     by_value
      - .offset:         56
        .size:           4
        .value_kind:     by_value
      - .offset:         60
        .size:           4
        .value_kind:     by_value
      - .offset:         64
        .size:           4
        .value_kind:     by_value
      - .offset:         68
        .size:           4
        .value_kind:     by_value
      - .offset:         72
        .size:           4
        .value_kind:     by_value
      - .offset:         76
        .size:           4
        .value_kind:     by_value
      - .offset:         80
        .size:           4
        .value_kind:     by_value
      - .offset:         84
        .size:           4
        .value_kind:     by_value
      - .offset:         88
        .size:           4
        .value_kind:     by_value
      - .offset:         92
        .size:           4
        .value_kind:     by_value
      - .offset:         96
        .size:           4
        .value_kind:     hidden_block_count_x
      - .offset:         100
        .size:           4
        .value_kind:     hidden_block_count_y
      - .offset:         104
        .size:           4
        .value_kind:     hidden_block_count_z
      - .offset:         108
        .size:           2
        .value_kind:     hidden_group_size_x
      - .offset:         110
        .size:           2
        .value_kind:     hidden_group_size_y
      - .offset:         112
        .size:           2
        .value_kind:     hidden_group_size_z
      - .offset:         114
        .size:           2
        .value_kind:     hidden_remainder_x
      - .offset:         116
        .size:           2
        .value_kind:     hidden_remainder_y
      - .offset:         118
        .size:           2
        .value_kind:     hidden_remainder_z
      - .offset:         136
        .size:           8
        .value_kind:     hidden_global_offset_x
      - .offset:         144
        .size:           8
        .value_kind:     hidden_global_offset_y
      - .offset:         152
        .size:           8
        .value_kind:     hidden_global_offset_z
      - .offset:         160
        .size:           2
        .value_kind:     hidden_grid_dims
      - .offset:         176
        .size:           8
        .value_kind:     hidden_hostcall_buffer
    .group_segment_fixed_size: 0
    .kernarg_segment_align: 8
    .kernarg_segment_size: 352
    .language:       OpenCL C
    .language_version:
      - 2
      - 0
    .max_flat_workgroup_size: 448
    .name:           _ZL9mul_mat_fIfLi32ELi13ELi7ELb0EEvPKT_PKfPKiPfiiiiiiiiiiiiiiii
    .private_segment_fixed_size: 16
    .sgpr_count:     40
    .sgpr_spill_count: 0
    .symbol:         _ZL9mul_mat_fIfLi32ELi13ELi7ELb0EEvPKT_PKfPKiPfiiiiiiiiiiiiiiii.kd
    .uniform_work_group_size: 1
    .uses_dynamic_stack: false
    .vgpr_count:     41
    .vgpr_spill_count: 0
    .wavefront_size: 64
  - .agpr_count:     0
    .args:
      - .actual_access:  read_only
        .address_space:  global
        .offset:         0
        .size:           8
        .value_kind:     global_buffer
      - .actual_access:  read_only
        .address_space:  global
        .offset:         8
        .size:           8
        .value_kind:     global_buffer
      - .actual_access:  read_only
        .address_space:  global
        .offset:         16
        .size:           8
        .value_kind:     global_buffer
      - .actual_access:  read_only
        .address_space:  global
        .offset:         24
        .size:           8
        .value_kind:     global_buffer
      - .actual_access:  read_only
        .address_space:  global
        .offset:         32
        .size:           8
        .value_kind:     global_buffer
      - .actual_access:  read_only
        .address_space:  global
        .offset:         40
        .size:           8
        .value_kind:     global_buffer
      - .offset:         48
        .size:           4
        .value_kind:     by_value
      - .offset:         52
        .size:           4
        .value_kind:     by_value
      - .offset:         56
        .size:           4
        .value_kind:     by_value
      - .offset:         60
        .size:           4
        .value_kind:     by_value
      - .offset:         64
        .size:           4
        .value_kind:     by_value
      - .offset:         68
        .size:           4
        .value_kind:     by_value
      - .offset:         72
        .size:           4
        .value_kind:     by_value
      - .offset:         76
        .size:           4
        .value_kind:     by_value
      - .offset:         80
        .size:           4
        .value_kind:     by_value
      - .offset:         84
        .size:           4
        .value_kind:     by_value
      - .offset:         88
        .size:           4
        .value_kind:     by_value
      - .offset:         92
        .size:           4
        .value_kind:     by_value
      - .offset:         96
        .size:           4
        .value_kind:     by_value
      - .offset:         100
        .size:           4
        .value_kind:     by_value
      - .offset:         104
        .size:           12
        .value_kind:     by_value
      - .offset:         116
        .size:           12
        .value_kind:     by_value
      - .offset:         128
        .size:           4
        .value_kind:     hidden_block_count_x
      - .offset:         132
        .size:           4
        .value_kind:     hidden_block_count_y
      - .offset:         136
        .size:           4
        .value_kind:     hidden_block_count_z
      - .offset:         140
        .size:           2
        .value_kind:     hidden_group_size_x
      - .offset:         142
        .size:           2
        .value_kind:     hidden_group_size_y
      - .offset:         144
        .size:           2
        .value_kind:     hidden_group_size_z
      - .offset:         146
        .size:           2
        .value_kind:     hidden_remainder_x
      - .offset:         148
        .size:           2
        .value_kind:     hidden_remainder_y
      - .offset:         150
        .size:           2
        .value_kind:     hidden_remainder_z
      - .offset:         168
        .size:           8
        .value_kind:     hidden_global_offset_x
      - .offset:         176
        .size:           8
        .value_kind:     hidden_global_offset_y
      - .offset:         184
        .size:           8
        .value_kind:     hidden_global_offset_z
      - .offset:         192
        .size:           2
        .value_kind:     hidden_grid_dims
      - .offset:         208
        .size:           8
        .value_kind:     hidden_hostcall_buffer
    .group_segment_fixed_size: 0
    .kernarg_segment_align: 8
    .kernarg_segment_size: 384
    .language:       OpenCL C
    .language_version:
      - 2
      - 0
    .max_flat_workgroup_size: 512
    .name:           _ZL13mul_mat_f_idsIfLi32ELi13ELi8EEvPKT_PKfPKiS6_S6_Pfiiiiiiiiiiiiii15HIP_vector_typeIjLj3EES9_
    .private_segment_fixed_size: 16
    .sgpr_count:     40
    .sgpr_spill_count: 0
    .symbol:         _ZL13mul_mat_f_idsIfLi32ELi13ELi8EEvPKT_PKfPKiS6_S6_Pfiiiiiiiiiiiiii15HIP_vector_typeIjLj3EES9_.kd
    .uniform_work_group_size: 1
    .uses_dynamic_stack: false
    .vgpr_count:     41
    .vgpr_spill_count: 0
    .wavefront_size: 64
  - .agpr_count:     0
    .args:
      - .actual_access:  read_only
        .address_space:  global
        .offset:         0
        .size:           8
        .value_kind:     global_buffer
      - .actual_access:  read_only
        .address_space:  global
        .offset:         8
        .size:           8
        .value_kind:     global_buffer
      - .actual_access:  read_only
        .address_space:  global
        .offset:         16
        .size:           8
        .value_kind:     global_buffer
      - .actual_access:  read_only
        .address_space:  global
        .offset:         24
        .size:           8
        .value_kind:     global_buffer
      - .offset:         32
        .size:           4
        .value_kind:     by_value
      - .offset:         36
        .size:           4
        .value_kind:     by_value
      - .offset:         40
        .size:           4
        .value_kind:     by_value
      - .offset:         44
        .size:           4
        .value_kind:     by_value
      - .offset:         48
        .size:           4
        .value_kind:     by_value
      - .offset:         52
        .size:           4
        .value_kind:     by_value
      - .offset:         56
        .size:           4
        .value_kind:     by_value
      - .offset:         60
        .size:           4
        .value_kind:     by_value
      - .offset:         64
        .size:           4
        .value_kind:     by_value
      - .offset:         68
        .size:           4
        .value_kind:     by_value
      - .offset:         72
        .size:           4
        .value_kind:     by_value
      - .offset:         76
        .size:           4
        .value_kind:     by_value
      - .offset:         80
        .size:           4
        .value_kind:     by_value
      - .offset:         84
        .size:           4
        .value_kind:     by_value
      - .offset:         88
        .size:           4
        .value_kind:     by_value
      - .offset:         92
        .size:           4
        .value_kind:     by_value
      - .offset:         96
        .size:           4
        .value_kind:     hidden_block_count_x
      - .offset:         100
        .size:           4
        .value_kind:     hidden_block_count_y
      - .offset:         104
        .size:           4
        .value_kind:     hidden_block_count_z
      - .offset:         108
        .size:           2
        .value_kind:     hidden_group_size_x
      - .offset:         110
        .size:           2
        .value_kind:     hidden_group_size_y
      - .offset:         112
        .size:           2
        .value_kind:     hidden_group_size_z
      - .offset:         114
        .size:           2
        .value_kind:     hidden_remainder_x
      - .offset:         116
        .size:           2
        .value_kind:     hidden_remainder_y
      - .offset:         118
        .size:           2
        .value_kind:     hidden_remainder_z
      - .offset:         136
        .size:           8
        .value_kind:     hidden_global_offset_x
      - .offset:         144
        .size:           8
        .value_kind:     hidden_global_offset_y
      - .offset:         152
        .size:           8
        .value_kind:     hidden_global_offset_z
      - .offset:         160
        .size:           2
        .value_kind:     hidden_grid_dims
      - .offset:         176
        .size:           8
        .value_kind:     hidden_hostcall_buffer
    .group_segment_fixed_size: 0
    .kernarg_segment_align: 8
    .kernarg_segment_size: 352
    .language:       OpenCL C
    .language_version:
      - 2
      - 0
    .max_flat_workgroup_size: 512
    .name:           _ZL9mul_mat_fIfLi32ELi13ELi8ELb1EEvPKT_PKfPKiPfiiiiiiiiiiiiiiii
    .private_segment_fixed_size: 16
    .sgpr_count:     40
    .sgpr_spill_count: 0
    .symbol:         _ZL9mul_mat_fIfLi32ELi13ELi8ELb1EEvPKT_PKfPKiPfiiiiiiiiiiiiiiii.kd
    .uniform_work_group_size: 1
    .uses_dynamic_stack: false
    .vgpr_count:     41
    .vgpr_spill_count: 0
    .wavefront_size: 64
  - .agpr_count:     0
    .args:
      - .actual_access:  read_only
        .address_space:  global
        .offset:         0
        .size:           8
        .value_kind:     global_buffer
      - .actual_access:  read_only
        .address_space:  global
        .offset:         8
        .size:           8
        .value_kind:     global_buffer
      - .actual_access:  read_only
        .address_space:  global
        .offset:         16
        .size:           8
        .value_kind:     global_buffer
      - .actual_access:  read_only
        .address_space:  global
        .offset:         24
        .size:           8
        .value_kind:     global_buffer
      - .offset:         32
        .size:           4
        .value_kind:     by_value
      - .offset:         36
        .size:           4
        .value_kind:     by_value
      - .offset:         40
        .size:           4
        .value_kind:     by_value
      - .offset:         44
        .size:           4
        .value_kind:     by_value
      - .offset:         48
        .size:           4
        .value_kind:     by_value
      - .offset:         52
        .size:           4
        .value_kind:     by_value
      - .offset:         56
        .size:           4
        .value_kind:     by_value
      - .offset:         60
        .size:           4
        .value_kind:     by_value
      - .offset:         64
        .size:           4
        .value_kind:     by_value
      - .offset:         68
        .size:           4
        .value_kind:     by_value
      - .offset:         72
        .size:           4
        .value_kind:     by_value
      - .offset:         76
        .size:           4
        .value_kind:     by_value
      - .offset:         80
        .size:           4
        .value_kind:     by_value
      - .offset:         84
        .size:           4
        .value_kind:     by_value
      - .offset:         88
        .size:           4
        .value_kind:     by_value
      - .offset:         92
        .size:           4
        .value_kind:     by_value
      - .offset:         96
        .size:           4
        .value_kind:     hidden_block_count_x
      - .offset:         100
        .size:           4
        .value_kind:     hidden_block_count_y
      - .offset:         104
        .size:           4
        .value_kind:     hidden_block_count_z
      - .offset:         108
        .size:           2
        .value_kind:     hidden_group_size_x
      - .offset:         110
        .size:           2
        .value_kind:     hidden_group_size_y
      - .offset:         112
        .size:           2
        .value_kind:     hidden_group_size_z
      - .offset:         114
        .size:           2
        .value_kind:     hidden_remainder_x
      - .offset:         116
        .size:           2
        .value_kind:     hidden_remainder_y
      - .offset:         118
        .size:           2
        .value_kind:     hidden_remainder_z
      - .offset:         136
        .size:           8
        .value_kind:     hidden_global_offset_x
      - .offset:         144
        .size:           8
        .value_kind:     hidden_global_offset_y
      - .offset:         152
        .size:           8
        .value_kind:     hidden_global_offset_z
      - .offset:         160
        .size:           2
        .value_kind:     hidden_grid_dims
      - .offset:         176
        .size:           8
        .value_kind:     hidden_hostcall_buffer
    .group_segment_fixed_size: 0
    .kernarg_segment_align: 8
    .kernarg_segment_size: 352
    .language:       OpenCL C
    .language_version:
      - 2
      - 0
    .max_flat_workgroup_size: 512
    .name:           _ZL9mul_mat_fIfLi32ELi13ELi8ELb0EEvPKT_PKfPKiPfiiiiiiiiiiiiiiii
    .private_segment_fixed_size: 16
    .sgpr_count:     40
    .sgpr_spill_count: 0
    .symbol:         _ZL9mul_mat_fIfLi32ELi13ELi8ELb0EEvPKT_PKfPKiPfiiiiiiiiiiiiiiii.kd
    .uniform_work_group_size: 1
    .uses_dynamic_stack: false
    .vgpr_count:     41
    .vgpr_spill_count: 0
    .wavefront_size: 64
  - .agpr_count:     0
    .args:
      - .actual_access:  read_only
        .address_space:  global
        .offset:         0
        .size:           8
        .value_kind:     global_buffer
      - .actual_access:  read_only
        .address_space:  global
        .offset:         8
        .size:           8
        .value_kind:     global_buffer
      - .actual_access:  read_only
        .address_space:  global
        .offset:         16
        .size:           8
        .value_kind:     global_buffer
      - .actual_access:  read_only
        .address_space:  global
        .offset:         24
        .size:           8
        .value_kind:     global_buffer
      - .actual_access:  read_only
        .address_space:  global
        .offset:         32
        .size:           8
        .value_kind:     global_buffer
      - .actual_access:  read_only
        .address_space:  global
        .offset:         40
        .size:           8
        .value_kind:     global_buffer
      - .offset:         48
        .size:           4
        .value_kind:     by_value
      - .offset:         52
        .size:           4
        .value_kind:     by_value
      - .offset:         56
        .size:           4
        .value_kind:     by_value
      - .offset:         60
        .size:           4
        .value_kind:     by_value
      - .offset:         64
        .size:           4
        .value_kind:     by_value
      - .offset:         68
        .size:           4
        .value_kind:     by_value
      - .offset:         72
        .size:           4
        .value_kind:     by_value
      - .offset:         76
        .size:           4
        .value_kind:     by_value
      - .offset:         80
        .size:           4
        .value_kind:     by_value
      - .offset:         84
        .size:           4
        .value_kind:     by_value
      - .offset:         88
        .size:           4
        .value_kind:     by_value
      - .offset:         92
        .size:           4
        .value_kind:     by_value
      - .offset:         96
        .size:           4
        .value_kind:     by_value
      - .offset:         100
        .size:           4
        .value_kind:     by_value
      - .offset:         104
        .size:           12
        .value_kind:     by_value
      - .offset:         116
        .size:           12
        .value_kind:     by_value
      - .offset:         128
        .size:           4
        .value_kind:     hidden_block_count_x
      - .offset:         132
        .size:           4
        .value_kind:     hidden_block_count_y
      - .offset:         136
        .size:           4
        .value_kind:     hidden_block_count_z
      - .offset:         140
        .size:           2
        .value_kind:     hidden_group_size_x
      - .offset:         142
        .size:           2
        .value_kind:     hidden_group_size_y
      - .offset:         144
        .size:           2
        .value_kind:     hidden_group_size_z
      - .offset:         146
        .size:           2
        .value_kind:     hidden_remainder_x
      - .offset:         148
        .size:           2
        .value_kind:     hidden_remainder_y
      - .offset:         150
        .size:           2
        .value_kind:     hidden_remainder_z
      - .offset:         168
        .size:           8
        .value_kind:     hidden_global_offset_x
      - .offset:         176
        .size:           8
        .value_kind:     hidden_global_offset_y
      - .offset:         184
        .size:           8
        .value_kind:     hidden_global_offset_z
      - .offset:         192
        .size:           2
        .value_kind:     hidden_grid_dims
      - .offset:         208
        .size:           8
        .value_kind:     hidden_hostcall_buffer
    .group_segment_fixed_size: 0
    .kernarg_segment_align: 8
    .kernarg_segment_size: 384
    .language:       OpenCL C
    .language_version:
      - 2
      - 0
    .max_flat_workgroup_size: 64
    .name:           _ZL13mul_mat_f_idsI7__half2Li32ELi13ELi1EEvPKT_PKfPKiS7_S7_Pfiiiiiiiiiiiiii15HIP_vector_typeIjLj3EESA_
    .private_segment_fixed_size: 16
    .sgpr_count:     40
    .sgpr_spill_count: 0
    .symbol:         _ZL13mul_mat_f_idsI7__half2Li32ELi13ELi1EEvPKT_PKfPKiS7_S7_Pfiiiiiiiiiiiiii15HIP_vector_typeIjLj3EESA_.kd
    .uniform_work_group_size: 1
    .uses_dynamic_stack: false
    .vgpr_count:     41
    .vgpr_spill_count: 0
    .wavefront_size: 64
  - .agpr_count:     0
    .args:
      - .actual_access:  read_only
        .address_space:  global
        .offset:         0
        .size:           8
        .value_kind:     global_buffer
      - .actual_access:  read_only
        .address_space:  global
        .offset:         8
        .size:           8
        .value_kind:     global_buffer
      - .actual_access:  read_only
        .address_space:  global
        .offset:         16
        .size:           8
        .value_kind:     global_buffer
      - .actual_access:  read_only
        .address_space:  global
        .offset:         24
        .size:           8
        .value_kind:     global_buffer
      - .offset:         32
        .size:           4
        .value_kind:     by_value
      - .offset:         36
        .size:           4
        .value_kind:     by_value
      - .offset:         40
        .size:           4
        .value_kind:     by_value
      - .offset:         44
        .size:           4
        .value_kind:     by_value
      - .offset:         48
        .size:           4
        .value_kind:     by_value
      - .offset:         52
        .size:           4
        .value_kind:     by_value
      - .offset:         56
        .size:           4
        .value_kind:     by_value
      - .offset:         60
        .size:           4
        .value_kind:     by_value
      - .offset:         64
        .size:           4
        .value_kind:     by_value
      - .offset:         68
        .size:           4
        .value_kind:     by_value
      - .offset:         72
        .size:           4
        .value_kind:     by_value
      - .offset:         76
        .size:           4
        .value_kind:     by_value
      - .offset:         80
        .size:           4
        .value_kind:     by_value
      - .offset:         84
        .size:           4
        .value_kind:     by_value
      - .offset:         88
        .size:           4
        .value_kind:     by_value
      - .offset:         92
        .size:           4
        .value_kind:     by_value
      - .offset:         96
        .size:           4
        .value_kind:     hidden_block_count_x
      - .offset:         100
        .size:           4
        .value_kind:     hidden_block_count_y
      - .offset:         104
        .size:           4
        .value_kind:     hidden_block_count_z
      - .offset:         108
        .size:           2
        .value_kind:     hidden_group_size_x
      - .offset:         110
        .size:           2
        .value_kind:     hidden_group_size_y
      - .offset:         112
        .size:           2
        .value_kind:     hidden_group_size_z
      - .offset:         114
        .size:           2
        .value_kind:     hidden_remainder_x
      - .offset:         116
        .size:           2
        .value_kind:     hidden_remainder_y
      - .offset:         118
        .size:           2
        .value_kind:     hidden_remainder_z
      - .offset:         136
        .size:           8
        .value_kind:     hidden_global_offset_x
      - .offset:         144
        .size:           8
        .value_kind:     hidden_global_offset_y
      - .offset:         152
        .size:           8
        .value_kind:     hidden_global_offset_z
      - .offset:         160
        .size:           2
        .value_kind:     hidden_grid_dims
      - .offset:         176
        .size:           8
        .value_kind:     hidden_hostcall_buffer
    .group_segment_fixed_size: 0
    .kernarg_segment_align: 8
    .kernarg_segment_size: 352
    .language:       OpenCL C
    .language_version:
      - 2
      - 0
    .max_flat_workgroup_size: 64
    .name:           _ZL9mul_mat_fI7__half2Li32ELi13ELi1ELb1EEvPKT_PKfPKiPfiiiiiiiiiiiiiiii
    .private_segment_fixed_size: 16
    .sgpr_count:     40
    .sgpr_spill_count: 0
    .symbol:         _ZL9mul_mat_fI7__half2Li32ELi13ELi1ELb1EEvPKT_PKfPKiPfiiiiiiiiiiiiiiii.kd
    .uniform_work_group_size: 1
    .uses_dynamic_stack: false
    .vgpr_count:     41
    .vgpr_spill_count: 0
    .wavefront_size: 64
  - .agpr_count:     0
    .args:
      - .actual_access:  read_only
        .address_space:  global
        .offset:         0
        .size:           8
        .value_kind:     global_buffer
      - .actual_access:  read_only
        .address_space:  global
        .offset:         8
        .size:           8
        .value_kind:     global_buffer
      - .actual_access:  read_only
        .address_space:  global
        .offset:         16
        .size:           8
        .value_kind:     global_buffer
      - .actual_access:  read_only
        .address_space:  global
        .offset:         24
        .size:           8
        .value_kind:     global_buffer
      - .offset:         32
        .size:           4
        .value_kind:     by_value
      - .offset:         36
        .size:           4
        .value_kind:     by_value
      - .offset:         40
        .size:           4
        .value_kind:     by_value
      - .offset:         44
        .size:           4
        .value_kind:     by_value
      - .offset:         48
        .size:           4
        .value_kind:     by_value
      - .offset:         52
        .size:           4
        .value_kind:     by_value
      - .offset:         56
        .size:           4
        .value_kind:     by_value
      - .offset:         60
        .size:           4
        .value_kind:     by_value
      - .offset:         64
        .size:           4
        .value_kind:     by_value
      - .offset:         68
        .size:           4
        .value_kind:     by_value
      - .offset:         72
        .size:           4
        .value_kind:     by_value
      - .offset:         76
        .size:           4
        .value_kind:     by_value
      - .offset:         80
        .size:           4
        .value_kind:     by_value
      - .offset:         84
        .size:           4
        .value_kind:     by_value
      - .offset:         88
        .size:           4
        .value_kind:     by_value
      - .offset:         92
        .size:           4
        .value_kind:     by_value
      - .offset:         96
        .size:           4
        .value_kind:     hidden_block_count_x
      - .offset:         100
        .size:           4
        .value_kind:     hidden_block_count_y
      - .offset:         104
        .size:           4
        .value_kind:     hidden_block_count_z
      - .offset:         108
        .size:           2
        .value_kind:     hidden_group_size_x
      - .offset:         110
        .size:           2
        .value_kind:     hidden_group_size_y
      - .offset:         112
        .size:           2
        .value_kind:     hidden_group_size_z
      - .offset:         114
        .size:           2
        .value_kind:     hidden_remainder_x
      - .offset:         116
        .size:           2
        .value_kind:     hidden_remainder_y
      - .offset:         118
        .size:           2
        .value_kind:     hidden_remainder_z
      - .offset:         136
        .size:           8
        .value_kind:     hidden_global_offset_x
      - .offset:         144
        .size:           8
        .value_kind:     hidden_global_offset_y
      - .offset:         152
        .size:           8
        .value_kind:     hidden_global_offset_z
      - .offset:         160
        .size:           2
        .value_kind:     hidden_grid_dims
      - .offset:         176
        .size:           8
        .value_kind:     hidden_hostcall_buffer
    .group_segment_fixed_size: 0
    .kernarg_segment_align: 8
    .kernarg_segment_size: 352
    .language:       OpenCL C
    .language_version:
      - 2
      - 0
    .max_flat_workgroup_size: 64
    .name:           _ZL9mul_mat_fI7__half2Li32ELi13ELi1ELb0EEvPKT_PKfPKiPfiiiiiiiiiiiiiiii
    .private_segment_fixed_size: 16
    .sgpr_count:     40
    .sgpr_spill_count: 0
    .symbol:         _ZL9mul_mat_fI7__half2Li32ELi13ELi1ELb0EEvPKT_PKfPKiPfiiiiiiiiiiiiiiii.kd
    .uniform_work_group_size: 1
    .uses_dynamic_stack: false
    .vgpr_count:     41
    .vgpr_spill_count: 0
    .wavefront_size: 64
  - .agpr_count:     0
    .args:
      - .actual_access:  read_only
        .address_space:  global
        .offset:         0
        .size:           8
        .value_kind:     global_buffer
      - .actual_access:  read_only
        .address_space:  global
        .offset:         8
        .size:           8
        .value_kind:     global_buffer
      - .actual_access:  read_only
        .address_space:  global
        .offset:         16
        .size:           8
        .value_kind:     global_buffer
      - .actual_access:  read_only
        .address_space:  global
        .offset:         24
        .size:           8
        .value_kind:     global_buffer
      - .actual_access:  read_only
        .address_space:  global
        .offset:         32
        .size:           8
        .value_kind:     global_buffer
      - .actual_access:  read_only
        .address_space:  global
        .offset:         40
        .size:           8
        .value_kind:     global_buffer
      - .offset:         48
        .size:           4
        .value_kind:     by_value
      - .offset:         52
        .size:           4
        .value_kind:     by_value
      - .offset:         56
        .size:           4
        .value_kind:     by_value
      - .offset:         60
        .size:           4
        .value_kind:     by_value
      - .offset:         64
        .size:           4
        .value_kind:     by_value
      - .offset:         68
        .size:           4
        .value_kind:     by_value
      - .offset:         72
        .size:           4
        .value_kind:     by_value
      - .offset:         76
        .size:           4
        .value_kind:     by_value
      - .offset:         80
        .size:           4
        .value_kind:     by_value
      - .offset:         84
        .size:           4
        .value_kind:     by_value
      - .offset:         88
        .size:           4
        .value_kind:     by_value
      - .offset:         92
        .size:           4
        .value_kind:     by_value
      - .offset:         96
        .size:           4
        .value_kind:     by_value
      - .offset:         100
        .size:           4
        .value_kind:     by_value
      - .offset:         104
        .size:           12
        .value_kind:     by_value
      - .offset:         116
        .size:           12
        .value_kind:     by_value
      - .offset:         128
        .size:           4
        .value_kind:     hidden_block_count_x
      - .offset:         132
        .size:           4
        .value_kind:     hidden_block_count_y
      - .offset:         136
        .size:           4
        .value_kind:     hidden_block_count_z
      - .offset:         140
        .size:           2
        .value_kind:     hidden_group_size_x
      - .offset:         142
        .size:           2
        .value_kind:     hidden_group_size_y
      - .offset:         144
        .size:           2
        .value_kind:     hidden_group_size_z
      - .offset:         146
        .size:           2
        .value_kind:     hidden_remainder_x
      - .offset:         148
        .size:           2
        .value_kind:     hidden_remainder_y
      - .offset:         150
        .size:           2
        .value_kind:     hidden_remainder_z
      - .offset:         168
        .size:           8
        .value_kind:     hidden_global_offset_x
      - .offset:         176
        .size:           8
        .value_kind:     hidden_global_offset_y
      - .offset:         184
        .size:           8
        .value_kind:     hidden_global_offset_z
      - .offset:         192
        .size:           2
        .value_kind:     hidden_grid_dims
      - .offset:         208
        .size:           8
        .value_kind:     hidden_hostcall_buffer
    .group_segment_fixed_size: 0
    .kernarg_segment_align: 8
    .kernarg_segment_size: 384
    .language:       OpenCL C
    .language_version:
      - 2
      - 0
    .max_flat_workgroup_size: 128
    .name:           _ZL13mul_mat_f_idsI7__half2Li32ELi13ELi2EEvPKT_PKfPKiS7_S7_Pfiiiiiiiiiiiiii15HIP_vector_typeIjLj3EESA_
    .private_segment_fixed_size: 16
    .sgpr_count:     40
    .sgpr_spill_count: 0
    .symbol:         _ZL13mul_mat_f_idsI7__half2Li32ELi13ELi2EEvPKT_PKfPKiS7_S7_Pfiiiiiiiiiiiiii15HIP_vector_typeIjLj3EESA_.kd
    .uniform_work_group_size: 1
    .uses_dynamic_stack: false
    .vgpr_count:     41
    .vgpr_spill_count: 0
    .wavefront_size: 64
  - .agpr_count:     0
    .args:
      - .actual_access:  read_only
        .address_space:  global
        .offset:         0
        .size:           8
        .value_kind:     global_buffer
      - .actual_access:  read_only
        .address_space:  global
        .offset:         8
        .size:           8
        .value_kind:     global_buffer
      - .actual_access:  read_only
        .address_space:  global
        .offset:         16
        .size:           8
        .value_kind:     global_buffer
      - .actual_access:  read_only
        .address_space:  global
        .offset:         24
        .size:           8
        .value_kind:     global_buffer
      - .offset:         32
        .size:           4
        .value_kind:     by_value
      - .offset:         36
        .size:           4
        .value_kind:     by_value
      - .offset:         40
        .size:           4
        .value_kind:     by_value
      - .offset:         44
        .size:           4
        .value_kind:     by_value
      - .offset:         48
        .size:           4
        .value_kind:     by_value
      - .offset:         52
        .size:           4
        .value_kind:     by_value
      - .offset:         56
        .size:           4
        .value_kind:     by_value
      - .offset:         60
        .size:           4
        .value_kind:     by_value
      - .offset:         64
        .size:           4
        .value_kind:     by_value
      - .offset:         68
        .size:           4
        .value_kind:     by_value
      - .offset:         72
        .size:           4
        .value_kind:     by_value
      - .offset:         76
        .size:           4
        .value_kind:     by_value
      - .offset:         80
        .size:           4
        .value_kind:     by_value
      - .offset:         84
        .size:           4
        .value_kind:     by_value
      - .offset:         88
        .size:           4
        .value_kind:     by_value
      - .offset:         92
        .size:           4
        .value_kind:     by_value
      - .offset:         96
        .size:           4
        .value_kind:     hidden_block_count_x
      - .offset:         100
        .size:           4
        .value_kind:     hidden_block_count_y
      - .offset:         104
        .size:           4
        .value_kind:     hidden_block_count_z
      - .offset:         108
        .size:           2
        .value_kind:     hidden_group_size_x
      - .offset:         110
        .size:           2
        .value_kind:     hidden_group_size_y
      - .offset:         112
        .size:           2
        .value_kind:     hidden_group_size_z
      - .offset:         114
        .size:           2
        .value_kind:     hidden_remainder_x
      - .offset:         116
        .size:           2
        .value_kind:     hidden_remainder_y
      - .offset:         118
        .size:           2
        .value_kind:     hidden_remainder_z
      - .offset:         136
        .size:           8
        .value_kind:     hidden_global_offset_x
      - .offset:         144
        .size:           8
        .value_kind:     hidden_global_offset_y
      - .offset:         152
        .size:           8
        .value_kind:     hidden_global_offset_z
      - .offset:         160
        .size:           2
        .value_kind:     hidden_grid_dims
      - .offset:         176
        .size:           8
        .value_kind:     hidden_hostcall_buffer
    .group_segment_fixed_size: 0
    .kernarg_segment_align: 8
    .kernarg_segment_size: 352
    .language:       OpenCL C
    .language_version:
      - 2
      - 0
    .max_flat_workgroup_size: 128
    .name:           _ZL9mul_mat_fI7__half2Li32ELi13ELi2ELb1EEvPKT_PKfPKiPfiiiiiiiiiiiiiiii
    .private_segment_fixed_size: 16
    .sgpr_count:     40
    .sgpr_spill_count: 0
    .symbol:         _ZL9mul_mat_fI7__half2Li32ELi13ELi2ELb1EEvPKT_PKfPKiPfiiiiiiiiiiiiiiii.kd
    .uniform_work_group_size: 1
    .uses_dynamic_stack: false
    .vgpr_count:     41
    .vgpr_spill_count: 0
    .wavefront_size: 64
  - .agpr_count:     0
    .args:
      - .actual_access:  read_only
        .address_space:  global
        .offset:         0
        .size:           8
        .value_kind:     global_buffer
      - .actual_access:  read_only
        .address_space:  global
        .offset:         8
        .size:           8
        .value_kind:     global_buffer
      - .actual_access:  read_only
        .address_space:  global
        .offset:         16
        .size:           8
        .value_kind:     global_buffer
      - .actual_access:  read_only
        .address_space:  global
        .offset:         24
        .size:           8
        .value_kind:     global_buffer
      - .offset:         32
        .size:           4
        .value_kind:     by_value
      - .offset:         36
        .size:           4
        .value_kind:     by_value
      - .offset:         40
        .size:           4
        .value_kind:     by_value
      - .offset:         44
        .size:           4
        .value_kind:     by_value
      - .offset:         48
        .size:           4
        .value_kind:     by_value
      - .offset:         52
        .size:           4
        .value_kind:     by_value
      - .offset:         56
        .size:           4
        .value_kind:     by_value
      - .offset:         60
        .size:           4
        .value_kind:     by_value
      - .offset:         64
        .size:           4
        .value_kind:     by_value
      - .offset:         68
        .size:           4
        .value_kind:     by_value
      - .offset:         72
        .size:           4
        .value_kind:     by_value
      - .offset:         76
        .size:           4
        .value_kind:     by_value
      - .offset:         80
        .size:           4
        .value_kind:     by_value
      - .offset:         84
        .size:           4
        .value_kind:     by_value
      - .offset:         88
        .size:           4
        .value_kind:     by_value
      - .offset:         92
        .size:           4
        .value_kind:     by_value
      - .offset:         96
        .size:           4
        .value_kind:     hidden_block_count_x
      - .offset:         100
        .size:           4
        .value_kind:     hidden_block_count_y
      - .offset:         104
        .size:           4
        .value_kind:     hidden_block_count_z
      - .offset:         108
        .size:           2
        .value_kind:     hidden_group_size_x
      - .offset:         110
        .size:           2
        .value_kind:     hidden_group_size_y
      - .offset:         112
        .size:           2
        .value_kind:     hidden_group_size_z
      - .offset:         114
        .size:           2
        .value_kind:     hidden_remainder_x
      - .offset:         116
        .size:           2
        .value_kind:     hidden_remainder_y
      - .offset:         118
        .size:           2
        .value_kind:     hidden_remainder_z
      - .offset:         136
        .size:           8
        .value_kind:     hidden_global_offset_x
      - .offset:         144
        .size:           8
        .value_kind:     hidden_global_offset_y
      - .offset:         152
        .size:           8
        .value_kind:     hidden_global_offset_z
      - .offset:         160
        .size:           2
        .value_kind:     hidden_grid_dims
      - .offset:         176
        .size:           8
        .value_kind:     hidden_hostcall_buffer
    .group_segment_fixed_size: 0
    .kernarg_segment_align: 8
    .kernarg_segment_size: 352
    .language:       OpenCL C
    .language_version:
      - 2
      - 0
    .max_flat_workgroup_size: 128
    .name:           _ZL9mul_mat_fI7__half2Li32ELi13ELi2ELb0EEvPKT_PKfPKiPfiiiiiiiiiiiiiiii
    .private_segment_fixed_size: 16
    .sgpr_count:     40
    .sgpr_spill_count: 0
    .symbol:         _ZL9mul_mat_fI7__half2Li32ELi13ELi2ELb0EEvPKT_PKfPKiPfiiiiiiiiiiiiiiii.kd
    .uniform_work_group_size: 1
    .uses_dynamic_stack: false
    .vgpr_count:     41
    .vgpr_spill_count: 0
    .wavefront_size: 64
  - .agpr_count:     0
    .args:
      - .actual_access:  read_only
        .address_space:  global
        .offset:         0
        .size:           8
        .value_kind:     global_buffer
      - .actual_access:  read_only
        .address_space:  global
        .offset:         8
        .size:           8
        .value_kind:     global_buffer
      - .actual_access:  read_only
        .address_space:  global
        .offset:         16
        .size:           8
        .value_kind:     global_buffer
      - .actual_access:  read_only
        .address_space:  global
        .offset:         24
        .size:           8
        .value_kind:     global_buffer
      - .actual_access:  read_only
        .address_space:  global
        .offset:         32
        .size:           8
        .value_kind:     global_buffer
      - .actual_access:  read_only
        .address_space:  global
        .offset:         40
        .size:           8
        .value_kind:     global_buffer
      - .offset:         48
        .size:           4
        .value_kind:     by_value
      - .offset:         52
        .size:           4
        .value_kind:     by_value
      - .offset:         56
        .size:           4
        .value_kind:     by_value
      - .offset:         60
        .size:           4
        .value_kind:     by_value
      - .offset:         64
        .size:           4
        .value_kind:     by_value
      - .offset:         68
        .size:           4
        .value_kind:     by_value
      - .offset:         72
        .size:           4
        .value_kind:     by_value
      - .offset:         76
        .size:           4
        .value_kind:     by_value
      - .offset:         80
        .size:           4
        .value_kind:     by_value
      - .offset:         84
        .size:           4
        .value_kind:     by_value
      - .offset:         88
        .size:           4
        .value_kind:     by_value
      - .offset:         92
        .size:           4
        .value_kind:     by_value
      - .offset:         96
        .size:           4
        .value_kind:     by_value
      - .offset:         100
        .size:           4
        .value_kind:     by_value
      - .offset:         104
        .size:           12
        .value_kind:     by_value
      - .offset:         116
        .size:           12
        .value_kind:     by_value
      - .offset:         128
        .size:           4
        .value_kind:     hidden_block_count_x
      - .offset:         132
        .size:           4
        .value_kind:     hidden_block_count_y
      - .offset:         136
        .size:           4
        .value_kind:     hidden_block_count_z
      - .offset:         140
        .size:           2
        .value_kind:     hidden_group_size_x
      - .offset:         142
        .size:           2
        .value_kind:     hidden_group_size_y
      - .offset:         144
        .size:           2
        .value_kind:     hidden_group_size_z
      - .offset:         146
        .size:           2
        .value_kind:     hidden_remainder_x
      - .offset:         148
        .size:           2
        .value_kind:     hidden_remainder_y
      - .offset:         150
        .size:           2
        .value_kind:     hidden_remainder_z
      - .offset:         168
        .size:           8
        .value_kind:     hidden_global_offset_x
      - .offset:         176
        .size:           8
        .value_kind:     hidden_global_offset_y
      - .offset:         184
        .size:           8
        .value_kind:     hidden_global_offset_z
      - .offset:         192
        .size:           2
        .value_kind:     hidden_grid_dims
      - .offset:         208
        .size:           8
        .value_kind:     hidden_hostcall_buffer
    .group_segment_fixed_size: 0
    .kernarg_segment_align: 8
    .kernarg_segment_size: 384
    .language:       OpenCL C
    .language_version:
      - 2
      - 0
    .max_flat_workgroup_size: 192
    .name:           _ZL13mul_mat_f_idsI7__half2Li32ELi13ELi3EEvPKT_PKfPKiS7_S7_Pfiiiiiiiiiiiiii15HIP_vector_typeIjLj3EESA_
    .private_segment_fixed_size: 16
    .sgpr_count:     40
    .sgpr_spill_count: 0
    .symbol:         _ZL13mul_mat_f_idsI7__half2Li32ELi13ELi3EEvPKT_PKfPKiS7_S7_Pfiiiiiiiiiiiiii15HIP_vector_typeIjLj3EESA_.kd
    .uniform_work_group_size: 1
    .uses_dynamic_stack: false
    .vgpr_count:     41
    .vgpr_spill_count: 0
    .wavefront_size: 64
  - .agpr_count:     0
    .args:
      - .actual_access:  read_only
        .address_space:  global
        .offset:         0
        .size:           8
        .value_kind:     global_buffer
      - .actual_access:  read_only
        .address_space:  global
        .offset:         8
        .size:           8
        .value_kind:     global_buffer
      - .actual_access:  read_only
        .address_space:  global
        .offset:         16
        .size:           8
        .value_kind:     global_buffer
      - .actual_access:  read_only
        .address_space:  global
        .offset:         24
        .size:           8
        .value_kind:     global_buffer
      - .offset:         32
        .size:           4
        .value_kind:     by_value
      - .offset:         36
        .size:           4
        .value_kind:     by_value
      - .offset:         40
        .size:           4
        .value_kind:     by_value
      - .offset:         44
        .size:           4
        .value_kind:     by_value
      - .offset:         48
        .size:           4
        .value_kind:     by_value
      - .offset:         52
        .size:           4
        .value_kind:     by_value
      - .offset:         56
        .size:           4
        .value_kind:     by_value
      - .offset:         60
        .size:           4
        .value_kind:     by_value
      - .offset:         64
        .size:           4
        .value_kind:     by_value
      - .offset:         68
        .size:           4
        .value_kind:     by_value
      - .offset:         72
        .size:           4
        .value_kind:     by_value
      - .offset:         76
        .size:           4
        .value_kind:     by_value
      - .offset:         80
        .size:           4
        .value_kind:     by_value
      - .offset:         84
        .size:           4
        .value_kind:     by_value
      - .offset:         88
        .size:           4
        .value_kind:     by_value
      - .offset:         92
        .size:           4
        .value_kind:     by_value
      - .offset:         96
        .size:           4
        .value_kind:     hidden_block_count_x
      - .offset:         100
        .size:           4
        .value_kind:     hidden_block_count_y
      - .offset:         104
        .size:           4
        .value_kind:     hidden_block_count_z
      - .offset:         108
        .size:           2
        .value_kind:     hidden_group_size_x
      - .offset:         110
        .size:           2
        .value_kind:     hidden_group_size_y
      - .offset:         112
        .size:           2
        .value_kind:     hidden_group_size_z
      - .offset:         114
        .size:           2
        .value_kind:     hidden_remainder_x
      - .offset:         116
        .size:           2
        .value_kind:     hidden_remainder_y
      - .offset:         118
        .size:           2
        .value_kind:     hidden_remainder_z
      - .offset:         136
        .size:           8
        .value_kind:     hidden_global_offset_x
      - .offset:         144
        .size:           8
        .value_kind:     hidden_global_offset_y
      - .offset:         152
        .size:           8
        .value_kind:     hidden_global_offset_z
      - .offset:         160
        .size:           2
        .value_kind:     hidden_grid_dims
      - .offset:         176
        .size:           8
        .value_kind:     hidden_hostcall_buffer
    .group_segment_fixed_size: 0
    .kernarg_segment_align: 8
    .kernarg_segment_size: 352
    .language:       OpenCL C
    .language_version:
      - 2
      - 0
    .max_flat_workgroup_size: 192
    .name:           _ZL9mul_mat_fI7__half2Li32ELi13ELi3ELb1EEvPKT_PKfPKiPfiiiiiiiiiiiiiiii
    .private_segment_fixed_size: 16
    .sgpr_count:     40
    .sgpr_spill_count: 0
    .symbol:         _ZL9mul_mat_fI7__half2Li32ELi13ELi3ELb1EEvPKT_PKfPKiPfiiiiiiiiiiiiiiii.kd
    .uniform_work_group_size: 1
    .uses_dynamic_stack: false
    .vgpr_count:     41
    .vgpr_spill_count: 0
    .wavefront_size: 64
  - .agpr_count:     0
    .args:
      - .actual_access:  read_only
        .address_space:  global
        .offset:         0
        .size:           8
        .value_kind:     global_buffer
      - .actual_access:  read_only
        .address_space:  global
        .offset:         8
        .size:           8
        .value_kind:     global_buffer
      - .actual_access:  read_only
        .address_space:  global
        .offset:         16
        .size:           8
        .value_kind:     global_buffer
      - .actual_access:  read_only
        .address_space:  global
        .offset:         24
        .size:           8
        .value_kind:     global_buffer
      - .offset:         32
        .size:           4
        .value_kind:     by_value
      - .offset:         36
        .size:           4
        .value_kind:     by_value
      - .offset:         40
        .size:           4
        .value_kind:     by_value
      - .offset:         44
        .size:           4
        .value_kind:     by_value
      - .offset:         48
        .size:           4
        .value_kind:     by_value
      - .offset:         52
        .size:           4
        .value_kind:     by_value
      - .offset:         56
        .size:           4
        .value_kind:     by_value
      - .offset:         60
        .size:           4
        .value_kind:     by_value
      - .offset:         64
        .size:           4
        .value_kind:     by_value
      - .offset:         68
        .size:           4
        .value_kind:     by_value
      - .offset:         72
        .size:           4
        .value_kind:     by_value
      - .offset:         76
        .size:           4
        .value_kind:     by_value
      - .offset:         80
        .size:           4
        .value_kind:     by_value
      - .offset:         84
        .size:           4
        .value_kind:     by_value
      - .offset:         88
        .size:           4
        .value_kind:     by_value
      - .offset:         92
        .size:           4
        .value_kind:     by_value
      - .offset:         96
        .size:           4
        .value_kind:     hidden_block_count_x
      - .offset:         100
        .size:           4
        .value_kind:     hidden_block_count_y
      - .offset:         104
        .size:           4
        .value_kind:     hidden_block_count_z
      - .offset:         108
        .size:           2
        .value_kind:     hidden_group_size_x
      - .offset:         110
        .size:           2
        .value_kind:     hidden_group_size_y
      - .offset:         112
        .size:           2
        .value_kind:     hidden_group_size_z
      - .offset:         114
        .size:           2
        .value_kind:     hidden_remainder_x
      - .offset:         116
        .size:           2
        .value_kind:     hidden_remainder_y
      - .offset:         118
        .size:           2
        .value_kind:     hidden_remainder_z
      - .offset:         136
        .size:           8
        .value_kind:     hidden_global_offset_x
      - .offset:         144
        .size:           8
        .value_kind:     hidden_global_offset_y
      - .offset:         152
        .size:           8
        .value_kind:     hidden_global_offset_z
      - .offset:         160
        .size:           2
        .value_kind:     hidden_grid_dims
      - .offset:         176
        .size:           8
        .value_kind:     hidden_hostcall_buffer
    .group_segment_fixed_size: 0
    .kernarg_segment_align: 8
    .kernarg_segment_size: 352
    .language:       OpenCL C
    .language_version:
      - 2
      - 0
    .max_flat_workgroup_size: 192
    .name:           _ZL9mul_mat_fI7__half2Li32ELi13ELi3ELb0EEvPKT_PKfPKiPfiiiiiiiiiiiiiiii
    .private_segment_fixed_size: 16
    .sgpr_count:     40
    .sgpr_spill_count: 0
    .symbol:         _ZL9mul_mat_fI7__half2Li32ELi13ELi3ELb0EEvPKT_PKfPKiPfiiiiiiiiiiiiiiii.kd
    .uniform_work_group_size: 1
    .uses_dynamic_stack: false
    .vgpr_count:     41
    .vgpr_spill_count: 0
    .wavefront_size: 64
  - .agpr_count:     0
    .args:
      - .actual_access:  read_only
        .address_space:  global
        .offset:         0
        .size:           8
        .value_kind:     global_buffer
      - .actual_access:  read_only
        .address_space:  global
        .offset:         8
        .size:           8
        .value_kind:     global_buffer
      - .actual_access:  read_only
        .address_space:  global
        .offset:         16
        .size:           8
        .value_kind:     global_buffer
      - .actual_access:  read_only
        .address_space:  global
        .offset:         24
        .size:           8
        .value_kind:     global_buffer
      - .actual_access:  read_only
        .address_space:  global
        .offset:         32
        .size:           8
        .value_kind:     global_buffer
      - .actual_access:  read_only
        .address_space:  global
        .offset:         40
        .size:           8
        .value_kind:     global_buffer
      - .offset:         48
        .size:           4
        .value_kind:     by_value
      - .offset:         52
        .size:           4
        .value_kind:     by_value
      - .offset:         56
        .size:           4
        .value_kind:     by_value
      - .offset:         60
        .size:           4
        .value_kind:     by_value
      - .offset:         64
        .size:           4
        .value_kind:     by_value
      - .offset:         68
        .size:           4
        .value_kind:     by_value
      - .offset:         72
        .size:           4
        .value_kind:     by_value
      - .offset:         76
        .size:           4
        .value_kind:     by_value
      - .offset:         80
        .size:           4
        .value_kind:     by_value
      - .offset:         84
        .size:           4
        .value_kind:     by_value
      - .offset:         88
        .size:           4
        .value_kind:     by_value
      - .offset:         92
        .size:           4
        .value_kind:     by_value
      - .offset:         96
        .size:           4
        .value_kind:     by_value
      - .offset:         100
        .size:           4
        .value_kind:     by_value
      - .offset:         104
        .size:           12
        .value_kind:     by_value
      - .offset:         116
        .size:           12
        .value_kind:     by_value
      - .offset:         128
        .size:           4
        .value_kind:     hidden_block_count_x
      - .offset:         132
        .size:           4
        .value_kind:     hidden_block_count_y
      - .offset:         136
        .size:           4
        .value_kind:     hidden_block_count_z
      - .offset:         140
        .size:           2
        .value_kind:     hidden_group_size_x
      - .offset:         142
        .size:           2
        .value_kind:     hidden_group_size_y
      - .offset:         144
        .size:           2
        .value_kind:     hidden_group_size_z
      - .offset:         146
        .size:           2
        .value_kind:     hidden_remainder_x
      - .offset:         148
        .size:           2
        .value_kind:     hidden_remainder_y
      - .offset:         150
        .size:           2
        .value_kind:     hidden_remainder_z
      - .offset:         168
        .size:           8
        .value_kind:     hidden_global_offset_x
      - .offset:         176
        .size:           8
        .value_kind:     hidden_global_offset_y
      - .offset:         184
        .size:           8
        .value_kind:     hidden_global_offset_z
      - .offset:         192
        .size:           2
        .value_kind:     hidden_grid_dims
      - .offset:         208
        .size:           8
        .value_kind:     hidden_hostcall_buffer
    .group_segment_fixed_size: 0
    .kernarg_segment_align: 8
    .kernarg_segment_size: 384
    .language:       OpenCL C
    .language_version:
      - 2
      - 0
    .max_flat_workgroup_size: 256
    .name:           _ZL13mul_mat_f_idsI7__half2Li32ELi13ELi4EEvPKT_PKfPKiS7_S7_Pfiiiiiiiiiiiiii15HIP_vector_typeIjLj3EESA_
    .private_segment_fixed_size: 16
    .sgpr_count:     40
    .sgpr_spill_count: 0
    .symbol:         _ZL13mul_mat_f_idsI7__half2Li32ELi13ELi4EEvPKT_PKfPKiS7_S7_Pfiiiiiiiiiiiiii15HIP_vector_typeIjLj3EESA_.kd
    .uniform_work_group_size: 1
    .uses_dynamic_stack: false
    .vgpr_count:     41
    .vgpr_spill_count: 0
    .wavefront_size: 64
  - .agpr_count:     0
    .args:
      - .actual_access:  read_only
        .address_space:  global
        .offset:         0
        .size:           8
        .value_kind:     global_buffer
      - .actual_access:  read_only
        .address_space:  global
        .offset:         8
        .size:           8
        .value_kind:     global_buffer
      - .actual_access:  read_only
        .address_space:  global
        .offset:         16
        .size:           8
        .value_kind:     global_buffer
      - .actual_access:  read_only
        .address_space:  global
        .offset:         24
        .size:           8
        .value_kind:     global_buffer
      - .offset:         32
        .size:           4
        .value_kind:     by_value
      - .offset:         36
        .size:           4
        .value_kind:     by_value
      - .offset:         40
        .size:           4
        .value_kind:     by_value
      - .offset:         44
        .size:           4
        .value_kind:     by_value
      - .offset:         48
        .size:           4
        .value_kind:     by_value
      - .offset:         52
        .size:           4
        .value_kind:     by_value
      - .offset:         56
        .size:           4
        .value_kind:     by_value
      - .offset:         60
        .size:           4
        .value_kind:     by_value
      - .offset:         64
        .size:           4
        .value_kind:     by_value
      - .offset:         68
        .size:           4
        .value_kind:     by_value
      - .offset:         72
        .size:           4
        .value_kind:     by_value
      - .offset:         76
        .size:           4
        .value_kind:     by_value
      - .offset:         80
        .size:           4
        .value_kind:     by_value
      - .offset:         84
        .size:           4
        .value_kind:     by_value
      - .offset:         88
        .size:           4
        .value_kind:     by_value
      - .offset:         92
        .size:           4
        .value_kind:     by_value
      - .offset:         96
        .size:           4
        .value_kind:     hidden_block_count_x
      - .offset:         100
        .size:           4
        .value_kind:     hidden_block_count_y
      - .offset:         104
        .size:           4
        .value_kind:     hidden_block_count_z
      - .offset:         108
        .size:           2
        .value_kind:     hidden_group_size_x
      - .offset:         110
        .size:           2
        .value_kind:     hidden_group_size_y
      - .offset:         112
        .size:           2
        .value_kind:     hidden_group_size_z
      - .offset:         114
        .size:           2
        .value_kind:     hidden_remainder_x
      - .offset:         116
        .size:           2
        .value_kind:     hidden_remainder_y
      - .offset:         118
        .size:           2
        .value_kind:     hidden_remainder_z
      - .offset:         136
        .size:           8
        .value_kind:     hidden_global_offset_x
      - .offset:         144
        .size:           8
        .value_kind:     hidden_global_offset_y
      - .offset:         152
        .size:           8
        .value_kind:     hidden_global_offset_z
      - .offset:         160
        .size:           2
        .value_kind:     hidden_grid_dims
      - .offset:         176
        .size:           8
        .value_kind:     hidden_hostcall_buffer
    .group_segment_fixed_size: 0
    .kernarg_segment_align: 8
    .kernarg_segment_size: 352
    .language:       OpenCL C
    .language_version:
      - 2
      - 0
    .max_flat_workgroup_size: 256
    .name:           _ZL9mul_mat_fI7__half2Li32ELi13ELi4ELb1EEvPKT_PKfPKiPfiiiiiiiiiiiiiiii
    .private_segment_fixed_size: 16
    .sgpr_count:     40
    .sgpr_spill_count: 0
    .symbol:         _ZL9mul_mat_fI7__half2Li32ELi13ELi4ELb1EEvPKT_PKfPKiPfiiiiiiiiiiiiiiii.kd
    .uniform_work_group_size: 1
    .uses_dynamic_stack: false
    .vgpr_count:     41
    .vgpr_spill_count: 0
    .wavefront_size: 64
  - .agpr_count:     0
    .args:
      - .actual_access:  read_only
        .address_space:  global
        .offset:         0
        .size:           8
        .value_kind:     global_buffer
      - .actual_access:  read_only
        .address_space:  global
        .offset:         8
        .size:           8
        .value_kind:     global_buffer
      - .actual_access:  read_only
        .address_space:  global
        .offset:         16
        .size:           8
        .value_kind:     global_buffer
      - .actual_access:  read_only
        .address_space:  global
        .offset:         24
        .size:           8
        .value_kind:     global_buffer
      - .offset:         32
        .size:           4
        .value_kind:     by_value
      - .offset:         36
        .size:           4
        .value_kind:     by_value
      - .offset:         40
        .size:           4
        .value_kind:     by_value
      - .offset:         44
        .size:           4
        .value_kind:     by_value
      - .offset:         48
        .size:           4
        .value_kind:     by_value
      - .offset:         52
        .size:           4
        .value_kind:     by_value
      - .offset:         56
        .size:           4
        .value_kind:     by_value
      - .offset:         60
        .size:           4
        .value_kind:     by_value
      - .offset:         64
        .size:           4
        .value_kind:     by_value
      - .offset:         68
        .size:           4
        .value_kind:     by_value
      - .offset:         72
        .size:           4
        .value_kind:     by_value
      - .offset:         76
        .size:           4
        .value_kind:     by_value
      - .offset:         80
        .size:           4
        .value_kind:     by_value
      - .offset:         84
        .size:           4
        .value_kind:     by_value
      - .offset:         88
        .size:           4
        .value_kind:     by_value
      - .offset:         92
        .size:           4
        .value_kind:     by_value
      - .offset:         96
        .size:           4
        .value_kind:     hidden_block_count_x
      - .offset:         100
        .size:           4
        .value_kind:     hidden_block_count_y
      - .offset:         104
        .size:           4
        .value_kind:     hidden_block_count_z
      - .offset:         108
        .size:           2
        .value_kind:     hidden_group_size_x
      - .offset:         110
        .size:           2
        .value_kind:     hidden_group_size_y
      - .offset:         112
        .size:           2
        .value_kind:     hidden_group_size_z
      - .offset:         114
        .size:           2
        .value_kind:     hidden_remainder_x
      - .offset:         116
        .size:           2
        .value_kind:     hidden_remainder_y
      - .offset:         118
        .size:           2
        .value_kind:     hidden_remainder_z
      - .offset:         136
        .size:           8
        .value_kind:     hidden_global_offset_x
      - .offset:         144
        .size:           8
        .value_kind:     hidden_global_offset_y
      - .offset:         152
        .size:           8
        .value_kind:     hidden_global_offset_z
      - .offset:         160
        .size:           2
        .value_kind:     hidden_grid_dims
      - .offset:         176
        .size:           8
        .value_kind:     hidden_hostcall_buffer
    .group_segment_fixed_size: 0
    .kernarg_segment_align: 8
    .kernarg_segment_size: 352
    .language:       OpenCL C
    .language_version:
      - 2
      - 0
    .max_flat_workgroup_size: 256
    .name:           _ZL9mul_mat_fI7__half2Li32ELi13ELi4ELb0EEvPKT_PKfPKiPfiiiiiiiiiiiiiiii
    .private_segment_fixed_size: 16
    .sgpr_count:     40
    .sgpr_spill_count: 0
    .symbol:         _ZL9mul_mat_fI7__half2Li32ELi13ELi4ELb0EEvPKT_PKfPKiPfiiiiiiiiiiiiiiii.kd
    .uniform_work_group_size: 1
    .uses_dynamic_stack: false
    .vgpr_count:     41
    .vgpr_spill_count: 0
    .wavefront_size: 64
  - .agpr_count:     0
    .args:
      - .actual_access:  read_only
        .address_space:  global
        .offset:         0
        .size:           8
        .value_kind:     global_buffer
      - .actual_access:  read_only
        .address_space:  global
        .offset:         8
        .size:           8
        .value_kind:     global_buffer
      - .actual_access:  read_only
        .address_space:  global
        .offset:         16
        .size:           8
        .value_kind:     global_buffer
      - .actual_access:  read_only
        .address_space:  global
        .offset:         24
        .size:           8
        .value_kind:     global_buffer
      - .actual_access:  read_only
        .address_space:  global
        .offset:         32
        .size:           8
        .value_kind:     global_buffer
      - .actual_access:  read_only
        .address_space:  global
        .offset:         40
        .size:           8
        .value_kind:     global_buffer
      - .offset:         48
        .size:           4
        .value_kind:     by_value
      - .offset:         52
        .size:           4
        .value_kind:     by_value
      - .offset:         56
        .size:           4
        .value_kind:     by_value
      - .offset:         60
        .size:           4
        .value_kind:     by_value
      - .offset:         64
        .size:           4
        .value_kind:     by_value
      - .offset:         68
        .size:           4
        .value_kind:     by_value
      - .offset:         72
        .size:           4
        .value_kind:     by_value
      - .offset:         76
        .size:           4
        .value_kind:     by_value
      - .offset:         80
        .size:           4
        .value_kind:     by_value
      - .offset:         84
        .size:           4
        .value_kind:     by_value
      - .offset:         88
        .size:           4
        .value_kind:     by_value
      - .offset:         92
        .size:           4
        .value_kind:     by_value
      - .offset:         96
        .size:           4
        .value_kind:     by_value
      - .offset:         100
        .size:           4
        .value_kind:     by_value
      - .offset:         104
        .size:           12
        .value_kind:     by_value
      - .offset:         116
        .size:           12
        .value_kind:     by_value
      - .offset:         128
        .size:           4
        .value_kind:     hidden_block_count_x
      - .offset:         132
        .size:           4
        .value_kind:     hidden_block_count_y
      - .offset:         136
        .size:           4
        .value_kind:     hidden_block_count_z
      - .offset:         140
        .size:           2
        .value_kind:     hidden_group_size_x
      - .offset:         142
        .size:           2
        .value_kind:     hidden_group_size_y
      - .offset:         144
        .size:           2
        .value_kind:     hidden_group_size_z
      - .offset:         146
        .size:           2
        .value_kind:     hidden_remainder_x
      - .offset:         148
        .size:           2
        .value_kind:     hidden_remainder_y
      - .offset:         150
        .size:           2
        .value_kind:     hidden_remainder_z
      - .offset:         168
        .size:           8
        .value_kind:     hidden_global_offset_x
      - .offset:         176
        .size:           8
        .value_kind:     hidden_global_offset_y
      - .offset:         184
        .size:           8
        .value_kind:     hidden_global_offset_z
      - .offset:         192
        .size:           2
        .value_kind:     hidden_grid_dims
      - .offset:         208
        .size:           8
        .value_kind:     hidden_hostcall_buffer
    .group_segment_fixed_size: 0
    .kernarg_segment_align: 8
    .kernarg_segment_size: 384
    .language:       OpenCL C
    .language_version:
      - 2
      - 0
    .max_flat_workgroup_size: 320
    .name:           _ZL13mul_mat_f_idsI7__half2Li32ELi13ELi5EEvPKT_PKfPKiS7_S7_Pfiiiiiiiiiiiiii15HIP_vector_typeIjLj3EESA_
    .private_segment_fixed_size: 16
    .sgpr_count:     40
    .sgpr_spill_count: 0
    .symbol:         _ZL13mul_mat_f_idsI7__half2Li32ELi13ELi5EEvPKT_PKfPKiS7_S7_Pfiiiiiiiiiiiiii15HIP_vector_typeIjLj3EESA_.kd
    .uniform_work_group_size: 1
    .uses_dynamic_stack: false
    .vgpr_count:     41
    .vgpr_spill_count: 0
    .wavefront_size: 64
  - .agpr_count:     0
    .args:
      - .actual_access:  read_only
        .address_space:  global
        .offset:         0
        .size:           8
        .value_kind:     global_buffer
      - .actual_access:  read_only
        .address_space:  global
        .offset:         8
        .size:           8
        .value_kind:     global_buffer
      - .actual_access:  read_only
        .address_space:  global
        .offset:         16
        .size:           8
        .value_kind:     global_buffer
      - .actual_access:  read_only
        .address_space:  global
        .offset:         24
        .size:           8
        .value_kind:     global_buffer
      - .offset:         32
        .size:           4
        .value_kind:     by_value
      - .offset:         36
        .size:           4
        .value_kind:     by_value
      - .offset:         40
        .size:           4
        .value_kind:     by_value
      - .offset:         44
        .size:           4
        .value_kind:     by_value
      - .offset:         48
        .size:           4
        .value_kind:     by_value
      - .offset:         52
        .size:           4
        .value_kind:     by_value
      - .offset:         56
        .size:           4
        .value_kind:     by_value
      - .offset:         60
        .size:           4
        .value_kind:     by_value
      - .offset:         64
        .size:           4
        .value_kind:     by_value
      - .offset:         68
        .size:           4
        .value_kind:     by_value
      - .offset:         72
        .size:           4
        .value_kind:     by_value
      - .offset:         76
        .size:           4
        .value_kind:     by_value
      - .offset:         80
        .size:           4
        .value_kind:     by_value
      - .offset:         84
        .size:           4
        .value_kind:     by_value
      - .offset:         88
        .size:           4
        .value_kind:     by_value
      - .offset:         92
        .size:           4
        .value_kind:     by_value
      - .offset:         96
        .size:           4
        .value_kind:     hidden_block_count_x
      - .offset:         100
        .size:           4
        .value_kind:     hidden_block_count_y
      - .offset:         104
        .size:           4
        .value_kind:     hidden_block_count_z
      - .offset:         108
        .size:           2
        .value_kind:     hidden_group_size_x
      - .offset:         110
        .size:           2
        .value_kind:     hidden_group_size_y
      - .offset:         112
        .size:           2
        .value_kind:     hidden_group_size_z
      - .offset:         114
        .size:           2
        .value_kind:     hidden_remainder_x
      - .offset:         116
        .size:           2
        .value_kind:     hidden_remainder_y
      - .offset:         118
        .size:           2
        .value_kind:     hidden_remainder_z
      - .offset:         136
        .size:           8
        .value_kind:     hidden_global_offset_x
      - .offset:         144
        .size:           8
        .value_kind:     hidden_global_offset_y
      - .offset:         152
        .size:           8
        .value_kind:     hidden_global_offset_z
      - .offset:         160
        .size:           2
        .value_kind:     hidden_grid_dims
      - .offset:         176
        .size:           8
        .value_kind:     hidden_hostcall_buffer
    .group_segment_fixed_size: 0
    .kernarg_segment_align: 8
    .kernarg_segment_size: 352
    .language:       OpenCL C
    .language_version:
      - 2
      - 0
    .max_flat_workgroup_size: 320
    .name:           _ZL9mul_mat_fI7__half2Li32ELi13ELi5ELb1EEvPKT_PKfPKiPfiiiiiiiiiiiiiiii
    .private_segment_fixed_size: 16
    .sgpr_count:     40
    .sgpr_spill_count: 0
    .symbol:         _ZL9mul_mat_fI7__half2Li32ELi13ELi5ELb1EEvPKT_PKfPKiPfiiiiiiiiiiiiiiii.kd
    .uniform_work_group_size: 1
    .uses_dynamic_stack: false
    .vgpr_count:     41
    .vgpr_spill_count: 0
    .wavefront_size: 64
  - .agpr_count:     0
    .args:
      - .actual_access:  read_only
        .address_space:  global
        .offset:         0
        .size:           8
        .value_kind:     global_buffer
      - .actual_access:  read_only
        .address_space:  global
        .offset:         8
        .size:           8
        .value_kind:     global_buffer
      - .actual_access:  read_only
        .address_space:  global
        .offset:         16
        .size:           8
        .value_kind:     global_buffer
      - .actual_access:  read_only
        .address_space:  global
        .offset:         24
        .size:           8
        .value_kind:     global_buffer
      - .offset:         32
        .size:           4
        .value_kind:     by_value
      - .offset:         36
        .size:           4
        .value_kind:     by_value
      - .offset:         40
        .size:           4
        .value_kind:     by_value
      - .offset:         44
        .size:           4
        .value_kind:     by_value
      - .offset:         48
        .size:           4
        .value_kind:     by_value
      - .offset:         52
        .size:           4
        .value_kind:     by_value
      - .offset:         56
        .size:           4
        .value_kind:     by_value
      - .offset:         60
        .size:           4
        .value_kind:     by_value
      - .offset:         64
        .size:           4
        .value_kind:     by_value
      - .offset:         68
        .size:           4
        .value_kind:     by_value
      - .offset:         72
        .size:           4
        .value_kind:     by_value
      - .offset:         76
        .size:           4
        .value_kind:     by_value
      - .offset:         80
        .size:           4
        .value_kind:     by_value
      - .offset:         84
        .size:           4
        .value_kind:     by_value
      - .offset:         88
        .size:           4
        .value_kind:     by_value
      - .offset:         92
        .size:           4
        .value_kind:     by_value
      - .offset:         96
        .size:           4
        .value_kind:     hidden_block_count_x
      - .offset:         100
        .size:           4
        .value_kind:     hidden_block_count_y
      - .offset:         104
        .size:           4
        .value_kind:     hidden_block_count_z
      - .offset:         108
        .size:           2
        .value_kind:     hidden_group_size_x
      - .offset:         110
        .size:           2
        .value_kind:     hidden_group_size_y
      - .offset:         112
        .size:           2
        .value_kind:     hidden_group_size_z
      - .offset:         114
        .size:           2
        .value_kind:     hidden_remainder_x
      - .offset:         116
        .size:           2
        .value_kind:     hidden_remainder_y
      - .offset:         118
        .size:           2
        .value_kind:     hidden_remainder_z
      - .offset:         136
        .size:           8
        .value_kind:     hidden_global_offset_x
      - .offset:         144
        .size:           8
        .value_kind:     hidden_global_offset_y
      - .offset:         152
        .size:           8
        .value_kind:     hidden_global_offset_z
      - .offset:         160
        .size:           2
        .value_kind:     hidden_grid_dims
      - .offset:         176
        .size:           8
        .value_kind:     hidden_hostcall_buffer
    .group_segment_fixed_size: 0
    .kernarg_segment_align: 8
    .kernarg_segment_size: 352
    .language:       OpenCL C
    .language_version:
      - 2
      - 0
    .max_flat_workgroup_size: 320
    .name:           _ZL9mul_mat_fI7__half2Li32ELi13ELi5ELb0EEvPKT_PKfPKiPfiiiiiiiiiiiiiiii
    .private_segment_fixed_size: 16
    .sgpr_count:     40
    .sgpr_spill_count: 0
    .symbol:         _ZL9mul_mat_fI7__half2Li32ELi13ELi5ELb0EEvPKT_PKfPKiPfiiiiiiiiiiiiiiii.kd
    .uniform_work_group_size: 1
    .uses_dynamic_stack: false
    .vgpr_count:     41
    .vgpr_spill_count: 0
    .wavefront_size: 64
  - .agpr_count:     0
    .args:
      - .actual_access:  read_only
        .address_space:  global
        .offset:         0
        .size:           8
        .value_kind:     global_buffer
      - .actual_access:  read_only
        .address_space:  global
        .offset:         8
        .size:           8
        .value_kind:     global_buffer
      - .actual_access:  read_only
        .address_space:  global
        .offset:         16
        .size:           8
        .value_kind:     global_buffer
      - .actual_access:  read_only
        .address_space:  global
        .offset:         24
        .size:           8
        .value_kind:     global_buffer
      - .actual_access:  read_only
        .address_space:  global
        .offset:         32
        .size:           8
        .value_kind:     global_buffer
      - .actual_access:  read_only
        .address_space:  global
        .offset:         40
        .size:           8
        .value_kind:     global_buffer
      - .offset:         48
        .size:           4
        .value_kind:     by_value
      - .offset:         52
        .size:           4
        .value_kind:     by_value
      - .offset:         56
        .size:           4
        .value_kind:     by_value
      - .offset:         60
        .size:           4
        .value_kind:     by_value
      - .offset:         64
        .size:           4
        .value_kind:     by_value
      - .offset:         68
        .size:           4
        .value_kind:     by_value
      - .offset:         72
        .size:           4
        .value_kind:     by_value
      - .offset:         76
        .size:           4
        .value_kind:     by_value
      - .offset:         80
        .size:           4
        .value_kind:     by_value
      - .offset:         84
        .size:           4
        .value_kind:     by_value
      - .offset:         88
        .size:           4
        .value_kind:     by_value
      - .offset:         92
        .size:           4
        .value_kind:     by_value
      - .offset:         96
        .size:           4
        .value_kind:     by_value
      - .offset:         100
        .size:           4
        .value_kind:     by_value
      - .offset:         104
        .size:           12
        .value_kind:     by_value
      - .offset:         116
        .size:           12
        .value_kind:     by_value
      - .offset:         128
        .size:           4
        .value_kind:     hidden_block_count_x
      - .offset:         132
        .size:           4
        .value_kind:     hidden_block_count_y
      - .offset:         136
        .size:           4
        .value_kind:     hidden_block_count_z
      - .offset:         140
        .size:           2
        .value_kind:     hidden_group_size_x
      - .offset:         142
        .size:           2
        .value_kind:     hidden_group_size_y
      - .offset:         144
        .size:           2
        .value_kind:     hidden_group_size_z
      - .offset:         146
        .size:           2
        .value_kind:     hidden_remainder_x
      - .offset:         148
        .size:           2
        .value_kind:     hidden_remainder_y
      - .offset:         150
        .size:           2
        .value_kind:     hidden_remainder_z
      - .offset:         168
        .size:           8
        .value_kind:     hidden_global_offset_x
      - .offset:         176
        .size:           8
        .value_kind:     hidden_global_offset_y
      - .offset:         184
        .size:           8
        .value_kind:     hidden_global_offset_z
      - .offset:         192
        .size:           2
        .value_kind:     hidden_grid_dims
      - .offset:         208
        .size:           8
        .value_kind:     hidden_hostcall_buffer
    .group_segment_fixed_size: 0
    .kernarg_segment_align: 8
    .kernarg_segment_size: 384
    .language:       OpenCL C
    .language_version:
      - 2
      - 0
    .max_flat_workgroup_size: 384
    .name:           _ZL13mul_mat_f_idsI7__half2Li32ELi13ELi6EEvPKT_PKfPKiS7_S7_Pfiiiiiiiiiiiiii15HIP_vector_typeIjLj3EESA_
    .private_segment_fixed_size: 16
    .sgpr_count:     40
    .sgpr_spill_count: 0
    .symbol:         _ZL13mul_mat_f_idsI7__half2Li32ELi13ELi6EEvPKT_PKfPKiS7_S7_Pfiiiiiiiiiiiiii15HIP_vector_typeIjLj3EESA_.kd
    .uniform_work_group_size: 1
    .uses_dynamic_stack: false
    .vgpr_count:     41
    .vgpr_spill_count: 0
    .wavefront_size: 64
  - .agpr_count:     0
    .args:
      - .actual_access:  read_only
        .address_space:  global
        .offset:         0
        .size:           8
        .value_kind:     global_buffer
      - .actual_access:  read_only
        .address_space:  global
        .offset:         8
        .size:           8
        .value_kind:     global_buffer
      - .actual_access:  read_only
        .address_space:  global
        .offset:         16
        .size:           8
        .value_kind:     global_buffer
      - .actual_access:  read_only
        .address_space:  global
        .offset:         24
        .size:           8
        .value_kind:     global_buffer
      - .offset:         32
        .size:           4
        .value_kind:     by_value
      - .offset:         36
        .size:           4
        .value_kind:     by_value
      - .offset:         40
        .size:           4
        .value_kind:     by_value
      - .offset:         44
        .size:           4
        .value_kind:     by_value
      - .offset:         48
        .size:           4
        .value_kind:     by_value
      - .offset:         52
        .size:           4
        .value_kind:     by_value
      - .offset:         56
        .size:           4
        .value_kind:     by_value
      - .offset:         60
        .size:           4
        .value_kind:     by_value
      - .offset:         64
        .size:           4
        .value_kind:     by_value
      - .offset:         68
        .size:           4
        .value_kind:     by_value
      - .offset:         72
        .size:           4
        .value_kind:     by_value
      - .offset:         76
        .size:           4
        .value_kind:     by_value
      - .offset:         80
        .size:           4
        .value_kind:     by_value
      - .offset:         84
        .size:           4
        .value_kind:     by_value
      - .offset:         88
        .size:           4
        .value_kind:     by_value
      - .offset:         92
        .size:           4
        .value_kind:     by_value
      - .offset:         96
        .size:           4
        .value_kind:     hidden_block_count_x
      - .offset:         100
        .size:           4
        .value_kind:     hidden_block_count_y
      - .offset:         104
        .size:           4
        .value_kind:     hidden_block_count_z
      - .offset:         108
        .size:           2
        .value_kind:     hidden_group_size_x
      - .offset:         110
        .size:           2
        .value_kind:     hidden_group_size_y
      - .offset:         112
        .size:           2
        .value_kind:     hidden_group_size_z
      - .offset:         114
        .size:           2
        .value_kind:     hidden_remainder_x
      - .offset:         116
        .size:           2
        .value_kind:     hidden_remainder_y
      - .offset:         118
        .size:           2
        .value_kind:     hidden_remainder_z
      - .offset:         136
        .size:           8
        .value_kind:     hidden_global_offset_x
      - .offset:         144
        .size:           8
        .value_kind:     hidden_global_offset_y
      - .offset:         152
        .size:           8
        .value_kind:     hidden_global_offset_z
      - .offset:         160
        .size:           2
        .value_kind:     hidden_grid_dims
      - .offset:         176
        .size:           8
        .value_kind:     hidden_hostcall_buffer
    .group_segment_fixed_size: 0
    .kernarg_segment_align: 8
    .kernarg_segment_size: 352
    .language:       OpenCL C
    .language_version:
      - 2
      - 0
    .max_flat_workgroup_size: 384
    .name:           _ZL9mul_mat_fI7__half2Li32ELi13ELi6ELb1EEvPKT_PKfPKiPfiiiiiiiiiiiiiiii
    .private_segment_fixed_size: 16
    .sgpr_count:     40
    .sgpr_spill_count: 0
    .symbol:         _ZL9mul_mat_fI7__half2Li32ELi13ELi6ELb1EEvPKT_PKfPKiPfiiiiiiiiiiiiiiii.kd
    .uniform_work_group_size: 1
    .uses_dynamic_stack: false
    .vgpr_count:     41
    .vgpr_spill_count: 0
    .wavefront_size: 64
  - .agpr_count:     0
    .args:
      - .actual_access:  read_only
        .address_space:  global
        .offset:         0
        .size:           8
        .value_kind:     global_buffer
      - .actual_access:  read_only
        .address_space:  global
        .offset:         8
        .size:           8
        .value_kind:     global_buffer
      - .actual_access:  read_only
        .address_space:  global
        .offset:         16
        .size:           8
        .value_kind:     global_buffer
      - .actual_access:  read_only
        .address_space:  global
        .offset:         24
        .size:           8
        .value_kind:     global_buffer
      - .offset:         32
        .size:           4
        .value_kind:     by_value
      - .offset:         36
        .size:           4
        .value_kind:     by_value
      - .offset:         40
        .size:           4
        .value_kind:     by_value
      - .offset:         44
        .size:           4
        .value_kind:     by_value
      - .offset:         48
        .size:           4
        .value_kind:     by_value
      - .offset:         52
        .size:           4
        .value_kind:     by_value
      - .offset:         56
        .size:           4
        .value_kind:     by_value
      - .offset:         60
        .size:           4
        .value_kind:     by_value
      - .offset:         64
        .size:           4
        .value_kind:     by_value
      - .offset:         68
        .size:           4
        .value_kind:     by_value
      - .offset:         72
        .size:           4
        .value_kind:     by_value
      - .offset:         76
        .size:           4
        .value_kind:     by_value
      - .offset:         80
        .size:           4
        .value_kind:     by_value
      - .offset:         84
        .size:           4
        .value_kind:     by_value
      - .offset:         88
        .size:           4
        .value_kind:     by_value
      - .offset:         92
        .size:           4
        .value_kind:     by_value
      - .offset:         96
        .size:           4
        .value_kind:     hidden_block_count_x
      - .offset:         100
        .size:           4
        .value_kind:     hidden_block_count_y
      - .offset:         104
        .size:           4
        .value_kind:     hidden_block_count_z
      - .offset:         108
        .size:           2
        .value_kind:     hidden_group_size_x
      - .offset:         110
        .size:           2
        .value_kind:     hidden_group_size_y
      - .offset:         112
        .size:           2
        .value_kind:     hidden_group_size_z
      - .offset:         114
        .size:           2
        .value_kind:     hidden_remainder_x
      - .offset:         116
        .size:           2
        .value_kind:     hidden_remainder_y
      - .offset:         118
        .size:           2
        .value_kind:     hidden_remainder_z
      - .offset:         136
        .size:           8
        .value_kind:     hidden_global_offset_x
      - .offset:         144
        .size:           8
        .value_kind:     hidden_global_offset_y
      - .offset:         152
        .size:           8
        .value_kind:     hidden_global_offset_z
      - .offset:         160
        .size:           2
        .value_kind:     hidden_grid_dims
      - .offset:         176
        .size:           8
        .value_kind:     hidden_hostcall_buffer
    .group_segment_fixed_size: 0
    .kernarg_segment_align: 8
    .kernarg_segment_size: 352
    .language:       OpenCL C
    .language_version:
      - 2
      - 0
    .max_flat_workgroup_size: 384
    .name:           _ZL9mul_mat_fI7__half2Li32ELi13ELi6ELb0EEvPKT_PKfPKiPfiiiiiiiiiiiiiiii
    .private_segment_fixed_size: 16
    .sgpr_count:     40
    .sgpr_spill_count: 0
    .symbol:         _ZL9mul_mat_fI7__half2Li32ELi13ELi6ELb0EEvPKT_PKfPKiPfiiiiiiiiiiiiiiii.kd
    .uniform_work_group_size: 1
    .uses_dynamic_stack: false
    .vgpr_count:     41
    .vgpr_spill_count: 0
    .wavefront_size: 64
  - .agpr_count:     0
    .args:
      - .actual_access:  read_only
        .address_space:  global
        .offset:         0
        .size:           8
        .value_kind:     global_buffer
      - .actual_access:  read_only
        .address_space:  global
        .offset:         8
        .size:           8
        .value_kind:     global_buffer
      - .actual_access:  read_only
        .address_space:  global
        .offset:         16
        .size:           8
        .value_kind:     global_buffer
      - .actual_access:  read_only
        .address_space:  global
        .offset:         24
        .size:           8
        .value_kind:     global_buffer
      - .actual_access:  read_only
        .address_space:  global
        .offset:         32
        .size:           8
        .value_kind:     global_buffer
      - .actual_access:  read_only
        .address_space:  global
        .offset:         40
        .size:           8
        .value_kind:     global_buffer
      - .offset:         48
        .size:           4
        .value_kind:     by_value
      - .offset:         52
        .size:           4
        .value_kind:     by_value
      - .offset:         56
        .size:           4
        .value_kind:     by_value
      - .offset:         60
        .size:           4
        .value_kind:     by_value
      - .offset:         64
        .size:           4
        .value_kind:     by_value
      - .offset:         68
        .size:           4
        .value_kind:     by_value
      - .offset:         72
        .size:           4
        .value_kind:     by_value
      - .offset:         76
        .size:           4
        .value_kind:     by_value
      - .offset:         80
        .size:           4
        .value_kind:     by_value
      - .offset:         84
        .size:           4
        .value_kind:     by_value
      - .offset:         88
        .size:           4
        .value_kind:     by_value
      - .offset:         92
        .size:           4
        .value_kind:     by_value
      - .offset:         96
        .size:           4
        .value_kind:     by_value
      - .offset:         100
        .size:           4
        .value_kind:     by_value
      - .offset:         104
        .size:           12
        .value_kind:     by_value
      - .offset:         116
        .size:           12
        .value_kind:     by_value
      - .offset:         128
        .size:           4
        .value_kind:     hidden_block_count_x
      - .offset:         132
        .size:           4
        .value_kind:     hidden_block_count_y
      - .offset:         136
        .size:           4
        .value_kind:     hidden_block_count_z
      - .offset:         140
        .size:           2
        .value_kind:     hidden_group_size_x
      - .offset:         142
        .size:           2
        .value_kind:     hidden_group_size_y
      - .offset:         144
        .size:           2
        .value_kind:     hidden_group_size_z
      - .offset:         146
        .size:           2
        .value_kind:     hidden_remainder_x
      - .offset:         148
        .size:           2
        .value_kind:     hidden_remainder_y
      - .offset:         150
        .size:           2
        .value_kind:     hidden_remainder_z
      - .offset:         168
        .size:           8
        .value_kind:     hidden_global_offset_x
      - .offset:         176
        .size:           8
        .value_kind:     hidden_global_offset_y
      - .offset:         184
        .size:           8
        .value_kind:     hidden_global_offset_z
      - .offset:         192
        .size:           2
        .value_kind:     hidden_grid_dims
      - .offset:         208
        .size:           8
        .value_kind:     hidden_hostcall_buffer
    .group_segment_fixed_size: 0
    .kernarg_segment_align: 8
    .kernarg_segment_size: 384
    .language:       OpenCL C
    .language_version:
      - 2
      - 0
    .max_flat_workgroup_size: 448
    .name:           _ZL13mul_mat_f_idsI7__half2Li32ELi13ELi7EEvPKT_PKfPKiS7_S7_Pfiiiiiiiiiiiiii15HIP_vector_typeIjLj3EESA_
    .private_segment_fixed_size: 16
    .sgpr_count:     40
    .sgpr_spill_count: 0
    .symbol:         _ZL13mul_mat_f_idsI7__half2Li32ELi13ELi7EEvPKT_PKfPKiS7_S7_Pfiiiiiiiiiiiiii15HIP_vector_typeIjLj3EESA_.kd
    .uniform_work_group_size: 1
    .uses_dynamic_stack: false
    .vgpr_count:     41
    .vgpr_spill_count: 0
    .wavefront_size: 64
  - .agpr_count:     0
    .args:
      - .actual_access:  read_only
        .address_space:  global
        .offset:         0
        .size:           8
        .value_kind:     global_buffer
      - .actual_access:  read_only
        .address_space:  global
        .offset:         8
        .size:           8
        .value_kind:     global_buffer
      - .actual_access:  read_only
        .address_space:  global
        .offset:         16
        .size:           8
        .value_kind:     global_buffer
      - .actual_access:  read_only
        .address_space:  global
        .offset:         24
        .size:           8
        .value_kind:     global_buffer
      - .offset:         32
        .size:           4
        .value_kind:     by_value
      - .offset:         36
        .size:           4
        .value_kind:     by_value
      - .offset:         40
        .size:           4
        .value_kind:     by_value
      - .offset:         44
        .size:           4
        .value_kind:     by_value
      - .offset:         48
        .size:           4
        .value_kind:     by_value
      - .offset:         52
        .size:           4
        .value_kind:     by_value
      - .offset:         56
        .size:           4
        .value_kind:     by_value
      - .offset:         60
        .size:           4
        .value_kind:     by_value
      - .offset:         64
        .size:           4
        .value_kind:     by_value
      - .offset:         68
        .size:           4
        .value_kind:     by_value
      - .offset:         72
        .size:           4
        .value_kind:     by_value
      - .offset:         76
        .size:           4
        .value_kind:     by_value
      - .offset:         80
        .size:           4
        .value_kind:     by_value
      - .offset:         84
        .size:           4
        .value_kind:     by_value
      - .offset:         88
        .size:           4
        .value_kind:     by_value
      - .offset:         92
        .size:           4
        .value_kind:     by_value
      - .offset:         96
        .size:           4
        .value_kind:     hidden_block_count_x
      - .offset:         100
        .size:           4
        .value_kind:     hidden_block_count_y
      - .offset:         104
        .size:           4
        .value_kind:     hidden_block_count_z
      - .offset:         108
        .size:           2
        .value_kind:     hidden_group_size_x
      - .offset:         110
        .size:           2
        .value_kind:     hidden_group_size_y
      - .offset:         112
        .size:           2
        .value_kind:     hidden_group_size_z
      - .offset:         114
        .size:           2
        .value_kind:     hidden_remainder_x
      - .offset:         116
        .size:           2
        .value_kind:     hidden_remainder_y
      - .offset:         118
        .size:           2
        .value_kind:     hidden_remainder_z
      - .offset:         136
        .size:           8
        .value_kind:     hidden_global_offset_x
      - .offset:         144
        .size:           8
        .value_kind:     hidden_global_offset_y
      - .offset:         152
        .size:           8
        .value_kind:     hidden_global_offset_z
      - .offset:         160
        .size:           2
        .value_kind:     hidden_grid_dims
      - .offset:         176
        .size:           8
        .value_kind:     hidden_hostcall_buffer
    .group_segment_fixed_size: 0
    .kernarg_segment_align: 8
    .kernarg_segment_size: 352
    .language:       OpenCL C
    .language_version:
      - 2
      - 0
    .max_flat_workgroup_size: 448
    .name:           _ZL9mul_mat_fI7__half2Li32ELi13ELi7ELb1EEvPKT_PKfPKiPfiiiiiiiiiiiiiiii
    .private_segment_fixed_size: 16
    .sgpr_count:     40
    .sgpr_spill_count: 0
    .symbol:         _ZL9mul_mat_fI7__half2Li32ELi13ELi7ELb1EEvPKT_PKfPKiPfiiiiiiiiiiiiiiii.kd
    .uniform_work_group_size: 1
    .uses_dynamic_stack: false
    .vgpr_count:     41
    .vgpr_spill_count: 0
    .wavefront_size: 64
  - .agpr_count:     0
    .args:
      - .actual_access:  read_only
        .address_space:  global
        .offset:         0
        .size:           8
        .value_kind:     global_buffer
      - .actual_access:  read_only
        .address_space:  global
        .offset:         8
        .size:           8
        .value_kind:     global_buffer
      - .actual_access:  read_only
        .address_space:  global
        .offset:         16
        .size:           8
        .value_kind:     global_buffer
      - .actual_access:  read_only
        .address_space:  global
        .offset:         24
        .size:           8
        .value_kind:     global_buffer
      - .offset:         32
        .size:           4
        .value_kind:     by_value
      - .offset:         36
        .size:           4
        .value_kind:     by_value
      - .offset:         40
        .size:           4
        .value_kind:     by_value
      - .offset:         44
        .size:           4
        .value_kind:     by_value
      - .offset:         48
        .size:           4
        .value_kind:     by_value
      - .offset:         52
        .size:           4
        .value_kind:     by_value
      - .offset:         56
        .size:           4
        .value_kind:     by_value
      - .offset:         60
        .size:           4
        .value_kind:     by_value
      - .offset:         64
        .size:           4
        .value_kind:     by_value
      - .offset:         68
        .size:           4
        .value_kind:     by_value
      - .offset:         72
        .size:           4
        .value_kind:     by_value
      - .offset:         76
        .size:           4
        .value_kind:     by_value
      - .offset:         80
        .size:           4
        .value_kind:     by_value
      - .offset:         84
        .size:           4
        .value_kind:     by_value
      - .offset:         88
        .size:           4
        .value_kind:     by_value
      - .offset:         92
        .size:           4
        .value_kind:     by_value
      - .offset:         96
        .size:           4
        .value_kind:     hidden_block_count_x
      - .offset:         100
        .size:           4
        .value_kind:     hidden_block_count_y
      - .offset:         104
        .size:           4
        .value_kind:     hidden_block_count_z
      - .offset:         108
        .size:           2
        .value_kind:     hidden_group_size_x
      - .offset:         110
        .size:           2
        .value_kind:     hidden_group_size_y
      - .offset:         112
        .size:           2
        .value_kind:     hidden_group_size_z
      - .offset:         114
        .size:           2
        .value_kind:     hidden_remainder_x
      - .offset:         116
        .size:           2
        .value_kind:     hidden_remainder_y
      - .offset:         118
        .size:           2
        .value_kind:     hidden_remainder_z
      - .offset:         136
        .size:           8
        .value_kind:     hidden_global_offset_x
      - .offset:         144
        .size:           8
        .value_kind:     hidden_global_offset_y
      - .offset:         152
        .size:           8
        .value_kind:     hidden_global_offset_z
      - .offset:         160
        .size:           2
        .value_kind:     hidden_grid_dims
      - .offset:         176
        .size:           8
        .value_kind:     hidden_hostcall_buffer
    .group_segment_fixed_size: 0
    .kernarg_segment_align: 8
    .kernarg_segment_size: 352
    .language:       OpenCL C
    .language_version:
      - 2
      - 0
    .max_flat_workgroup_size: 448
    .name:           _ZL9mul_mat_fI7__half2Li32ELi13ELi7ELb0EEvPKT_PKfPKiPfiiiiiiiiiiiiiiii
    .private_segment_fixed_size: 16
    .sgpr_count:     40
    .sgpr_spill_count: 0
    .symbol:         _ZL9mul_mat_fI7__half2Li32ELi13ELi7ELb0EEvPKT_PKfPKiPfiiiiiiiiiiiiiiii.kd
    .uniform_work_group_size: 1
    .uses_dynamic_stack: false
    .vgpr_count:     41
    .vgpr_spill_count: 0
    .wavefront_size: 64
  - .agpr_count:     0
    .args:
      - .actual_access:  read_only
        .address_space:  global
        .offset:         0
        .size:           8
        .value_kind:     global_buffer
      - .actual_access:  read_only
        .address_space:  global
        .offset:         8
        .size:           8
        .value_kind:     global_buffer
      - .actual_access:  read_only
        .address_space:  global
        .offset:         16
        .size:           8
        .value_kind:     global_buffer
      - .actual_access:  read_only
        .address_space:  global
        .offset:         24
        .size:           8
        .value_kind:     global_buffer
      - .actual_access:  read_only
        .address_space:  global
        .offset:         32
        .size:           8
        .value_kind:     global_buffer
      - .actual_access:  read_only
        .address_space:  global
        .offset:         40
        .size:           8
        .value_kind:     global_buffer
      - .offset:         48
        .size:           4
        .value_kind:     by_value
      - .offset:         52
        .size:           4
        .value_kind:     by_value
      - .offset:         56
        .size:           4
        .value_kind:     by_value
      - .offset:         60
        .size:           4
        .value_kind:     by_value
      - .offset:         64
        .size:           4
        .value_kind:     by_value
      - .offset:         68
        .size:           4
        .value_kind:     by_value
      - .offset:         72
        .size:           4
        .value_kind:     by_value
      - .offset:         76
        .size:           4
        .value_kind:     by_value
      - .offset:         80
        .size:           4
        .value_kind:     by_value
      - .offset:         84
        .size:           4
        .value_kind:     by_value
      - .offset:         88
        .size:           4
        .value_kind:     by_value
      - .offset:         92
        .size:           4
        .value_kind:     by_value
      - .offset:         96
        .size:           4
        .value_kind:     by_value
      - .offset:         100
        .size:           4
        .value_kind:     by_value
      - .offset:         104
        .size:           12
        .value_kind:     by_value
      - .offset:         116
        .size:           12
        .value_kind:     by_value
      - .offset:         128
        .size:           4
        .value_kind:     hidden_block_count_x
      - .offset:         132
        .size:           4
        .value_kind:     hidden_block_count_y
      - .offset:         136
        .size:           4
        .value_kind:     hidden_block_count_z
      - .offset:         140
        .size:           2
        .value_kind:     hidden_group_size_x
      - .offset:         142
        .size:           2
        .value_kind:     hidden_group_size_y
      - .offset:         144
        .size:           2
        .value_kind:     hidden_group_size_z
      - .offset:         146
        .size:           2
        .value_kind:     hidden_remainder_x
      - .offset:         148
        .size:           2
        .value_kind:     hidden_remainder_y
      - .offset:         150
        .size:           2
        .value_kind:     hidden_remainder_z
      - .offset:         168
        .size:           8
        .value_kind:     hidden_global_offset_x
      - .offset:         176
        .size:           8
        .value_kind:     hidden_global_offset_y
      - .offset:         184
        .size:           8
        .value_kind:     hidden_global_offset_z
      - .offset:         192
        .size:           2
        .value_kind:     hidden_grid_dims
      - .offset:         208
        .size:           8
        .value_kind:     hidden_hostcall_buffer
    .group_segment_fixed_size: 0
    .kernarg_segment_align: 8
    .kernarg_segment_size: 384
    .language:       OpenCL C
    .language_version:
      - 2
      - 0
    .max_flat_workgroup_size: 512
    .name:           _ZL13mul_mat_f_idsI7__half2Li32ELi13ELi8EEvPKT_PKfPKiS7_S7_Pfiiiiiiiiiiiiii15HIP_vector_typeIjLj3EESA_
    .private_segment_fixed_size: 16
    .sgpr_count:     40
    .sgpr_spill_count: 0
    .symbol:         _ZL13mul_mat_f_idsI7__half2Li32ELi13ELi8EEvPKT_PKfPKiS7_S7_Pfiiiiiiiiiiiiii15HIP_vector_typeIjLj3EESA_.kd
    .uniform_work_group_size: 1
    .uses_dynamic_stack: false
    .vgpr_count:     41
    .vgpr_spill_count: 0
    .wavefront_size: 64
  - .agpr_count:     0
    .args:
      - .actual_access:  read_only
        .address_space:  global
        .offset:         0
        .size:           8
        .value_kind:     global_buffer
      - .actual_access:  read_only
        .address_space:  global
        .offset:         8
        .size:           8
        .value_kind:     global_buffer
      - .actual_access:  read_only
        .address_space:  global
        .offset:         16
        .size:           8
        .value_kind:     global_buffer
      - .actual_access:  read_only
        .address_space:  global
        .offset:         24
        .size:           8
        .value_kind:     global_buffer
      - .offset:         32
        .size:           4
        .value_kind:     by_value
      - .offset:         36
        .size:           4
        .value_kind:     by_value
      - .offset:         40
        .size:           4
        .value_kind:     by_value
      - .offset:         44
        .size:           4
        .value_kind:     by_value
      - .offset:         48
        .size:           4
        .value_kind:     by_value
      - .offset:         52
        .size:           4
        .value_kind:     by_value
      - .offset:         56
        .size:           4
        .value_kind:     by_value
      - .offset:         60
        .size:           4
        .value_kind:     by_value
      - .offset:         64
        .size:           4
        .value_kind:     by_value
      - .offset:         68
        .size:           4
        .value_kind:     by_value
      - .offset:         72
        .size:           4
        .value_kind:     by_value
      - .offset:         76
        .size:           4
        .value_kind:     by_value
      - .offset:         80
        .size:           4
        .value_kind:     by_value
      - .offset:         84
        .size:           4
        .value_kind:     by_value
      - .offset:         88
        .size:           4
        .value_kind:     by_value
      - .offset:         92
        .size:           4
        .value_kind:     by_value
      - .offset:         96
        .size:           4
        .value_kind:     hidden_block_count_x
      - .offset:         100
        .size:           4
        .value_kind:     hidden_block_count_y
      - .offset:         104
        .size:           4
        .value_kind:     hidden_block_count_z
      - .offset:         108
        .size:           2
        .value_kind:     hidden_group_size_x
      - .offset:         110
        .size:           2
        .value_kind:     hidden_group_size_y
      - .offset:         112
        .size:           2
        .value_kind:     hidden_group_size_z
      - .offset:         114
        .size:           2
        .value_kind:     hidden_remainder_x
      - .offset:         116
        .size:           2
        .value_kind:     hidden_remainder_y
      - .offset:         118
        .size:           2
        .value_kind:     hidden_remainder_z
      - .offset:         136
        .size:           8
        .value_kind:     hidden_global_offset_x
      - .offset:         144
        .size:           8
        .value_kind:     hidden_global_offset_y
      - .offset:         152
        .size:           8
        .value_kind:     hidden_global_offset_z
      - .offset:         160
        .size:           2
        .value_kind:     hidden_grid_dims
      - .offset:         176
        .size:           8
        .value_kind:     hidden_hostcall_buffer
    .group_segment_fixed_size: 0
    .kernarg_segment_align: 8
    .kernarg_segment_size: 352
    .language:       OpenCL C
    .language_version:
      - 2
      - 0
    .max_flat_workgroup_size: 512
    .name:           _ZL9mul_mat_fI7__half2Li32ELi13ELi8ELb1EEvPKT_PKfPKiPfiiiiiiiiiiiiiiii
    .private_segment_fixed_size: 16
    .sgpr_count:     40
    .sgpr_spill_count: 0
    .symbol:         _ZL9mul_mat_fI7__half2Li32ELi13ELi8ELb1EEvPKT_PKfPKiPfiiiiiiiiiiiiiiii.kd
    .uniform_work_group_size: 1
    .uses_dynamic_stack: false
    .vgpr_count:     41
    .vgpr_spill_count: 0
    .wavefront_size: 64
  - .agpr_count:     0
    .args:
      - .actual_access:  read_only
        .address_space:  global
        .offset:         0
        .size:           8
        .value_kind:     global_buffer
      - .actual_access:  read_only
        .address_space:  global
        .offset:         8
        .size:           8
        .value_kind:     global_buffer
      - .actual_access:  read_only
        .address_space:  global
        .offset:         16
        .size:           8
        .value_kind:     global_buffer
      - .actual_access:  read_only
        .address_space:  global
        .offset:         24
        .size:           8
        .value_kind:     global_buffer
      - .offset:         32
        .size:           4
        .value_kind:     by_value
      - .offset:         36
        .size:           4
        .value_kind:     by_value
      - .offset:         40
        .size:           4
        .value_kind:     by_value
      - .offset:         44
        .size:           4
        .value_kind:     by_value
      - .offset:         48
        .size:           4
        .value_kind:     by_value
      - .offset:         52
        .size:           4
        .value_kind:     by_value
      - .offset:         56
        .size:           4
        .value_kind:     by_value
      - .offset:         60
        .size:           4
        .value_kind:     by_value
      - .offset:         64
        .size:           4
        .value_kind:     by_value
      - .offset:         68
        .size:           4
        .value_kind:     by_value
      - .offset:         72
        .size:           4
        .value_kind:     by_value
      - .offset:         76
        .size:           4
        .value_kind:     by_value
      - .offset:         80
        .size:           4
        .value_kind:     by_value
      - .offset:         84
        .size:           4
        .value_kind:     by_value
      - .offset:         88
        .size:           4
        .value_kind:     by_value
      - .offset:         92
        .size:           4
        .value_kind:     by_value
      - .offset:         96
        .size:           4
        .value_kind:     hidden_block_count_x
      - .offset:         100
        .size:           4
        .value_kind:     hidden_block_count_y
      - .offset:         104
        .size:           4
        .value_kind:     hidden_block_count_z
      - .offset:         108
        .size:           2
        .value_kind:     hidden_group_size_x
      - .offset:         110
        .size:           2
        .value_kind:     hidden_group_size_y
      - .offset:         112
        .size:           2
        .value_kind:     hidden_group_size_z
      - .offset:         114
        .size:           2
        .value_kind:     hidden_remainder_x
      - .offset:         116
        .size:           2
        .value_kind:     hidden_remainder_y
      - .offset:         118
        .size:           2
        .value_kind:     hidden_remainder_z
      - .offset:         136
        .size:           8
        .value_kind:     hidden_global_offset_x
      - .offset:         144
        .size:           8
        .value_kind:     hidden_global_offset_y
      - .offset:         152
        .size:           8
        .value_kind:     hidden_global_offset_z
      - .offset:         160
        .size:           2
        .value_kind:     hidden_grid_dims
      - .offset:         176
        .size:           8
        .value_kind:     hidden_hostcall_buffer
    .group_segment_fixed_size: 0
    .kernarg_segment_align: 8
    .kernarg_segment_size: 352
    .language:       OpenCL C
    .language_version:
      - 2
      - 0
    .max_flat_workgroup_size: 512
    .name:           _ZL9mul_mat_fI7__half2Li32ELi13ELi8ELb0EEvPKT_PKfPKiPfiiiiiiiiiiiiiiii
    .private_segment_fixed_size: 16
    .sgpr_count:     40
    .sgpr_spill_count: 0
    .symbol:         _ZL9mul_mat_fI7__half2Li32ELi13ELi8ELb0EEvPKT_PKfPKiPfiiiiiiiiiiiiiiii.kd
    .uniform_work_group_size: 1
    .uses_dynamic_stack: false
    .vgpr_count:     41
    .vgpr_spill_count: 0
    .wavefront_size: 64
  - .agpr_count:     0
    .args:
      - .actual_access:  read_only
        .address_space:  global
        .offset:         0
        .size:           8
        .value_kind:     global_buffer
      - .actual_access:  read_only
        .address_space:  global
        .offset:         8
        .size:           8
        .value_kind:     global_buffer
      - .actual_access:  read_only
        .address_space:  global
        .offset:         16
        .size:           8
        .value_kind:     global_buffer
      - .actual_access:  read_only
        .address_space:  global
        .offset:         24
        .size:           8
        .value_kind:     global_buffer
      - .actual_access:  read_only
        .address_space:  global
        .offset:         32
        .size:           8
        .value_kind:     global_buffer
      - .actual_access:  read_only
        .address_space:  global
        .offset:         40
        .size:           8
        .value_kind:     global_buffer
      - .offset:         48
        .size:           4
        .value_kind:     by_value
      - .offset:         52
        .size:           4
        .value_kind:     by_value
      - .offset:         56
        .size:           4
        .value_kind:     by_value
      - .offset:         60
        .size:           4
        .value_kind:     by_value
      - .offset:         64
        .size:           4
        .value_kind:     by_value
      - .offset:         68
        .size:           4
        .value_kind:     by_value
      - .offset:         72
        .size:           4
        .value_kind:     by_value
      - .offset:         76
        .size:           4
        .value_kind:     by_value
      - .offset:         80
        .size:           4
        .value_kind:     by_value
      - .offset:         84
        .size:           4
        .value_kind:     by_value
      - .offset:         88
        .size:           4
        .value_kind:     by_value
      - .offset:         92
        .size:           4
        .value_kind:     by_value
      - .offset:         96
        .size:           4
        .value_kind:     by_value
      - .offset:         100
        .size:           4
        .value_kind:     by_value
      - .offset:         104
        .size:           12
        .value_kind:     by_value
      - .offset:         116
        .size:           12
        .value_kind:     by_value
      - .offset:         128
        .size:           4
        .value_kind:     hidden_block_count_x
      - .offset:         132
        .size:           4
        .value_kind:     hidden_block_count_y
      - .offset:         136
        .size:           4
        .value_kind:     hidden_block_count_z
      - .offset:         140
        .size:           2
        .value_kind:     hidden_group_size_x
      - .offset:         142
        .size:           2
        .value_kind:     hidden_group_size_y
      - .offset:         144
        .size:           2
        .value_kind:     hidden_group_size_z
      - .offset:         146
        .size:           2
        .value_kind:     hidden_remainder_x
      - .offset:         148
        .size:           2
        .value_kind:     hidden_remainder_y
      - .offset:         150
        .size:           2
        .value_kind:     hidden_remainder_z
      - .offset:         168
        .size:           8
        .value_kind:     hidden_global_offset_x
      - .offset:         176
        .size:           8
        .value_kind:     hidden_global_offset_y
      - .offset:         184
        .size:           8
        .value_kind:     hidden_global_offset_z
      - .offset:         192
        .size:           2
        .value_kind:     hidden_grid_dims
      - .offset:         208
        .size:           8
        .value_kind:     hidden_hostcall_buffer
    .group_segment_fixed_size: 0
    .kernarg_segment_align: 8
    .kernarg_segment_size: 384
    .language:       OpenCL C
    .language_version:
      - 2
      - 0
    .max_flat_workgroup_size: 64
    .name:           _ZL13mul_mat_f_idsI15__hip_bfloat162Li32ELi13ELi1EEvPKT_PKfPKiS7_S7_Pfiiiiiiiiiiiiii15HIP_vector_typeIjLj3EESA_
    .private_segment_fixed_size: 16
    .sgpr_count:     40
    .sgpr_spill_count: 0
    .symbol:         _ZL13mul_mat_f_idsI15__hip_bfloat162Li32ELi13ELi1EEvPKT_PKfPKiS7_S7_Pfiiiiiiiiiiiiii15HIP_vector_typeIjLj3EESA_.kd
    .uniform_work_group_size: 1
    .uses_dynamic_stack: false
    .vgpr_count:     41
    .vgpr_spill_count: 0
    .wavefront_size: 64
  - .agpr_count:     0
    .args:
      - .actual_access:  read_only
        .address_space:  global
        .offset:         0
        .size:           8
        .value_kind:     global_buffer
      - .actual_access:  read_only
        .address_space:  global
        .offset:         8
        .size:           8
        .value_kind:     global_buffer
      - .actual_access:  read_only
        .address_space:  global
        .offset:         16
        .size:           8
        .value_kind:     global_buffer
      - .actual_access:  read_only
        .address_space:  global
        .offset:         24
        .size:           8
        .value_kind:     global_buffer
      - .offset:         32
        .size:           4
        .value_kind:     by_value
      - .offset:         36
        .size:           4
        .value_kind:     by_value
      - .offset:         40
        .size:           4
        .value_kind:     by_value
      - .offset:         44
        .size:           4
        .value_kind:     by_value
      - .offset:         48
        .size:           4
        .value_kind:     by_value
      - .offset:         52
        .size:           4
        .value_kind:     by_value
      - .offset:         56
        .size:           4
        .value_kind:     by_value
      - .offset:         60
        .size:           4
        .value_kind:     by_value
      - .offset:         64
        .size:           4
        .value_kind:     by_value
      - .offset:         68
        .size:           4
        .value_kind:     by_value
      - .offset:         72
        .size:           4
        .value_kind:     by_value
      - .offset:         76
        .size:           4
        .value_kind:     by_value
      - .offset:         80
        .size:           4
        .value_kind:     by_value
      - .offset:         84
        .size:           4
        .value_kind:     by_value
      - .offset:         88
        .size:           4
        .value_kind:     by_value
      - .offset:         92
        .size:           4
        .value_kind:     by_value
      - .offset:         96
        .size:           4
        .value_kind:     hidden_block_count_x
      - .offset:         100
        .size:           4
        .value_kind:     hidden_block_count_y
      - .offset:         104
        .size:           4
        .value_kind:     hidden_block_count_z
      - .offset:         108
        .size:           2
        .value_kind:     hidden_group_size_x
      - .offset:         110
        .size:           2
        .value_kind:     hidden_group_size_y
      - .offset:         112
        .size:           2
        .value_kind:     hidden_group_size_z
      - .offset:         114
        .size:           2
        .value_kind:     hidden_remainder_x
      - .offset:         116
        .size:           2
        .value_kind:     hidden_remainder_y
      - .offset:         118
        .size:           2
        .value_kind:     hidden_remainder_z
      - .offset:         136
        .size:           8
        .value_kind:     hidden_global_offset_x
      - .offset:         144
        .size:           8
        .value_kind:     hidden_global_offset_y
      - .offset:         152
        .size:           8
        .value_kind:     hidden_global_offset_z
      - .offset:         160
        .size:           2
        .value_kind:     hidden_grid_dims
      - .offset:         176
        .size:           8
        .value_kind:     hidden_hostcall_buffer
    .group_segment_fixed_size: 0
    .kernarg_segment_align: 8
    .kernarg_segment_size: 352
    .language:       OpenCL C
    .language_version:
      - 2
      - 0
    .max_flat_workgroup_size: 64
    .name:           _ZL9mul_mat_fI15__hip_bfloat162Li32ELi13ELi1ELb1EEvPKT_PKfPKiPfiiiiiiiiiiiiiiii
    .private_segment_fixed_size: 16
    .sgpr_count:     40
    .sgpr_spill_count: 0
    .symbol:         _ZL9mul_mat_fI15__hip_bfloat162Li32ELi13ELi1ELb1EEvPKT_PKfPKiPfiiiiiiiiiiiiiiii.kd
    .uniform_work_group_size: 1
    .uses_dynamic_stack: false
    .vgpr_count:     41
    .vgpr_spill_count: 0
    .wavefront_size: 64
  - .agpr_count:     0
    .args:
      - .actual_access:  read_only
        .address_space:  global
        .offset:         0
        .size:           8
        .value_kind:     global_buffer
      - .actual_access:  read_only
        .address_space:  global
        .offset:         8
        .size:           8
        .value_kind:     global_buffer
      - .actual_access:  read_only
        .address_space:  global
        .offset:         16
        .size:           8
        .value_kind:     global_buffer
      - .actual_access:  read_only
        .address_space:  global
        .offset:         24
        .size:           8
        .value_kind:     global_buffer
      - .offset:         32
        .size:           4
        .value_kind:     by_value
      - .offset:         36
        .size:           4
        .value_kind:     by_value
      - .offset:         40
        .size:           4
        .value_kind:     by_value
      - .offset:         44
        .size:           4
        .value_kind:     by_value
      - .offset:         48
        .size:           4
        .value_kind:     by_value
      - .offset:         52
        .size:           4
        .value_kind:     by_value
      - .offset:         56
        .size:           4
        .value_kind:     by_value
      - .offset:         60
        .size:           4
        .value_kind:     by_value
      - .offset:         64
        .size:           4
        .value_kind:     by_value
      - .offset:         68
        .size:           4
        .value_kind:     by_value
      - .offset:         72
        .size:           4
        .value_kind:     by_value
      - .offset:         76
        .size:           4
        .value_kind:     by_value
      - .offset:         80
        .size:           4
        .value_kind:     by_value
      - .offset:         84
        .size:           4
        .value_kind:     by_value
      - .offset:         88
        .size:           4
        .value_kind:     by_value
      - .offset:         92
        .size:           4
        .value_kind:     by_value
      - .offset:         96
        .size:           4
        .value_kind:     hidden_block_count_x
      - .offset:         100
        .size:           4
        .value_kind:     hidden_block_count_y
      - .offset:         104
        .size:           4
        .value_kind:     hidden_block_count_z
      - .offset:         108
        .size:           2
        .value_kind:     hidden_group_size_x
      - .offset:         110
        .size:           2
        .value_kind:     hidden_group_size_y
      - .offset:         112
        .size:           2
        .value_kind:     hidden_group_size_z
      - .offset:         114
        .size:           2
        .value_kind:     hidden_remainder_x
      - .offset:         116
        .size:           2
        .value_kind:     hidden_remainder_y
      - .offset:         118
        .size:           2
        .value_kind:     hidden_remainder_z
      - .offset:         136
        .size:           8
        .value_kind:     hidden_global_offset_x
      - .offset:         144
        .size:           8
        .value_kind:     hidden_global_offset_y
      - .offset:         152
        .size:           8
        .value_kind:     hidden_global_offset_z
      - .offset:         160
        .size:           2
        .value_kind:     hidden_grid_dims
      - .offset:         176
        .size:           8
        .value_kind:     hidden_hostcall_buffer
    .group_segment_fixed_size: 0
    .kernarg_segment_align: 8
    .kernarg_segment_size: 352
    .language:       OpenCL C
    .language_version:
      - 2
      - 0
    .max_flat_workgroup_size: 64
    .name:           _ZL9mul_mat_fI15__hip_bfloat162Li32ELi13ELi1ELb0EEvPKT_PKfPKiPfiiiiiiiiiiiiiiii
    .private_segment_fixed_size: 16
    .sgpr_count:     40
    .sgpr_spill_count: 0
    .symbol:         _ZL9mul_mat_fI15__hip_bfloat162Li32ELi13ELi1ELb0EEvPKT_PKfPKiPfiiiiiiiiiiiiiiii.kd
    .uniform_work_group_size: 1
    .uses_dynamic_stack: false
    .vgpr_count:     41
    .vgpr_spill_count: 0
    .wavefront_size: 64
  - .agpr_count:     0
    .args:
      - .actual_access:  read_only
        .address_space:  global
        .offset:         0
        .size:           8
        .value_kind:     global_buffer
      - .actual_access:  read_only
        .address_space:  global
        .offset:         8
        .size:           8
        .value_kind:     global_buffer
      - .actual_access:  read_only
        .address_space:  global
        .offset:         16
        .size:           8
        .value_kind:     global_buffer
      - .actual_access:  read_only
        .address_space:  global
        .offset:         24
        .size:           8
        .value_kind:     global_buffer
      - .actual_access:  read_only
        .address_space:  global
        .offset:         32
        .size:           8
        .value_kind:     global_buffer
      - .actual_access:  read_only
        .address_space:  global
        .offset:         40
        .size:           8
        .value_kind:     global_buffer
      - .offset:         48
        .size:           4
        .value_kind:     by_value
      - .offset:         52
        .size:           4
        .value_kind:     by_value
      - .offset:         56
        .size:           4
        .value_kind:     by_value
      - .offset:         60
        .size:           4
        .value_kind:     by_value
      - .offset:         64
        .size:           4
        .value_kind:     by_value
      - .offset:         68
        .size:           4
        .value_kind:     by_value
      - .offset:         72
        .size:           4
        .value_kind:     by_value
      - .offset:         76
        .size:           4
        .value_kind:     by_value
      - .offset:         80
        .size:           4
        .value_kind:     by_value
      - .offset:         84
        .size:           4
        .value_kind:     by_value
      - .offset:         88
        .size:           4
        .value_kind:     by_value
      - .offset:         92
        .size:           4
        .value_kind:     by_value
      - .offset:         96
        .size:           4
        .value_kind:     by_value
      - .offset:         100
        .size:           4
        .value_kind:     by_value
      - .offset:         104
        .size:           12
        .value_kind:     by_value
      - .offset:         116
        .size:           12
        .value_kind:     by_value
      - .offset:         128
        .size:           4
        .value_kind:     hidden_block_count_x
      - .offset:         132
        .size:           4
        .value_kind:     hidden_block_count_y
      - .offset:         136
        .size:           4
        .value_kind:     hidden_block_count_z
      - .offset:         140
        .size:           2
        .value_kind:     hidden_group_size_x
      - .offset:         142
        .size:           2
        .value_kind:     hidden_group_size_y
      - .offset:         144
        .size:           2
        .value_kind:     hidden_group_size_z
      - .offset:         146
        .size:           2
        .value_kind:     hidden_remainder_x
      - .offset:         148
        .size:           2
        .value_kind:     hidden_remainder_y
      - .offset:         150
        .size:           2
        .value_kind:     hidden_remainder_z
      - .offset:         168
        .size:           8
        .value_kind:     hidden_global_offset_x
      - .offset:         176
        .size:           8
        .value_kind:     hidden_global_offset_y
      - .offset:         184
        .size:           8
        .value_kind:     hidden_global_offset_z
      - .offset:         192
        .size:           2
        .value_kind:     hidden_grid_dims
      - .offset:         208
        .size:           8
        .value_kind:     hidden_hostcall_buffer
    .group_segment_fixed_size: 0
    .kernarg_segment_align: 8
    .kernarg_segment_size: 384
    .language:       OpenCL C
    .language_version:
      - 2
      - 0
    .max_flat_workgroup_size: 128
    .name:           _ZL13mul_mat_f_idsI15__hip_bfloat162Li32ELi13ELi2EEvPKT_PKfPKiS7_S7_Pfiiiiiiiiiiiiii15HIP_vector_typeIjLj3EESA_
    .private_segment_fixed_size: 16
    .sgpr_count:     40
    .sgpr_spill_count: 0
    .symbol:         _ZL13mul_mat_f_idsI15__hip_bfloat162Li32ELi13ELi2EEvPKT_PKfPKiS7_S7_Pfiiiiiiiiiiiiii15HIP_vector_typeIjLj3EESA_.kd
    .uniform_work_group_size: 1
    .uses_dynamic_stack: false
    .vgpr_count:     41
    .vgpr_spill_count: 0
    .wavefront_size: 64
  - .agpr_count:     0
    .args:
      - .actual_access:  read_only
        .address_space:  global
        .offset:         0
        .size:           8
        .value_kind:     global_buffer
      - .actual_access:  read_only
        .address_space:  global
        .offset:         8
        .size:           8
        .value_kind:     global_buffer
      - .actual_access:  read_only
        .address_space:  global
        .offset:         16
        .size:           8
        .value_kind:     global_buffer
      - .actual_access:  read_only
        .address_space:  global
        .offset:         24
        .size:           8
        .value_kind:     global_buffer
      - .offset:         32
        .size:           4
        .value_kind:     by_value
      - .offset:         36
        .size:           4
        .value_kind:     by_value
      - .offset:         40
        .size:           4
        .value_kind:     by_value
      - .offset:         44
        .size:           4
        .value_kind:     by_value
      - .offset:         48
        .size:           4
        .value_kind:     by_value
      - .offset:         52
        .size:           4
        .value_kind:     by_value
      - .offset:         56
        .size:           4
        .value_kind:     by_value
      - .offset:         60
        .size:           4
        .value_kind:     by_value
      - .offset:         64
        .size:           4
        .value_kind:     by_value
      - .offset:         68
        .size:           4
        .value_kind:     by_value
      - .offset:         72
        .size:           4
        .value_kind:     by_value
      - .offset:         76
        .size:           4
        .value_kind:     by_value
      - .offset:         80
        .size:           4
        .value_kind:     by_value
      - .offset:         84
        .size:           4
        .value_kind:     by_value
      - .offset:         88
        .size:           4
        .value_kind:     by_value
      - .offset:         92
        .size:           4
        .value_kind:     by_value
      - .offset:         96
        .size:           4
        .value_kind:     hidden_block_count_x
      - .offset:         100
        .size:           4
        .value_kind:     hidden_block_count_y
      - .offset:         104
        .size:           4
        .value_kind:     hidden_block_count_z
      - .offset:         108
        .size:           2
        .value_kind:     hidden_group_size_x
      - .offset:         110
        .size:           2
        .value_kind:     hidden_group_size_y
      - .offset:         112
        .size:           2
        .value_kind:     hidden_group_size_z
      - .offset:         114
        .size:           2
        .value_kind:     hidden_remainder_x
      - .offset:         116
        .size:           2
        .value_kind:     hidden_remainder_y
      - .offset:         118
        .size:           2
        .value_kind:     hidden_remainder_z
      - .offset:         136
        .size:           8
        .value_kind:     hidden_global_offset_x
      - .offset:         144
        .size:           8
        .value_kind:     hidden_global_offset_y
      - .offset:         152
        .size:           8
        .value_kind:     hidden_global_offset_z
      - .offset:         160
        .size:           2
        .value_kind:     hidden_grid_dims
      - .offset:         176
        .size:           8
        .value_kind:     hidden_hostcall_buffer
    .group_segment_fixed_size: 0
    .kernarg_segment_align: 8
    .kernarg_segment_size: 352
    .language:       OpenCL C
    .language_version:
      - 2
      - 0
    .max_flat_workgroup_size: 128
    .name:           _ZL9mul_mat_fI15__hip_bfloat162Li32ELi13ELi2ELb1EEvPKT_PKfPKiPfiiiiiiiiiiiiiiii
    .private_segment_fixed_size: 16
    .sgpr_count:     40
    .sgpr_spill_count: 0
    .symbol:         _ZL9mul_mat_fI15__hip_bfloat162Li32ELi13ELi2ELb1EEvPKT_PKfPKiPfiiiiiiiiiiiiiiii.kd
    .uniform_work_group_size: 1
    .uses_dynamic_stack: false
    .vgpr_count:     41
    .vgpr_spill_count: 0
    .wavefront_size: 64
  - .agpr_count:     0
    .args:
      - .actual_access:  read_only
        .address_space:  global
        .offset:         0
        .size:           8
        .value_kind:     global_buffer
      - .actual_access:  read_only
        .address_space:  global
        .offset:         8
        .size:           8
        .value_kind:     global_buffer
      - .actual_access:  read_only
        .address_space:  global
        .offset:         16
        .size:           8
        .value_kind:     global_buffer
      - .actual_access:  read_only
        .address_space:  global
        .offset:         24
        .size:           8
        .value_kind:     global_buffer
      - .offset:         32
        .size:           4
        .value_kind:     by_value
      - .offset:         36
        .size:           4
        .value_kind:     by_value
      - .offset:         40
        .size:           4
        .value_kind:     by_value
      - .offset:         44
        .size:           4
        .value_kind:     by_value
      - .offset:         48
        .size:           4
        .value_kind:     by_value
      - .offset:         52
        .size:           4
        .value_kind:     by_value
      - .offset:         56
        .size:           4
        .value_kind:     by_value
      - .offset:         60
        .size:           4
        .value_kind:     by_value
      - .offset:         64
        .size:           4
        .value_kind:     by_value
      - .offset:         68
        .size:           4
        .value_kind:     by_value
      - .offset:         72
        .size:           4
        .value_kind:     by_value
      - .offset:         76
        .size:           4
        .value_kind:     by_value
      - .offset:         80
        .size:           4
        .value_kind:     by_value
      - .offset:         84
        .size:           4
        .value_kind:     by_value
      - .offset:         88
        .size:           4
        .value_kind:     by_value
      - .offset:         92
        .size:           4
        .value_kind:     by_value
      - .offset:         96
        .size:           4
        .value_kind:     hidden_block_count_x
      - .offset:         100
        .size:           4
        .value_kind:     hidden_block_count_y
      - .offset:         104
        .size:           4
        .value_kind:     hidden_block_count_z
      - .offset:         108
        .size:           2
        .value_kind:     hidden_group_size_x
      - .offset:         110
        .size:           2
        .value_kind:     hidden_group_size_y
      - .offset:         112
        .size:           2
        .value_kind:     hidden_group_size_z
      - .offset:         114
        .size:           2
        .value_kind:     hidden_remainder_x
      - .offset:         116
        .size:           2
        .value_kind:     hidden_remainder_y
      - .offset:         118
        .size:           2
        .value_kind:     hidden_remainder_z
      - .offset:         136
        .size:           8
        .value_kind:     hidden_global_offset_x
      - .offset:         144
        .size:           8
        .value_kind:     hidden_global_offset_y
      - .offset:         152
        .size:           8
        .value_kind:     hidden_global_offset_z
      - .offset:         160
        .size:           2
        .value_kind:     hidden_grid_dims
      - .offset:         176
        .size:           8
        .value_kind:     hidden_hostcall_buffer
    .group_segment_fixed_size: 0
    .kernarg_segment_align: 8
    .kernarg_segment_size: 352
    .language:       OpenCL C
    .language_version:
      - 2
      - 0
    .max_flat_workgroup_size: 128
    .name:           _ZL9mul_mat_fI15__hip_bfloat162Li32ELi13ELi2ELb0EEvPKT_PKfPKiPfiiiiiiiiiiiiiiii
    .private_segment_fixed_size: 16
    .sgpr_count:     40
    .sgpr_spill_count: 0
    .symbol:         _ZL9mul_mat_fI15__hip_bfloat162Li32ELi13ELi2ELb0EEvPKT_PKfPKiPfiiiiiiiiiiiiiiii.kd
    .uniform_work_group_size: 1
    .uses_dynamic_stack: false
    .vgpr_count:     41
    .vgpr_spill_count: 0
    .wavefront_size: 64
  - .agpr_count:     0
    .args:
      - .actual_access:  read_only
        .address_space:  global
        .offset:         0
        .size:           8
        .value_kind:     global_buffer
      - .actual_access:  read_only
        .address_space:  global
        .offset:         8
        .size:           8
        .value_kind:     global_buffer
      - .actual_access:  read_only
        .address_space:  global
        .offset:         16
        .size:           8
        .value_kind:     global_buffer
      - .actual_access:  read_only
        .address_space:  global
        .offset:         24
        .size:           8
        .value_kind:     global_buffer
      - .actual_access:  read_only
        .address_space:  global
        .offset:         32
        .size:           8
        .value_kind:     global_buffer
      - .actual_access:  read_only
        .address_space:  global
        .offset:         40
        .size:           8
        .value_kind:     global_buffer
      - .offset:         48
        .size:           4
        .value_kind:     by_value
      - .offset:         52
        .size:           4
        .value_kind:     by_value
      - .offset:         56
        .size:           4
        .value_kind:     by_value
      - .offset:         60
        .size:           4
        .value_kind:     by_value
      - .offset:         64
        .size:           4
        .value_kind:     by_value
      - .offset:         68
        .size:           4
        .value_kind:     by_value
      - .offset:         72
        .size:           4
        .value_kind:     by_value
      - .offset:         76
        .size:           4
        .value_kind:     by_value
      - .offset:         80
        .size:           4
        .value_kind:     by_value
      - .offset:         84
        .size:           4
        .value_kind:     by_value
      - .offset:         88
        .size:           4
        .value_kind:     by_value
      - .offset:         92
        .size:           4
        .value_kind:     by_value
      - .offset:         96
        .size:           4
        .value_kind:     by_value
      - .offset:         100
        .size:           4
        .value_kind:     by_value
      - .offset:         104
        .size:           12
        .value_kind:     by_value
      - .offset:         116
        .size:           12
        .value_kind:     by_value
      - .offset:         128
        .size:           4
        .value_kind:     hidden_block_count_x
      - .offset:         132
        .size:           4
        .value_kind:     hidden_block_count_y
      - .offset:         136
        .size:           4
        .value_kind:     hidden_block_count_z
      - .offset:         140
        .size:           2
        .value_kind:     hidden_group_size_x
      - .offset:         142
        .size:           2
        .value_kind:     hidden_group_size_y
      - .offset:         144
        .size:           2
        .value_kind:     hidden_group_size_z
      - .offset:         146
        .size:           2
        .value_kind:     hidden_remainder_x
      - .offset:         148
        .size:           2
        .value_kind:     hidden_remainder_y
      - .offset:         150
        .size:           2
        .value_kind:     hidden_remainder_z
      - .offset:         168
        .size:           8
        .value_kind:     hidden_global_offset_x
      - .offset:         176
        .size:           8
        .value_kind:     hidden_global_offset_y
      - .offset:         184
        .size:           8
        .value_kind:     hidden_global_offset_z
      - .offset:         192
        .size:           2
        .value_kind:     hidden_grid_dims
      - .offset:         208
        .size:           8
        .value_kind:     hidden_hostcall_buffer
    .group_segment_fixed_size: 0
    .kernarg_segment_align: 8
    .kernarg_segment_size: 384
    .language:       OpenCL C
    .language_version:
      - 2
      - 0
    .max_flat_workgroup_size: 192
    .name:           _ZL13mul_mat_f_idsI15__hip_bfloat162Li32ELi13ELi3EEvPKT_PKfPKiS7_S7_Pfiiiiiiiiiiiiii15HIP_vector_typeIjLj3EESA_
    .private_segment_fixed_size: 16
    .sgpr_count:     40
    .sgpr_spill_count: 0
    .symbol:         _ZL13mul_mat_f_idsI15__hip_bfloat162Li32ELi13ELi3EEvPKT_PKfPKiS7_S7_Pfiiiiiiiiiiiiii15HIP_vector_typeIjLj3EESA_.kd
    .uniform_work_group_size: 1
    .uses_dynamic_stack: false
    .vgpr_count:     41
    .vgpr_spill_count: 0
    .wavefront_size: 64
  - .agpr_count:     0
    .args:
      - .actual_access:  read_only
        .address_space:  global
        .offset:         0
        .size:           8
        .value_kind:     global_buffer
      - .actual_access:  read_only
        .address_space:  global
        .offset:         8
        .size:           8
        .value_kind:     global_buffer
      - .actual_access:  read_only
        .address_space:  global
        .offset:         16
        .size:           8
        .value_kind:     global_buffer
      - .actual_access:  read_only
        .address_space:  global
        .offset:         24
        .size:           8
        .value_kind:     global_buffer
      - .offset:         32
        .size:           4
        .value_kind:     by_value
      - .offset:         36
        .size:           4
        .value_kind:     by_value
      - .offset:         40
        .size:           4
        .value_kind:     by_value
      - .offset:         44
        .size:           4
        .value_kind:     by_value
      - .offset:         48
        .size:           4
        .value_kind:     by_value
      - .offset:         52
        .size:           4
        .value_kind:     by_value
      - .offset:         56
        .size:           4
        .value_kind:     by_value
      - .offset:         60
        .size:           4
        .value_kind:     by_value
      - .offset:         64
        .size:           4
        .value_kind:     by_value
      - .offset:         68
        .size:           4
        .value_kind:     by_value
      - .offset:         72
        .size:           4
        .value_kind:     by_value
      - .offset:         76
        .size:           4
        .value_kind:     by_value
      - .offset:         80
        .size:           4
        .value_kind:     by_value
      - .offset:         84
        .size:           4
        .value_kind:     by_value
      - .offset:         88
        .size:           4
        .value_kind:     by_value
      - .offset:         92
        .size:           4
        .value_kind:     by_value
      - .offset:         96
        .size:           4
        .value_kind:     hidden_block_count_x
      - .offset:         100
        .size:           4
        .value_kind:     hidden_block_count_y
      - .offset:         104
        .size:           4
        .value_kind:     hidden_block_count_z
      - .offset:         108
        .size:           2
        .value_kind:     hidden_group_size_x
      - .offset:         110
        .size:           2
        .value_kind:     hidden_group_size_y
      - .offset:         112
        .size:           2
        .value_kind:     hidden_group_size_z
      - .offset:         114
        .size:           2
        .value_kind:     hidden_remainder_x
      - .offset:         116
        .size:           2
        .value_kind:     hidden_remainder_y
      - .offset:         118
        .size:           2
        .value_kind:     hidden_remainder_z
      - .offset:         136
        .size:           8
        .value_kind:     hidden_global_offset_x
      - .offset:         144
        .size:           8
        .value_kind:     hidden_global_offset_y
      - .offset:         152
        .size:           8
        .value_kind:     hidden_global_offset_z
      - .offset:         160
        .size:           2
        .value_kind:     hidden_grid_dims
      - .offset:         176
        .size:           8
        .value_kind:     hidden_hostcall_buffer
    .group_segment_fixed_size: 0
    .kernarg_segment_align: 8
    .kernarg_segment_size: 352
    .language:       OpenCL C
    .language_version:
      - 2
      - 0
    .max_flat_workgroup_size: 192
    .name:           _ZL9mul_mat_fI15__hip_bfloat162Li32ELi13ELi3ELb1EEvPKT_PKfPKiPfiiiiiiiiiiiiiiii
    .private_segment_fixed_size: 16
    .sgpr_count:     40
    .sgpr_spill_count: 0
    .symbol:         _ZL9mul_mat_fI15__hip_bfloat162Li32ELi13ELi3ELb1EEvPKT_PKfPKiPfiiiiiiiiiiiiiiii.kd
    .uniform_work_group_size: 1
    .uses_dynamic_stack: false
    .vgpr_count:     41
    .vgpr_spill_count: 0
    .wavefront_size: 64
  - .agpr_count:     0
    .args:
      - .actual_access:  read_only
        .address_space:  global
        .offset:         0
        .size:           8
        .value_kind:     global_buffer
      - .actual_access:  read_only
        .address_space:  global
        .offset:         8
        .size:           8
        .value_kind:     global_buffer
      - .actual_access:  read_only
        .address_space:  global
        .offset:         16
        .size:           8
        .value_kind:     global_buffer
      - .actual_access:  read_only
        .address_space:  global
        .offset:         24
        .size:           8
        .value_kind:     global_buffer
      - .offset:         32
        .size:           4
        .value_kind:     by_value
      - .offset:         36
        .size:           4
        .value_kind:     by_value
      - .offset:         40
        .size:           4
        .value_kind:     by_value
      - .offset:         44
        .size:           4
        .value_kind:     by_value
      - .offset:         48
        .size:           4
        .value_kind:     by_value
      - .offset:         52
        .size:           4
        .value_kind:     by_value
      - .offset:         56
        .size:           4
        .value_kind:     by_value
      - .offset:         60
        .size:           4
        .value_kind:     by_value
      - .offset:         64
        .size:           4
        .value_kind:     by_value
      - .offset:         68
        .size:           4
        .value_kind:     by_value
      - .offset:         72
        .size:           4
        .value_kind:     by_value
      - .offset:         76
        .size:           4
        .value_kind:     by_value
      - .offset:         80
        .size:           4
        .value_kind:     by_value
      - .offset:         84
        .size:           4
        .value_kind:     by_value
      - .offset:         88
        .size:           4
        .value_kind:     by_value
      - .offset:         92
        .size:           4
        .value_kind:     by_value
      - .offset:         96
        .size:           4
        .value_kind:     hidden_block_count_x
      - .offset:         100
        .size:           4
        .value_kind:     hidden_block_count_y
      - .offset:         104
        .size:           4
        .value_kind:     hidden_block_count_z
      - .offset:         108
        .size:           2
        .value_kind:     hidden_group_size_x
      - .offset:         110
        .size:           2
        .value_kind:     hidden_group_size_y
      - .offset:         112
        .size:           2
        .value_kind:     hidden_group_size_z
      - .offset:         114
        .size:           2
        .value_kind:     hidden_remainder_x
      - .offset:         116
        .size:           2
        .value_kind:     hidden_remainder_y
      - .offset:         118
        .size:           2
        .value_kind:     hidden_remainder_z
      - .offset:         136
        .size:           8
        .value_kind:     hidden_global_offset_x
      - .offset:         144
        .size:           8
        .value_kind:     hidden_global_offset_y
      - .offset:         152
        .size:           8
        .value_kind:     hidden_global_offset_z
      - .offset:         160
        .size:           2
        .value_kind:     hidden_grid_dims
      - .offset:         176
        .size:           8
        .value_kind:     hidden_hostcall_buffer
    .group_segment_fixed_size: 0
    .kernarg_segment_align: 8
    .kernarg_segment_size: 352
    .language:       OpenCL C
    .language_version:
      - 2
      - 0
    .max_flat_workgroup_size: 192
    .name:           _ZL9mul_mat_fI15__hip_bfloat162Li32ELi13ELi3ELb0EEvPKT_PKfPKiPfiiiiiiiiiiiiiiii
    .private_segment_fixed_size: 16
    .sgpr_count:     40
    .sgpr_spill_count: 0
    .symbol:         _ZL9mul_mat_fI15__hip_bfloat162Li32ELi13ELi3ELb0EEvPKT_PKfPKiPfiiiiiiiiiiiiiiii.kd
    .uniform_work_group_size: 1
    .uses_dynamic_stack: false
    .vgpr_count:     41
    .vgpr_spill_count: 0
    .wavefront_size: 64
  - .agpr_count:     0
    .args:
      - .actual_access:  read_only
        .address_space:  global
        .offset:         0
        .size:           8
        .value_kind:     global_buffer
      - .actual_access:  read_only
        .address_space:  global
        .offset:         8
        .size:           8
        .value_kind:     global_buffer
      - .actual_access:  read_only
        .address_space:  global
        .offset:         16
        .size:           8
        .value_kind:     global_buffer
      - .actual_access:  read_only
        .address_space:  global
        .offset:         24
        .size:           8
        .value_kind:     global_buffer
      - .actual_access:  read_only
        .address_space:  global
        .offset:         32
        .size:           8
        .value_kind:     global_buffer
      - .actual_access:  read_only
        .address_space:  global
        .offset:         40
        .size:           8
        .value_kind:     global_buffer
      - .offset:         48
        .size:           4
        .value_kind:     by_value
      - .offset:         52
        .size:           4
        .value_kind:     by_value
      - .offset:         56
        .size:           4
        .value_kind:     by_value
      - .offset:         60
        .size:           4
        .value_kind:     by_value
      - .offset:         64
        .size:           4
        .value_kind:     by_value
      - .offset:         68
        .size:           4
        .value_kind:     by_value
      - .offset:         72
        .size:           4
        .value_kind:     by_value
      - .offset:         76
        .size:           4
        .value_kind:     by_value
      - .offset:         80
        .size:           4
        .value_kind:     by_value
      - .offset:         84
        .size:           4
        .value_kind:     by_value
      - .offset:         88
        .size:           4
        .value_kind:     by_value
      - .offset:         92
        .size:           4
        .value_kind:     by_value
      - .offset:         96
        .size:           4
        .value_kind:     by_value
      - .offset:         100
        .size:           4
        .value_kind:     by_value
      - .offset:         104
        .size:           12
        .value_kind:     by_value
      - .offset:         116
        .size:           12
        .value_kind:     by_value
      - .offset:         128
        .size:           4
        .value_kind:     hidden_block_count_x
      - .offset:         132
        .size:           4
        .value_kind:     hidden_block_count_y
      - .offset:         136
        .size:           4
        .value_kind:     hidden_block_count_z
      - .offset:         140
        .size:           2
        .value_kind:     hidden_group_size_x
      - .offset:         142
        .size:           2
        .value_kind:     hidden_group_size_y
      - .offset:         144
        .size:           2
        .value_kind:     hidden_group_size_z
      - .offset:         146
        .size:           2
        .value_kind:     hidden_remainder_x
      - .offset:         148
        .size:           2
        .value_kind:     hidden_remainder_y
      - .offset:         150
        .size:           2
        .value_kind:     hidden_remainder_z
      - .offset:         168
        .size:           8
        .value_kind:     hidden_global_offset_x
      - .offset:         176
        .size:           8
        .value_kind:     hidden_global_offset_y
      - .offset:         184
        .size:           8
        .value_kind:     hidden_global_offset_z
      - .offset:         192
        .size:           2
        .value_kind:     hidden_grid_dims
      - .offset:         208
        .size:           8
        .value_kind:     hidden_hostcall_buffer
    .group_segment_fixed_size: 0
    .kernarg_segment_align: 8
    .kernarg_segment_size: 384
    .language:       OpenCL C
    .language_version:
      - 2
      - 0
    .max_flat_workgroup_size: 256
    .name:           _ZL13mul_mat_f_idsI15__hip_bfloat162Li32ELi13ELi4EEvPKT_PKfPKiS7_S7_Pfiiiiiiiiiiiiii15HIP_vector_typeIjLj3EESA_
    .private_segment_fixed_size: 16
    .sgpr_count:     40
    .sgpr_spill_count: 0
    .symbol:         _ZL13mul_mat_f_idsI15__hip_bfloat162Li32ELi13ELi4EEvPKT_PKfPKiS7_S7_Pfiiiiiiiiiiiiii15HIP_vector_typeIjLj3EESA_.kd
    .uniform_work_group_size: 1
    .uses_dynamic_stack: false
    .vgpr_count:     41
    .vgpr_spill_count: 0
    .wavefront_size: 64
  - .agpr_count:     0
    .args:
      - .actual_access:  read_only
        .address_space:  global
        .offset:         0
        .size:           8
        .value_kind:     global_buffer
      - .actual_access:  read_only
        .address_space:  global
        .offset:         8
        .size:           8
        .value_kind:     global_buffer
      - .actual_access:  read_only
        .address_space:  global
        .offset:         16
        .size:           8
        .value_kind:     global_buffer
      - .actual_access:  read_only
        .address_space:  global
        .offset:         24
        .size:           8
        .value_kind:     global_buffer
      - .offset:         32
        .size:           4
        .value_kind:     by_value
      - .offset:         36
        .size:           4
        .value_kind:     by_value
      - .offset:         40
        .size:           4
        .value_kind:     by_value
      - .offset:         44
        .size:           4
        .value_kind:     by_value
      - .offset:         48
        .size:           4
        .value_kind:     by_value
      - .offset:         52
        .size:           4
        .value_kind:     by_value
      - .offset:         56
        .size:           4
        .value_kind:     by_value
      - .offset:         60
        .size:           4
        .value_kind:     by_value
      - .offset:         64
        .size:           4
        .value_kind:     by_value
      - .offset:         68
        .size:           4
        .value_kind:     by_value
      - .offset:         72
        .size:           4
        .value_kind:     by_value
      - .offset:         76
        .size:           4
        .value_kind:     by_value
      - .offset:         80
        .size:           4
        .value_kind:     by_value
      - .offset:         84
        .size:           4
        .value_kind:     by_value
      - .offset:         88
        .size:           4
        .value_kind:     by_value
      - .offset:         92
        .size:           4
        .value_kind:     by_value
      - .offset:         96
        .size:           4
        .value_kind:     hidden_block_count_x
      - .offset:         100
        .size:           4
        .value_kind:     hidden_block_count_y
      - .offset:         104
        .size:           4
        .value_kind:     hidden_block_count_z
      - .offset:         108
        .size:           2
        .value_kind:     hidden_group_size_x
      - .offset:         110
        .size:           2
        .value_kind:     hidden_group_size_y
      - .offset:         112
        .size:           2
        .value_kind:     hidden_group_size_z
      - .offset:         114
        .size:           2
        .value_kind:     hidden_remainder_x
      - .offset:         116
        .size:           2
        .value_kind:     hidden_remainder_y
      - .offset:         118
        .size:           2
        .value_kind:     hidden_remainder_z
      - .offset:         136
        .size:           8
        .value_kind:     hidden_global_offset_x
      - .offset:         144
        .size:           8
        .value_kind:     hidden_global_offset_y
      - .offset:         152
        .size:           8
        .value_kind:     hidden_global_offset_z
      - .offset:         160
        .size:           2
        .value_kind:     hidden_grid_dims
      - .offset:         176
        .size:           8
        .value_kind:     hidden_hostcall_buffer
    .group_segment_fixed_size: 0
    .kernarg_segment_align: 8
    .kernarg_segment_size: 352
    .language:       OpenCL C
    .language_version:
      - 2
      - 0
    .max_flat_workgroup_size: 256
    .name:           _ZL9mul_mat_fI15__hip_bfloat162Li32ELi13ELi4ELb1EEvPKT_PKfPKiPfiiiiiiiiiiiiiiii
    .private_segment_fixed_size: 16
    .sgpr_count:     40
    .sgpr_spill_count: 0
    .symbol:         _ZL9mul_mat_fI15__hip_bfloat162Li32ELi13ELi4ELb1EEvPKT_PKfPKiPfiiiiiiiiiiiiiiii.kd
    .uniform_work_group_size: 1
    .uses_dynamic_stack: false
    .vgpr_count:     41
    .vgpr_spill_count: 0
    .wavefront_size: 64
  - .agpr_count:     0
    .args:
      - .actual_access:  read_only
        .address_space:  global
        .offset:         0
        .size:           8
        .value_kind:     global_buffer
      - .actual_access:  read_only
        .address_space:  global
        .offset:         8
        .size:           8
        .value_kind:     global_buffer
      - .actual_access:  read_only
        .address_space:  global
        .offset:         16
        .size:           8
        .value_kind:     global_buffer
      - .actual_access:  read_only
        .address_space:  global
        .offset:         24
        .size:           8
        .value_kind:     global_buffer
      - .offset:         32
        .size:           4
        .value_kind:     by_value
      - .offset:         36
        .size:           4
        .value_kind:     by_value
      - .offset:         40
        .size:           4
        .value_kind:     by_value
      - .offset:         44
        .size:           4
        .value_kind:     by_value
      - .offset:         48
        .size:           4
        .value_kind:     by_value
      - .offset:         52
        .size:           4
        .value_kind:     by_value
      - .offset:         56
        .size:           4
        .value_kind:     by_value
      - .offset:         60
        .size:           4
        .value_kind:     by_value
      - .offset:         64
        .size:           4
        .value_kind:     by_value
      - .offset:         68
        .size:           4
        .value_kind:     by_value
      - .offset:         72
        .size:           4
        .value_kind:     by_value
      - .offset:         76
        .size:           4
        .value_kind:     by_value
      - .offset:         80
        .size:           4
        .value_kind:     by_value
      - .offset:         84
        .size:           4
        .value_kind:     by_value
      - .offset:         88
        .size:           4
        .value_kind:     by_value
      - .offset:         92
        .size:           4
        .value_kind:     by_value
      - .offset:         96
        .size:           4
        .value_kind:     hidden_block_count_x
      - .offset:         100
        .size:           4
        .value_kind:     hidden_block_count_y
      - .offset:         104
        .size:           4
        .value_kind:     hidden_block_count_z
      - .offset:         108
        .size:           2
        .value_kind:     hidden_group_size_x
      - .offset:         110
        .size:           2
        .value_kind:     hidden_group_size_y
      - .offset:         112
        .size:           2
        .value_kind:     hidden_group_size_z
      - .offset:         114
        .size:           2
        .value_kind:     hidden_remainder_x
      - .offset:         116
        .size:           2
        .value_kind:     hidden_remainder_y
      - .offset:         118
        .size:           2
        .value_kind:     hidden_remainder_z
      - .offset:         136
        .size:           8
        .value_kind:     hidden_global_offset_x
      - .offset:         144
        .size:           8
        .value_kind:     hidden_global_offset_y
      - .offset:         152
        .size:           8
        .value_kind:     hidden_global_offset_z
      - .offset:         160
        .size:           2
        .value_kind:     hidden_grid_dims
      - .offset:         176
        .size:           8
        .value_kind:     hidden_hostcall_buffer
    .group_segment_fixed_size: 0
    .kernarg_segment_align: 8
    .kernarg_segment_size: 352
    .language:       OpenCL C
    .language_version:
      - 2
      - 0
    .max_flat_workgroup_size: 256
    .name:           _ZL9mul_mat_fI15__hip_bfloat162Li32ELi13ELi4ELb0EEvPKT_PKfPKiPfiiiiiiiiiiiiiiii
    .private_segment_fixed_size: 16
    .sgpr_count:     40
    .sgpr_spill_count: 0
    .symbol:         _ZL9mul_mat_fI15__hip_bfloat162Li32ELi13ELi4ELb0EEvPKT_PKfPKiPfiiiiiiiiiiiiiiii.kd
    .uniform_work_group_size: 1
    .uses_dynamic_stack: false
    .vgpr_count:     41
    .vgpr_spill_count: 0
    .wavefront_size: 64
  - .agpr_count:     0
    .args:
      - .actual_access:  read_only
        .address_space:  global
        .offset:         0
        .size:           8
        .value_kind:     global_buffer
      - .actual_access:  read_only
        .address_space:  global
        .offset:         8
        .size:           8
        .value_kind:     global_buffer
      - .actual_access:  read_only
        .address_space:  global
        .offset:         16
        .size:           8
        .value_kind:     global_buffer
      - .actual_access:  read_only
        .address_space:  global
        .offset:         24
        .size:           8
        .value_kind:     global_buffer
      - .actual_access:  read_only
        .address_space:  global
        .offset:         32
        .size:           8
        .value_kind:     global_buffer
      - .actual_access:  read_only
        .address_space:  global
        .offset:         40
        .size:           8
        .value_kind:     global_buffer
      - .offset:         48
        .size:           4
        .value_kind:     by_value
      - .offset:         52
        .size:           4
        .value_kind:     by_value
      - .offset:         56
        .size:           4
        .value_kind:     by_value
      - .offset:         60
        .size:           4
        .value_kind:     by_value
      - .offset:         64
        .size:           4
        .value_kind:     by_value
      - .offset:         68
        .size:           4
        .value_kind:     by_value
      - .offset:         72
        .size:           4
        .value_kind:     by_value
      - .offset:         76
        .size:           4
        .value_kind:     by_value
      - .offset:         80
        .size:           4
        .value_kind:     by_value
      - .offset:         84
        .size:           4
        .value_kind:     by_value
      - .offset:         88
        .size:           4
        .value_kind:     by_value
      - .offset:         92
        .size:           4
        .value_kind:     by_value
      - .offset:         96
        .size:           4
        .value_kind:     by_value
      - .offset:         100
        .size:           4
        .value_kind:     by_value
      - .offset:         104
        .size:           12
        .value_kind:     by_value
      - .offset:         116
        .size:           12
        .value_kind:     by_value
      - .offset:         128
        .size:           4
        .value_kind:     hidden_block_count_x
      - .offset:         132
        .size:           4
        .value_kind:     hidden_block_count_y
      - .offset:         136
        .size:           4
        .value_kind:     hidden_block_count_z
      - .offset:         140
        .size:           2
        .value_kind:     hidden_group_size_x
      - .offset:         142
        .size:           2
        .value_kind:     hidden_group_size_y
      - .offset:         144
        .size:           2
        .value_kind:     hidden_group_size_z
      - .offset:         146
        .size:           2
        .value_kind:     hidden_remainder_x
      - .offset:         148
        .size:           2
        .value_kind:     hidden_remainder_y
      - .offset:         150
        .size:           2
        .value_kind:     hidden_remainder_z
      - .offset:         168
        .size:           8
        .value_kind:     hidden_global_offset_x
      - .offset:         176
        .size:           8
        .value_kind:     hidden_global_offset_y
      - .offset:         184
        .size:           8
        .value_kind:     hidden_global_offset_z
      - .offset:         192
        .size:           2
        .value_kind:     hidden_grid_dims
      - .offset:         208
        .size:           8
        .value_kind:     hidden_hostcall_buffer
    .group_segment_fixed_size: 0
    .kernarg_segment_align: 8
    .kernarg_segment_size: 384
    .language:       OpenCL C
    .language_version:
      - 2
      - 0
    .max_flat_workgroup_size: 320
    .name:           _ZL13mul_mat_f_idsI15__hip_bfloat162Li32ELi13ELi5EEvPKT_PKfPKiS7_S7_Pfiiiiiiiiiiiiii15HIP_vector_typeIjLj3EESA_
    .private_segment_fixed_size: 16
    .sgpr_count:     40
    .sgpr_spill_count: 0
    .symbol:         _ZL13mul_mat_f_idsI15__hip_bfloat162Li32ELi13ELi5EEvPKT_PKfPKiS7_S7_Pfiiiiiiiiiiiiii15HIP_vector_typeIjLj3EESA_.kd
    .uniform_work_group_size: 1
    .uses_dynamic_stack: false
    .vgpr_count:     41
    .vgpr_spill_count: 0
    .wavefront_size: 64
  - .agpr_count:     0
    .args:
      - .actual_access:  read_only
        .address_space:  global
        .offset:         0
        .size:           8
        .value_kind:     global_buffer
      - .actual_access:  read_only
        .address_space:  global
        .offset:         8
        .size:           8
        .value_kind:     global_buffer
      - .actual_access:  read_only
        .address_space:  global
        .offset:         16
        .size:           8
        .value_kind:     global_buffer
      - .actual_access:  read_only
        .address_space:  global
        .offset:         24
        .size:           8
        .value_kind:     global_buffer
      - .offset:         32
        .size:           4
        .value_kind:     by_value
      - .offset:         36
        .size:           4
        .value_kind:     by_value
      - .offset:         40
        .size:           4
        .value_kind:     by_value
      - .offset:         44
        .size:           4
        .value_kind:     by_value
      - .offset:         48
        .size:           4
        .value_kind:     by_value
      - .offset:         52
        .size:           4
        .value_kind:     by_value
      - .offset:         56
        .size:           4
        .value_kind:     by_value
      - .offset:         60
        .size:           4
        .value_kind:     by_value
      - .offset:         64
        .size:           4
        .value_kind:     by_value
      - .offset:         68
        .size:           4
        .value_kind:     by_value
      - .offset:         72
        .size:           4
        .value_kind:     by_value
      - .offset:         76
        .size:           4
        .value_kind:     by_value
      - .offset:         80
        .size:           4
        .value_kind:     by_value
      - .offset:         84
        .size:           4
        .value_kind:     by_value
      - .offset:         88
        .size:           4
        .value_kind:     by_value
      - .offset:         92
        .size:           4
        .value_kind:     by_value
      - .offset:         96
        .size:           4
        .value_kind:     hidden_block_count_x
      - .offset:         100
        .size:           4
        .value_kind:     hidden_block_count_y
      - .offset:         104
        .size:           4
        .value_kind:     hidden_block_count_z
      - .offset:         108
        .size:           2
        .value_kind:     hidden_group_size_x
      - .offset:         110
        .size:           2
        .value_kind:     hidden_group_size_y
      - .offset:         112
        .size:           2
        .value_kind:     hidden_group_size_z
      - .offset:         114
        .size:           2
        .value_kind:     hidden_remainder_x
      - .offset:         116
        .size:           2
        .value_kind:     hidden_remainder_y
      - .offset:         118
        .size:           2
        .value_kind:     hidden_remainder_z
      - .offset:         136
        .size:           8
        .value_kind:     hidden_global_offset_x
      - .offset:         144
        .size:           8
        .value_kind:     hidden_global_offset_y
      - .offset:         152
        .size:           8
        .value_kind:     hidden_global_offset_z
      - .offset:         160
        .size:           2
        .value_kind:     hidden_grid_dims
      - .offset:         176
        .size:           8
        .value_kind:     hidden_hostcall_buffer
    .group_segment_fixed_size: 0
    .kernarg_segment_align: 8
    .kernarg_segment_size: 352
    .language:       OpenCL C
    .language_version:
      - 2
      - 0
    .max_flat_workgroup_size: 320
    .name:           _ZL9mul_mat_fI15__hip_bfloat162Li32ELi13ELi5ELb1EEvPKT_PKfPKiPfiiiiiiiiiiiiiiii
    .private_segment_fixed_size: 16
    .sgpr_count:     40
    .sgpr_spill_count: 0
    .symbol:         _ZL9mul_mat_fI15__hip_bfloat162Li32ELi13ELi5ELb1EEvPKT_PKfPKiPfiiiiiiiiiiiiiiii.kd
    .uniform_work_group_size: 1
    .uses_dynamic_stack: false
    .vgpr_count:     41
    .vgpr_spill_count: 0
    .wavefront_size: 64
  - .agpr_count:     0
    .args:
      - .actual_access:  read_only
        .address_space:  global
        .offset:         0
        .size:           8
        .value_kind:     global_buffer
      - .actual_access:  read_only
        .address_space:  global
        .offset:         8
        .size:           8
        .value_kind:     global_buffer
      - .actual_access:  read_only
        .address_space:  global
        .offset:         16
        .size:           8
        .value_kind:     global_buffer
      - .actual_access:  read_only
        .address_space:  global
        .offset:         24
        .size:           8
        .value_kind:     global_buffer
      - .offset:         32
        .size:           4
        .value_kind:     by_value
      - .offset:         36
        .size:           4
        .value_kind:     by_value
      - .offset:         40
        .size:           4
        .value_kind:     by_value
      - .offset:         44
        .size:           4
        .value_kind:     by_value
      - .offset:         48
        .size:           4
        .value_kind:     by_value
      - .offset:         52
        .size:           4
        .value_kind:     by_value
      - .offset:         56
        .size:           4
        .value_kind:     by_value
      - .offset:         60
        .size:           4
        .value_kind:     by_value
      - .offset:         64
        .size:           4
        .value_kind:     by_value
      - .offset:         68
        .size:           4
        .value_kind:     by_value
      - .offset:         72
        .size:           4
        .value_kind:     by_value
      - .offset:         76
        .size:           4
        .value_kind:     by_value
      - .offset:         80
        .size:           4
        .value_kind:     by_value
      - .offset:         84
        .size:           4
        .value_kind:     by_value
      - .offset:         88
        .size:           4
        .value_kind:     by_value
      - .offset:         92
        .size:           4
        .value_kind:     by_value
      - .offset:         96
        .size:           4
        .value_kind:     hidden_block_count_x
      - .offset:         100
        .size:           4
        .value_kind:     hidden_block_count_y
      - .offset:         104
        .size:           4
        .value_kind:     hidden_block_count_z
      - .offset:         108
        .size:           2
        .value_kind:     hidden_group_size_x
      - .offset:         110
        .size:           2
        .value_kind:     hidden_group_size_y
      - .offset:         112
        .size:           2
        .value_kind:     hidden_group_size_z
      - .offset:         114
        .size:           2
        .value_kind:     hidden_remainder_x
      - .offset:         116
        .size:           2
        .value_kind:     hidden_remainder_y
      - .offset:         118
        .size:           2
        .value_kind:     hidden_remainder_z
      - .offset:         136
        .size:           8
        .value_kind:     hidden_global_offset_x
      - .offset:         144
        .size:           8
        .value_kind:     hidden_global_offset_y
      - .offset:         152
        .size:           8
        .value_kind:     hidden_global_offset_z
      - .offset:         160
        .size:           2
        .value_kind:     hidden_grid_dims
      - .offset:         176
        .size:           8
        .value_kind:     hidden_hostcall_buffer
    .group_segment_fixed_size: 0
    .kernarg_segment_align: 8
    .kernarg_segment_size: 352
    .language:       OpenCL C
    .language_version:
      - 2
      - 0
    .max_flat_workgroup_size: 320
    .name:           _ZL9mul_mat_fI15__hip_bfloat162Li32ELi13ELi5ELb0EEvPKT_PKfPKiPfiiiiiiiiiiiiiiii
    .private_segment_fixed_size: 16
    .sgpr_count:     40
    .sgpr_spill_count: 0
    .symbol:         _ZL9mul_mat_fI15__hip_bfloat162Li32ELi13ELi5ELb0EEvPKT_PKfPKiPfiiiiiiiiiiiiiiii.kd
    .uniform_work_group_size: 1
    .uses_dynamic_stack: false
    .vgpr_count:     41
    .vgpr_spill_count: 0
    .wavefront_size: 64
  - .agpr_count:     0
    .args:
      - .actual_access:  read_only
        .address_space:  global
        .offset:         0
        .size:           8
        .value_kind:     global_buffer
      - .actual_access:  read_only
        .address_space:  global
        .offset:         8
        .size:           8
        .value_kind:     global_buffer
      - .actual_access:  read_only
        .address_space:  global
        .offset:         16
        .size:           8
        .value_kind:     global_buffer
      - .actual_access:  read_only
        .address_space:  global
        .offset:         24
        .size:           8
        .value_kind:     global_buffer
      - .actual_access:  read_only
        .address_space:  global
        .offset:         32
        .size:           8
        .value_kind:     global_buffer
      - .actual_access:  read_only
        .address_space:  global
        .offset:         40
        .size:           8
        .value_kind:     global_buffer
      - .offset:         48
        .size:           4
        .value_kind:     by_value
      - .offset:         52
        .size:           4
        .value_kind:     by_value
      - .offset:         56
        .size:           4
        .value_kind:     by_value
      - .offset:         60
        .size:           4
        .value_kind:     by_value
      - .offset:         64
        .size:           4
        .value_kind:     by_value
      - .offset:         68
        .size:           4
        .value_kind:     by_value
      - .offset:         72
        .size:           4
        .value_kind:     by_value
      - .offset:         76
        .size:           4
        .value_kind:     by_value
      - .offset:         80
        .size:           4
        .value_kind:     by_value
      - .offset:         84
        .size:           4
        .value_kind:     by_value
      - .offset:         88
        .size:           4
        .value_kind:     by_value
      - .offset:         92
        .size:           4
        .value_kind:     by_value
      - .offset:         96
        .size:           4
        .value_kind:     by_value
      - .offset:         100
        .size:           4
        .value_kind:     by_value
      - .offset:         104
        .size:           12
        .value_kind:     by_value
      - .offset:         116
        .size:           12
        .value_kind:     by_value
      - .offset:         128
        .size:           4
        .value_kind:     hidden_block_count_x
      - .offset:         132
        .size:           4
        .value_kind:     hidden_block_count_y
      - .offset:         136
        .size:           4
        .value_kind:     hidden_block_count_z
      - .offset:         140
        .size:           2
        .value_kind:     hidden_group_size_x
      - .offset:         142
        .size:           2
        .value_kind:     hidden_group_size_y
      - .offset:         144
        .size:           2
        .value_kind:     hidden_group_size_z
      - .offset:         146
        .size:           2
        .value_kind:     hidden_remainder_x
      - .offset:         148
        .size:           2
        .value_kind:     hidden_remainder_y
      - .offset:         150
        .size:           2
        .value_kind:     hidden_remainder_z
      - .offset:         168
        .size:           8
        .value_kind:     hidden_global_offset_x
      - .offset:         176
        .size:           8
        .value_kind:     hidden_global_offset_y
      - .offset:         184
        .size:           8
        .value_kind:     hidden_global_offset_z
      - .offset:         192
        .size:           2
        .value_kind:     hidden_grid_dims
      - .offset:         208
        .size:           8
        .value_kind:     hidden_hostcall_buffer
    .group_segment_fixed_size: 0
    .kernarg_segment_align: 8
    .kernarg_segment_size: 384
    .language:       OpenCL C
    .language_version:
      - 2
      - 0
    .max_flat_workgroup_size: 384
    .name:           _ZL13mul_mat_f_idsI15__hip_bfloat162Li32ELi13ELi6EEvPKT_PKfPKiS7_S7_Pfiiiiiiiiiiiiii15HIP_vector_typeIjLj3EESA_
    .private_segment_fixed_size: 16
    .sgpr_count:     40
    .sgpr_spill_count: 0
    .symbol:         _ZL13mul_mat_f_idsI15__hip_bfloat162Li32ELi13ELi6EEvPKT_PKfPKiS7_S7_Pfiiiiiiiiiiiiii15HIP_vector_typeIjLj3EESA_.kd
    .uniform_work_group_size: 1
    .uses_dynamic_stack: false
    .vgpr_count:     41
    .vgpr_spill_count: 0
    .wavefront_size: 64
  - .agpr_count:     0
    .args:
      - .actual_access:  read_only
        .address_space:  global
        .offset:         0
        .size:           8
        .value_kind:     global_buffer
      - .actual_access:  read_only
        .address_space:  global
        .offset:         8
        .size:           8
        .value_kind:     global_buffer
      - .actual_access:  read_only
        .address_space:  global
        .offset:         16
        .size:           8
        .value_kind:     global_buffer
      - .actual_access:  read_only
        .address_space:  global
        .offset:         24
        .size:           8
        .value_kind:     global_buffer
      - .offset:         32
        .size:           4
        .value_kind:     by_value
      - .offset:         36
        .size:           4
        .value_kind:     by_value
      - .offset:         40
        .size:           4
        .value_kind:     by_value
      - .offset:         44
        .size:           4
        .value_kind:     by_value
      - .offset:         48
        .size:           4
        .value_kind:     by_value
      - .offset:         52
        .size:           4
        .value_kind:     by_value
      - .offset:         56
        .size:           4
        .value_kind:     by_value
      - .offset:         60
        .size:           4
        .value_kind:     by_value
      - .offset:         64
        .size:           4
        .value_kind:     by_value
      - .offset:         68
        .size:           4
        .value_kind:     by_value
      - .offset:         72
        .size:           4
        .value_kind:     by_value
      - .offset:         76
        .size:           4
        .value_kind:     by_value
      - .offset:         80
        .size:           4
        .value_kind:     by_value
      - .offset:         84
        .size:           4
        .value_kind:     by_value
      - .offset:         88
        .size:           4
        .value_kind:     by_value
      - .offset:         92
        .size:           4
        .value_kind:     by_value
      - .offset:         96
        .size:           4
        .value_kind:     hidden_block_count_x
      - .offset:         100
        .size:           4
        .value_kind:     hidden_block_count_y
      - .offset:         104
        .size:           4
        .value_kind:     hidden_block_count_z
      - .offset:         108
        .size:           2
        .value_kind:     hidden_group_size_x
      - .offset:         110
        .size:           2
        .value_kind:     hidden_group_size_y
      - .offset:         112
        .size:           2
        .value_kind:     hidden_group_size_z
      - .offset:         114
        .size:           2
        .value_kind:     hidden_remainder_x
      - .offset:         116
        .size:           2
        .value_kind:     hidden_remainder_y
      - .offset:         118
        .size:           2
        .value_kind:     hidden_remainder_z
      - .offset:         136
        .size:           8
        .value_kind:     hidden_global_offset_x
      - .offset:         144
        .size:           8
        .value_kind:     hidden_global_offset_y
      - .offset:         152
        .size:           8
        .value_kind:     hidden_global_offset_z
      - .offset:         160
        .size:           2
        .value_kind:     hidden_grid_dims
      - .offset:         176
        .size:           8
        .value_kind:     hidden_hostcall_buffer
    .group_segment_fixed_size: 0
    .kernarg_segment_align: 8
    .kernarg_segment_size: 352
    .language:       OpenCL C
    .language_version:
      - 2
      - 0
    .max_flat_workgroup_size: 384
    .name:           _ZL9mul_mat_fI15__hip_bfloat162Li32ELi13ELi6ELb1EEvPKT_PKfPKiPfiiiiiiiiiiiiiiii
    .private_segment_fixed_size: 16
    .sgpr_count:     40
    .sgpr_spill_count: 0
    .symbol:         _ZL9mul_mat_fI15__hip_bfloat162Li32ELi13ELi6ELb1EEvPKT_PKfPKiPfiiiiiiiiiiiiiiii.kd
    .uniform_work_group_size: 1
    .uses_dynamic_stack: false
    .vgpr_count:     41
    .vgpr_spill_count: 0
    .wavefront_size: 64
  - .agpr_count:     0
    .args:
      - .actual_access:  read_only
        .address_space:  global
        .offset:         0
        .size:           8
        .value_kind:     global_buffer
      - .actual_access:  read_only
        .address_space:  global
        .offset:         8
        .size:           8
        .value_kind:     global_buffer
      - .actual_access:  read_only
        .address_space:  global
        .offset:         16
        .size:           8
        .value_kind:     global_buffer
      - .actual_access:  read_only
        .address_space:  global
        .offset:         24
        .size:           8
        .value_kind:     global_buffer
      - .offset:         32
        .size:           4
        .value_kind:     by_value
      - .offset:         36
        .size:           4
        .value_kind:     by_value
      - .offset:         40
        .size:           4
        .value_kind:     by_value
      - .offset:         44
        .size:           4
        .value_kind:     by_value
      - .offset:         48
        .size:           4
        .value_kind:     by_value
      - .offset:         52
        .size:           4
        .value_kind:     by_value
      - .offset:         56
        .size:           4
        .value_kind:     by_value
      - .offset:         60
        .size:           4
        .value_kind:     by_value
      - .offset:         64
        .size:           4
        .value_kind:     by_value
      - .offset:         68
        .size:           4
        .value_kind:     by_value
      - .offset:         72
        .size:           4
        .value_kind:     by_value
      - .offset:         76
        .size:           4
        .value_kind:     by_value
      - .offset:         80
        .size:           4
        .value_kind:     by_value
      - .offset:         84
        .size:           4
        .value_kind:     by_value
      - .offset:         88
        .size:           4
        .value_kind:     by_value
      - .offset:         92
        .size:           4
        .value_kind:     by_value
      - .offset:         96
        .size:           4
        .value_kind:     hidden_block_count_x
      - .offset:         100
        .size:           4
        .value_kind:     hidden_block_count_y
      - .offset:         104
        .size:           4
        .value_kind:     hidden_block_count_z
      - .offset:         108
        .size:           2
        .value_kind:     hidden_group_size_x
      - .offset:         110
        .size:           2
        .value_kind:     hidden_group_size_y
      - .offset:         112
        .size:           2
        .value_kind:     hidden_group_size_z
      - .offset:         114
        .size:           2
        .value_kind:     hidden_remainder_x
      - .offset:         116
        .size:           2
        .value_kind:     hidden_remainder_y
      - .offset:         118
        .size:           2
        .value_kind:     hidden_remainder_z
      - .offset:         136
        .size:           8
        .value_kind:     hidden_global_offset_x
      - .offset:         144
        .size:           8
        .value_kind:     hidden_global_offset_y
      - .offset:         152
        .size:           8
        .value_kind:     hidden_global_offset_z
      - .offset:         160
        .size:           2
        .value_kind:     hidden_grid_dims
      - .offset:         176
        .size:           8
        .value_kind:     hidden_hostcall_buffer
    .group_segment_fixed_size: 0
    .kernarg_segment_align: 8
    .kernarg_segment_size: 352
    .language:       OpenCL C
    .language_version:
      - 2
      - 0
    .max_flat_workgroup_size: 384
    .name:           _ZL9mul_mat_fI15__hip_bfloat162Li32ELi13ELi6ELb0EEvPKT_PKfPKiPfiiiiiiiiiiiiiiii
    .private_segment_fixed_size: 16
    .sgpr_count:     40
    .sgpr_spill_count: 0
    .symbol:         _ZL9mul_mat_fI15__hip_bfloat162Li32ELi13ELi6ELb0EEvPKT_PKfPKiPfiiiiiiiiiiiiiiii.kd
    .uniform_work_group_size: 1
    .uses_dynamic_stack: false
    .vgpr_count:     41
    .vgpr_spill_count: 0
    .wavefront_size: 64
  - .agpr_count:     0
    .args:
      - .actual_access:  read_only
        .address_space:  global
        .offset:         0
        .size:           8
        .value_kind:     global_buffer
      - .actual_access:  read_only
        .address_space:  global
        .offset:         8
        .size:           8
        .value_kind:     global_buffer
      - .actual_access:  read_only
        .address_space:  global
        .offset:         16
        .size:           8
        .value_kind:     global_buffer
      - .actual_access:  read_only
        .address_space:  global
        .offset:         24
        .size:           8
        .value_kind:     global_buffer
      - .actual_access:  read_only
        .address_space:  global
        .offset:         32
        .size:           8
        .value_kind:     global_buffer
      - .actual_access:  read_only
        .address_space:  global
        .offset:         40
        .size:           8
        .value_kind:     global_buffer
      - .offset:         48
        .size:           4
        .value_kind:     by_value
      - .offset:         52
        .size:           4
        .value_kind:     by_value
      - .offset:         56
        .size:           4
        .value_kind:     by_value
      - .offset:         60
        .size:           4
        .value_kind:     by_value
      - .offset:         64
        .size:           4
        .value_kind:     by_value
      - .offset:         68
        .size:           4
        .value_kind:     by_value
      - .offset:         72
        .size:           4
        .value_kind:     by_value
      - .offset:         76
        .size:           4
        .value_kind:     by_value
      - .offset:         80
        .size:           4
        .value_kind:     by_value
      - .offset:         84
        .size:           4
        .value_kind:     by_value
      - .offset:         88
        .size:           4
        .value_kind:     by_value
      - .offset:         92
        .size:           4
        .value_kind:     by_value
      - .offset:         96
        .size:           4
        .value_kind:     by_value
      - .offset:         100
        .size:           4
        .value_kind:     by_value
      - .offset:         104
        .size:           12
        .value_kind:     by_value
      - .offset:         116
        .size:           12
        .value_kind:     by_value
      - .offset:         128
        .size:           4
        .value_kind:     hidden_block_count_x
      - .offset:         132
        .size:           4
        .value_kind:     hidden_block_count_y
      - .offset:         136
        .size:           4
        .value_kind:     hidden_block_count_z
      - .offset:         140
        .size:           2
        .value_kind:     hidden_group_size_x
      - .offset:         142
        .size:           2
        .value_kind:     hidden_group_size_y
      - .offset:         144
        .size:           2
        .value_kind:     hidden_group_size_z
      - .offset:         146
        .size:           2
        .value_kind:     hidden_remainder_x
      - .offset:         148
        .size:           2
        .value_kind:     hidden_remainder_y
      - .offset:         150
        .size:           2
        .value_kind:     hidden_remainder_z
      - .offset:         168
        .size:           8
        .value_kind:     hidden_global_offset_x
      - .offset:         176
        .size:           8
        .value_kind:     hidden_global_offset_y
      - .offset:         184
        .size:           8
        .value_kind:     hidden_global_offset_z
      - .offset:         192
        .size:           2
        .value_kind:     hidden_grid_dims
      - .offset:         208
        .size:           8
        .value_kind:     hidden_hostcall_buffer
    .group_segment_fixed_size: 0
    .kernarg_segment_align: 8
    .kernarg_segment_size: 384
    .language:       OpenCL C
    .language_version:
      - 2
      - 0
    .max_flat_workgroup_size: 448
    .name:           _ZL13mul_mat_f_idsI15__hip_bfloat162Li32ELi13ELi7EEvPKT_PKfPKiS7_S7_Pfiiiiiiiiiiiiii15HIP_vector_typeIjLj3EESA_
    .private_segment_fixed_size: 16
    .sgpr_count:     40
    .sgpr_spill_count: 0
    .symbol:         _ZL13mul_mat_f_idsI15__hip_bfloat162Li32ELi13ELi7EEvPKT_PKfPKiS7_S7_Pfiiiiiiiiiiiiii15HIP_vector_typeIjLj3EESA_.kd
    .uniform_work_group_size: 1
    .uses_dynamic_stack: false
    .vgpr_count:     41
    .vgpr_spill_count: 0
    .wavefront_size: 64
  - .agpr_count:     0
    .args:
      - .actual_access:  read_only
        .address_space:  global
        .offset:         0
        .size:           8
        .value_kind:     global_buffer
      - .actual_access:  read_only
        .address_space:  global
        .offset:         8
        .size:           8
        .value_kind:     global_buffer
      - .actual_access:  read_only
        .address_space:  global
        .offset:         16
        .size:           8
        .value_kind:     global_buffer
      - .actual_access:  read_only
        .address_space:  global
        .offset:         24
        .size:           8
        .value_kind:     global_buffer
      - .offset:         32
        .size:           4
        .value_kind:     by_value
      - .offset:         36
        .size:           4
        .value_kind:     by_value
      - .offset:         40
        .size:           4
        .value_kind:     by_value
      - .offset:         44
        .size:           4
        .value_kind:     by_value
      - .offset:         48
        .size:           4
        .value_kind:     by_value
      - .offset:         52
        .size:           4
        .value_kind:     by_value
      - .offset:         56
        .size:           4
        .value_kind:     by_value
      - .offset:         60
        .size:           4
        .value_kind:     by_value
      - .offset:         64
        .size:           4
        .value_kind:     by_value
      - .offset:         68
        .size:           4
        .value_kind:     by_value
      - .offset:         72
        .size:           4
        .value_kind:     by_value
      - .offset:         76
        .size:           4
        .value_kind:     by_value
      - .offset:         80
        .size:           4
        .value_kind:     by_value
      - .offset:         84
        .size:           4
        .value_kind:     by_value
      - .offset:         88
        .size:           4
        .value_kind:     by_value
      - .offset:         92
        .size:           4
        .value_kind:     by_value
      - .offset:         96
        .size:           4
        .value_kind:     hidden_block_count_x
      - .offset:         100
        .size:           4
        .value_kind:     hidden_block_count_y
      - .offset:         104
        .size:           4
        .value_kind:     hidden_block_count_z
      - .offset:         108
        .size:           2
        .value_kind:     hidden_group_size_x
      - .offset:         110
        .size:           2
        .value_kind:     hidden_group_size_y
      - .offset:         112
        .size:           2
        .value_kind:     hidden_group_size_z
      - .offset:         114
        .size:           2
        .value_kind:     hidden_remainder_x
      - .offset:         116
        .size:           2
        .value_kind:     hidden_remainder_y
      - .offset:         118
        .size:           2
        .value_kind:     hidden_remainder_z
      - .offset:         136
        .size:           8
        .value_kind:     hidden_global_offset_x
      - .offset:         144
        .size:           8
        .value_kind:     hidden_global_offset_y
      - .offset:         152
        .size:           8
        .value_kind:     hidden_global_offset_z
      - .offset:         160
        .size:           2
        .value_kind:     hidden_grid_dims
      - .offset:         176
        .size:           8
        .value_kind:     hidden_hostcall_buffer
    .group_segment_fixed_size: 0
    .kernarg_segment_align: 8
    .kernarg_segment_size: 352
    .language:       OpenCL C
    .language_version:
      - 2
      - 0
    .max_flat_workgroup_size: 448
    .name:           _ZL9mul_mat_fI15__hip_bfloat162Li32ELi13ELi7ELb1EEvPKT_PKfPKiPfiiiiiiiiiiiiiiii
    .private_segment_fixed_size: 16
    .sgpr_count:     40
    .sgpr_spill_count: 0
    .symbol:         _ZL9mul_mat_fI15__hip_bfloat162Li32ELi13ELi7ELb1EEvPKT_PKfPKiPfiiiiiiiiiiiiiiii.kd
    .uniform_work_group_size: 1
    .uses_dynamic_stack: false
    .vgpr_count:     41
    .vgpr_spill_count: 0
    .wavefront_size: 64
  - .agpr_count:     0
    .args:
      - .actual_access:  read_only
        .address_space:  global
        .offset:         0
        .size:           8
        .value_kind:     global_buffer
      - .actual_access:  read_only
        .address_space:  global
        .offset:         8
        .size:           8
        .value_kind:     global_buffer
      - .actual_access:  read_only
        .address_space:  global
        .offset:         16
        .size:           8
        .value_kind:     global_buffer
      - .actual_access:  read_only
        .address_space:  global
        .offset:         24
        .size:           8
        .value_kind:     global_buffer
      - .offset:         32
        .size:           4
        .value_kind:     by_value
      - .offset:         36
        .size:           4
        .value_kind:     by_value
      - .offset:         40
        .size:           4
        .value_kind:     by_value
      - .offset:         44
        .size:           4
        .value_kind:     by_value
      - .offset:         48
        .size:           4
        .value_kind:     by_value
      - .offset:         52
        .size:           4
        .value_kind:     by_value
      - .offset:         56
        .size:           4
        .value_kind:     by_value
      - .offset:         60
        .size:           4
        .value_kind:     by_value
      - .offset:         64
        .size:           4
        .value_kind:     by_value
      - .offset:         68
        .size:           4
        .value_kind:     by_value
      - .offset:         72
        .size:           4
        .value_kind:     by_value
      - .offset:         76
        .size:           4
        .value_kind:     by_value
      - .offset:         80
        .size:           4
        .value_kind:     by_value
      - .offset:         84
        .size:           4
        .value_kind:     by_value
      - .offset:         88
        .size:           4
        .value_kind:     by_value
      - .offset:         92
        .size:           4
        .value_kind:     by_value
      - .offset:         96
        .size:           4
        .value_kind:     hidden_block_count_x
      - .offset:         100
        .size:           4
        .value_kind:     hidden_block_count_y
      - .offset:         104
        .size:           4
        .value_kind:     hidden_block_count_z
      - .offset:         108
        .size:           2
        .value_kind:     hidden_group_size_x
      - .offset:         110
        .size:           2
        .value_kind:     hidden_group_size_y
      - .offset:         112
        .size:           2
        .value_kind:     hidden_group_size_z
      - .offset:         114
        .size:           2
        .value_kind:     hidden_remainder_x
      - .offset:         116
        .size:           2
        .value_kind:     hidden_remainder_y
      - .offset:         118
        .size:           2
        .value_kind:     hidden_remainder_z
      - .offset:         136
        .size:           8
        .value_kind:     hidden_global_offset_x
      - .offset:         144
        .size:           8
        .value_kind:     hidden_global_offset_y
      - .offset:         152
        .size:           8
        .value_kind:     hidden_global_offset_z
      - .offset:         160
        .size:           2
        .value_kind:     hidden_grid_dims
      - .offset:         176
        .size:           8
        .value_kind:     hidden_hostcall_buffer
    .group_segment_fixed_size: 0
    .kernarg_segment_align: 8
    .kernarg_segment_size: 352
    .language:       OpenCL C
    .language_version:
      - 2
      - 0
    .max_flat_workgroup_size: 448
    .name:           _ZL9mul_mat_fI15__hip_bfloat162Li32ELi13ELi7ELb0EEvPKT_PKfPKiPfiiiiiiiiiiiiiiii
    .private_segment_fixed_size: 16
    .sgpr_count:     40
    .sgpr_spill_count: 0
    .symbol:         _ZL9mul_mat_fI15__hip_bfloat162Li32ELi13ELi7ELb0EEvPKT_PKfPKiPfiiiiiiiiiiiiiiii.kd
    .uniform_work_group_size: 1
    .uses_dynamic_stack: false
    .vgpr_count:     41
    .vgpr_spill_count: 0
    .wavefront_size: 64
  - .agpr_count:     0
    .args:
      - .actual_access:  read_only
        .address_space:  global
        .offset:         0
        .size:           8
        .value_kind:     global_buffer
      - .actual_access:  read_only
        .address_space:  global
        .offset:         8
        .size:           8
        .value_kind:     global_buffer
      - .actual_access:  read_only
        .address_space:  global
        .offset:         16
        .size:           8
        .value_kind:     global_buffer
      - .actual_access:  read_only
        .address_space:  global
        .offset:         24
        .size:           8
        .value_kind:     global_buffer
      - .actual_access:  read_only
        .address_space:  global
        .offset:         32
        .size:           8
        .value_kind:     global_buffer
      - .actual_access:  read_only
        .address_space:  global
        .offset:         40
        .size:           8
        .value_kind:     global_buffer
      - .offset:         48
        .size:           4
        .value_kind:     by_value
      - .offset:         52
        .size:           4
        .value_kind:     by_value
      - .offset:         56
        .size:           4
        .value_kind:     by_value
      - .offset:         60
        .size:           4
        .value_kind:     by_value
      - .offset:         64
        .size:           4
        .value_kind:     by_value
      - .offset:         68
        .size:           4
        .value_kind:     by_value
      - .offset:         72
        .size:           4
        .value_kind:     by_value
      - .offset:         76
        .size:           4
        .value_kind:     by_value
      - .offset:         80
        .size:           4
        .value_kind:     by_value
      - .offset:         84
        .size:           4
        .value_kind:     by_value
      - .offset:         88
        .size:           4
        .value_kind:     by_value
      - .offset:         92
        .size:           4
        .value_kind:     by_value
      - .offset:         96
        .size:           4
        .value_kind:     by_value
      - .offset:         100
        .size:           4
        .value_kind:     by_value
      - .offset:         104
        .size:           12
        .value_kind:     by_value
      - .offset:         116
        .size:           12
        .value_kind:     by_value
      - .offset:         128
        .size:           4
        .value_kind:     hidden_block_count_x
      - .offset:         132
        .size:           4
        .value_kind:     hidden_block_count_y
      - .offset:         136
        .size:           4
        .value_kind:     hidden_block_count_z
      - .offset:         140
        .size:           2
        .value_kind:     hidden_group_size_x
      - .offset:         142
        .size:           2
        .value_kind:     hidden_group_size_y
      - .offset:         144
        .size:           2
        .value_kind:     hidden_group_size_z
      - .offset:         146
        .size:           2
        .value_kind:     hidden_remainder_x
      - .offset:         148
        .size:           2
        .value_kind:     hidden_remainder_y
      - .offset:         150
        .size:           2
        .value_kind:     hidden_remainder_z
      - .offset:         168
        .size:           8
        .value_kind:     hidden_global_offset_x
      - .offset:         176
        .size:           8
        .value_kind:     hidden_global_offset_y
      - .offset:         184
        .size:           8
        .value_kind:     hidden_global_offset_z
      - .offset:         192
        .size:           2
        .value_kind:     hidden_grid_dims
      - .offset:         208
        .size:           8
        .value_kind:     hidden_hostcall_buffer
    .group_segment_fixed_size: 0
    .kernarg_segment_align: 8
    .kernarg_segment_size: 384
    .language:       OpenCL C
    .language_version:
      - 2
      - 0
    .max_flat_workgroup_size: 512
    .name:           _ZL13mul_mat_f_idsI15__hip_bfloat162Li32ELi13ELi8EEvPKT_PKfPKiS7_S7_Pfiiiiiiiiiiiiii15HIP_vector_typeIjLj3EESA_
    .private_segment_fixed_size: 16
    .sgpr_count:     40
    .sgpr_spill_count: 0
    .symbol:         _ZL13mul_mat_f_idsI15__hip_bfloat162Li32ELi13ELi8EEvPKT_PKfPKiS7_S7_Pfiiiiiiiiiiiiii15HIP_vector_typeIjLj3EESA_.kd
    .uniform_work_group_size: 1
    .uses_dynamic_stack: false
    .vgpr_count:     41
    .vgpr_spill_count: 0
    .wavefront_size: 64
  - .agpr_count:     0
    .args:
      - .actual_access:  read_only
        .address_space:  global
        .offset:         0
        .size:           8
        .value_kind:     global_buffer
      - .actual_access:  read_only
        .address_space:  global
        .offset:         8
        .size:           8
        .value_kind:     global_buffer
      - .actual_access:  read_only
        .address_space:  global
        .offset:         16
        .size:           8
        .value_kind:     global_buffer
      - .actual_access:  read_only
        .address_space:  global
        .offset:         24
        .size:           8
        .value_kind:     global_buffer
      - .offset:         32
        .size:           4
        .value_kind:     by_value
      - .offset:         36
        .size:           4
        .value_kind:     by_value
      - .offset:         40
        .size:           4
        .value_kind:     by_value
      - .offset:         44
        .size:           4
        .value_kind:     by_value
      - .offset:         48
        .size:           4
        .value_kind:     by_value
      - .offset:         52
        .size:           4
        .value_kind:     by_value
      - .offset:         56
        .size:           4
        .value_kind:     by_value
      - .offset:         60
        .size:           4
        .value_kind:     by_value
      - .offset:         64
        .size:           4
        .value_kind:     by_value
      - .offset:         68
        .size:           4
        .value_kind:     by_value
      - .offset:         72
        .size:           4
        .value_kind:     by_value
      - .offset:         76
        .size:           4
        .value_kind:     by_value
      - .offset:         80
        .size:           4
        .value_kind:     by_value
      - .offset:         84
        .size:           4
        .value_kind:     by_value
      - .offset:         88
        .size:           4
        .value_kind:     by_value
      - .offset:         92
        .size:           4
        .value_kind:     by_value
      - .offset:         96
        .size:           4
        .value_kind:     hidden_block_count_x
      - .offset:         100
        .size:           4
        .value_kind:     hidden_block_count_y
      - .offset:         104
        .size:           4
        .value_kind:     hidden_block_count_z
      - .offset:         108
        .size:           2
        .value_kind:     hidden_group_size_x
      - .offset:         110
        .size:           2
        .value_kind:     hidden_group_size_y
      - .offset:         112
        .size:           2
        .value_kind:     hidden_group_size_z
      - .offset:         114
        .size:           2
        .value_kind:     hidden_remainder_x
      - .offset:         116
        .size:           2
        .value_kind:     hidden_remainder_y
      - .offset:         118
        .size:           2
        .value_kind:     hidden_remainder_z
      - .offset:         136
        .size:           8
        .value_kind:     hidden_global_offset_x
      - .offset:         144
        .size:           8
        .value_kind:     hidden_global_offset_y
      - .offset:         152
        .size:           8
        .value_kind:     hidden_global_offset_z
      - .offset:         160
        .size:           2
        .value_kind:     hidden_grid_dims
      - .offset:         176
        .size:           8
        .value_kind:     hidden_hostcall_buffer
    .group_segment_fixed_size: 0
    .kernarg_segment_align: 8
    .kernarg_segment_size: 352
    .language:       OpenCL C
    .language_version:
      - 2
      - 0
    .max_flat_workgroup_size: 512
    .name:           _ZL9mul_mat_fI15__hip_bfloat162Li32ELi13ELi8ELb1EEvPKT_PKfPKiPfiiiiiiiiiiiiiiii
    .private_segment_fixed_size: 16
    .sgpr_count:     40
    .sgpr_spill_count: 0
    .symbol:         _ZL9mul_mat_fI15__hip_bfloat162Li32ELi13ELi8ELb1EEvPKT_PKfPKiPfiiiiiiiiiiiiiiii.kd
    .uniform_work_group_size: 1
    .uses_dynamic_stack: false
    .vgpr_count:     41
    .vgpr_spill_count: 0
    .wavefront_size: 64
  - .agpr_count:     0
    .args:
      - .actual_access:  read_only
        .address_space:  global
        .offset:         0
        .size:           8
        .value_kind:     global_buffer
      - .actual_access:  read_only
        .address_space:  global
        .offset:         8
        .size:           8
        .value_kind:     global_buffer
      - .actual_access:  read_only
        .address_space:  global
        .offset:         16
        .size:           8
        .value_kind:     global_buffer
      - .actual_access:  read_only
        .address_space:  global
        .offset:         24
        .size:           8
        .value_kind:     global_buffer
      - .offset:         32
        .size:           4
        .value_kind:     by_value
      - .offset:         36
        .size:           4
        .value_kind:     by_value
      - .offset:         40
        .size:           4
        .value_kind:     by_value
      - .offset:         44
        .size:           4
        .value_kind:     by_value
      - .offset:         48
        .size:           4
        .value_kind:     by_value
      - .offset:         52
        .size:           4
        .value_kind:     by_value
      - .offset:         56
        .size:           4
        .value_kind:     by_value
      - .offset:         60
        .size:           4
        .value_kind:     by_value
      - .offset:         64
        .size:           4
        .value_kind:     by_value
      - .offset:         68
        .size:           4
        .value_kind:     by_value
      - .offset:         72
        .size:           4
        .value_kind:     by_value
      - .offset:         76
        .size:           4
        .value_kind:     by_value
      - .offset:         80
        .size:           4
        .value_kind:     by_value
      - .offset:         84
        .size:           4
        .value_kind:     by_value
      - .offset:         88
        .size:           4
        .value_kind:     by_value
      - .offset:         92
        .size:           4
        .value_kind:     by_value
      - .offset:         96
        .size:           4
        .value_kind:     hidden_block_count_x
      - .offset:         100
        .size:           4
        .value_kind:     hidden_block_count_y
      - .offset:         104
        .size:           4
        .value_kind:     hidden_block_count_z
      - .offset:         108
        .size:           2
        .value_kind:     hidden_group_size_x
      - .offset:         110
        .size:           2
        .value_kind:     hidden_group_size_y
      - .offset:         112
        .size:           2
        .value_kind:     hidden_group_size_z
      - .offset:         114
        .size:           2
        .value_kind:     hidden_remainder_x
      - .offset:         116
        .size:           2
        .value_kind:     hidden_remainder_y
      - .offset:         118
        .size:           2
        .value_kind:     hidden_remainder_z
      - .offset:         136
        .size:           8
        .value_kind:     hidden_global_offset_x
      - .offset:         144
        .size:           8
        .value_kind:     hidden_global_offset_y
      - .offset:         152
        .size:           8
        .value_kind:     hidden_global_offset_z
      - .offset:         160
        .size:           2
        .value_kind:     hidden_grid_dims
      - .offset:         176
        .size:           8
        .value_kind:     hidden_hostcall_buffer
    .group_segment_fixed_size: 0
    .kernarg_segment_align: 8
    .kernarg_segment_size: 352
    .language:       OpenCL C
    .language_version:
      - 2
      - 0
    .max_flat_workgroup_size: 512
    .name:           _ZL9mul_mat_fI15__hip_bfloat162Li32ELi13ELi8ELb0EEvPKT_PKfPKiPfiiiiiiiiiiiiiiii
    .private_segment_fixed_size: 16
    .sgpr_count:     40
    .sgpr_spill_count: 0
    .symbol:         _ZL9mul_mat_fI15__hip_bfloat162Li32ELi13ELi8ELb0EEvPKT_PKfPKiPfiiiiiiiiiiiiiiii.kd
    .uniform_work_group_size: 1
    .uses_dynamic_stack: false
    .vgpr_count:     41
    .vgpr_spill_count: 0
    .wavefront_size: 64
  - .agpr_count:     16
    .args:
      - .actual_access:  read_only
        .address_space:  global
        .offset:         0
        .size:           8
        .value_kind:     global_buffer
      - .actual_access:  read_only
        .address_space:  global
        .offset:         8
        .size:           8
        .value_kind:     global_buffer
      - .actual_access:  read_only
        .address_space:  global
        .offset:         16
        .size:           8
        .value_kind:     global_buffer
      - .actual_access:  read_only
        .address_space:  global
        .offset:         24
        .size:           8
        .value_kind:     global_buffer
      - .actual_access:  read_only
        .address_space:  global
        .offset:         32
        .size:           8
        .value_kind:     global_buffer
      - .actual_access:  write_only
        .address_space:  global
        .offset:         40
        .size:           8
        .value_kind:     global_buffer
      - .offset:         48
        .size:           4
        .value_kind:     by_value
      - .offset:         52
        .size:           4
        .value_kind:     by_value
      - .offset:         56
        .size:           4
        .value_kind:     by_value
      - .offset:         60
        .size:           4
        .value_kind:     by_value
      - .offset:         64
        .size:           4
        .value_kind:     by_value
      - .offset:         68
        .size:           4
        .value_kind:     by_value
      - .offset:         72
        .size:           4
        .value_kind:     by_value
      - .offset:         76
        .size:           4
        .value_kind:     by_value
      - .offset:         80
        .size:           4
        .value_kind:     by_value
      - .offset:         84
        .size:           4
        .value_kind:     by_value
      - .offset:         88
        .size:           4
        .value_kind:     by_value
      - .offset:         92
        .size:           4
        .value_kind:     by_value
      - .offset:         96
        .size:           4
        .value_kind:     by_value
      - .offset:         100
        .size:           4
        .value_kind:     by_value
      - .offset:         104
        .size:           12
        .value_kind:     by_value
      - .offset:         116
        .size:           12
        .value_kind:     by_value
    .group_segment_fixed_size: 0
    .kernarg_segment_align: 8
    .kernarg_segment_size: 128
    .language:       OpenCL C
    .language_version:
      - 2
      - 0
    .max_flat_workgroup_size: 64
    .name:           _ZL13mul_mat_f_idsIfLi64ELi13ELi1EEvPKT_PKfPKiS6_S6_Pfiiiiiiiiiiiiii15HIP_vector_typeIjLj3EES9_
    .private_segment_fixed_size: 0
    .sgpr_count:     100
    .sgpr_spill_count: 26
    .symbol:         _ZL13mul_mat_f_idsIfLi64ELi13ELi1EEvPKT_PKfPKiS6_S6_Pfiiiiiiiiiiiiii15HIP_vector_typeIjLj3EES9_.kd
    .uniform_work_group_size: 1
    .uses_dynamic_stack: false
    .vgpr_count:     112
    .vgpr_spill_count: 0
    .wavefront_size: 64
  - .agpr_count:     16
    .args:
      - .actual_access:  read_only
        .address_space:  global
        .offset:         0
        .size:           8
        .value_kind:     global_buffer
      - .actual_access:  read_only
        .address_space:  global
        .offset:         8
        .size:           8
        .value_kind:     global_buffer
      - .actual_access:  read_only
        .address_space:  global
        .offset:         16
        .size:           8
        .value_kind:     global_buffer
      - .actual_access:  write_only
        .address_space:  global
        .offset:         24
        .size:           8
        .value_kind:     global_buffer
      - .offset:         32
        .size:           4
        .value_kind:     by_value
      - .offset:         36
        .size:           4
        .value_kind:     by_value
      - .offset:         40
        .size:           4
        .value_kind:     by_value
      - .offset:         44
        .size:           4
        .value_kind:     by_value
      - .offset:         48
        .size:           4
        .value_kind:     by_value
      - .offset:         52
        .size:           4
        .value_kind:     by_value
      - .offset:         56
        .size:           4
        .value_kind:     by_value
      - .offset:         60
        .size:           4
        .value_kind:     by_value
      - .offset:         64
        .size:           4
        .value_kind:     by_value
      - .offset:         68
        .size:           4
        .value_kind:     by_value
      - .offset:         72
        .size:           4
        .value_kind:     by_value
      - .offset:         76
        .size:           4
        .value_kind:     by_value
      - .offset:         80
        .size:           4
        .value_kind:     by_value
      - .offset:         84
        .size:           4
        .value_kind:     by_value
      - .offset:         88
        .size:           4
        .value_kind:     by_value
      - .offset:         92
        .size:           4
        .value_kind:     by_value
      - .offset:         96
        .size:           4
        .value_kind:     hidden_block_count_x
      - .offset:         100
        .size:           4
        .value_kind:     hidden_block_count_y
      - .offset:         104
        .size:           4
        .value_kind:     hidden_block_count_z
      - .offset:         108
        .size:           2
        .value_kind:     hidden_group_size_x
      - .offset:         110
        .size:           2
        .value_kind:     hidden_group_size_y
      - .offset:         112
        .size:           2
        .value_kind:     hidden_group_size_z
      - .offset:         114
        .size:           2
        .value_kind:     hidden_remainder_x
      - .offset:         116
        .size:           2
        .value_kind:     hidden_remainder_y
      - .offset:         118
        .size:           2
        .value_kind:     hidden_remainder_z
      - .offset:         136
        .size:           8
        .value_kind:     hidden_global_offset_x
      - .offset:         144
        .size:           8
        .value_kind:     hidden_global_offset_y
      - .offset:         152
        .size:           8
        .value_kind:     hidden_global_offset_z
      - .offset:         160
        .size:           2
        .value_kind:     hidden_grid_dims
      - .offset:         216
        .size:           4
        .value_kind:     hidden_dynamic_lds_size
    .group_segment_fixed_size: 256
    .kernarg_segment_align: 8
    .kernarg_segment_size: 352
    .language:       OpenCL C
    .language_version:
      - 2
      - 0
    .max_flat_workgroup_size: 64
    .name:           _ZL9mul_mat_fIfLi64ELi13ELi1ELb1EEvPKT_PKfPKiPfiiiiiiiiiiiiiiii
    .private_segment_fixed_size: 0
    .sgpr_count:     100
    .sgpr_spill_count: 44
    .symbol:         _ZL9mul_mat_fIfLi64ELi13ELi1ELb1EEvPKT_PKfPKiPfiiiiiiiiiiiiiiii.kd
    .uniform_work_group_size: 1
    .uses_dynamic_stack: false
    .vgpr_count:     116
    .vgpr_spill_count: 0
    .wavefront_size: 64
  - .agpr_count:     24
    .args:
      - .actual_access:  read_only
        .address_space:  global
        .offset:         0
        .size:           8
        .value_kind:     global_buffer
      - .actual_access:  read_only
        .address_space:  global
        .offset:         8
        .size:           8
        .value_kind:     global_buffer
      - .actual_access:  read_only
        .address_space:  global
        .offset:         16
        .size:           8
        .value_kind:     global_buffer
      - .actual_access:  write_only
        .address_space:  global
        .offset:         24
        .size:           8
        .value_kind:     global_buffer
      - .offset:         32
        .size:           4
        .value_kind:     by_value
      - .offset:         36
        .size:           4
        .value_kind:     by_value
      - .offset:         40
        .size:           4
        .value_kind:     by_value
      - .offset:         44
        .size:           4
        .value_kind:     by_value
      - .offset:         48
        .size:           4
        .value_kind:     by_value
      - .offset:         52
        .size:           4
        .value_kind:     by_value
      - .offset:         56
        .size:           4
        .value_kind:     by_value
      - .offset:         60
        .size:           4
        .value_kind:     by_value
      - .offset:         64
        .size:           4
        .value_kind:     by_value
      - .offset:         68
        .size:           4
        .value_kind:     by_value
      - .offset:         72
        .size:           4
        .value_kind:     by_value
      - .offset:         76
        .size:           4
        .value_kind:     by_value
      - .offset:         80
        .size:           4
        .value_kind:     by_value
      - .offset:         84
        .size:           4
        .value_kind:     by_value
      - .offset:         88
        .size:           4
        .value_kind:     by_value
      - .offset:         92
        .size:           4
        .value_kind:     by_value
    .group_segment_fixed_size: 0
    .kernarg_segment_align: 8
    .kernarg_segment_size: 96
    .language:       OpenCL C
    .language_version:
      - 2
      - 0
    .max_flat_workgroup_size: 64
    .name:           _ZL9mul_mat_fIfLi64ELi13ELi1ELb0EEvPKT_PKfPKiPfiiiiiiiiiiiiiiii
    .private_segment_fixed_size: 0
    .sgpr_count:     94
    .sgpr_spill_count: 0
    .symbol:         _ZL9mul_mat_fIfLi64ELi13ELi1ELb0EEvPKT_PKfPKiPfiiiiiiiiiiiiiiii.kd
    .uniform_work_group_size: 1
    .uses_dynamic_stack: false
    .vgpr_count:     128
    .vgpr_spill_count: 0
    .wavefront_size: 64
  - .agpr_count:     16
    .args:
      - .actual_access:  read_only
        .address_space:  global
        .offset:         0
        .size:           8
        .value_kind:     global_buffer
      - .actual_access:  read_only
        .address_space:  global
        .offset:         8
        .size:           8
        .value_kind:     global_buffer
      - .actual_access:  read_only
        .address_space:  global
        .offset:         16
        .size:           8
        .value_kind:     global_buffer
      - .actual_access:  read_only
        .address_space:  global
        .offset:         24
        .size:           8
        .value_kind:     global_buffer
      - .actual_access:  read_only
        .address_space:  global
        .offset:         32
        .size:           8
        .value_kind:     global_buffer
      - .actual_access:  write_only
        .address_space:  global
        .offset:         40
        .size:           8
        .value_kind:     global_buffer
      - .offset:         48
        .size:           4
        .value_kind:     by_value
      - .offset:         52
        .size:           4
        .value_kind:     by_value
      - .offset:         56
        .size:           4
        .value_kind:     by_value
      - .offset:         60
        .size:           4
        .value_kind:     by_value
      - .offset:         64
        .size:           4
        .value_kind:     by_value
      - .offset:         68
        .size:           4
        .value_kind:     by_value
      - .offset:         72
        .size:           4
        .value_kind:     by_value
      - .offset:         76
        .size:           4
        .value_kind:     by_value
      - .offset:         80
        .size:           4
        .value_kind:     by_value
      - .offset:         84
        .size:           4
        .value_kind:     by_value
      - .offset:         88
        .size:           4
        .value_kind:     by_value
      - .offset:         92
        .size:           4
        .value_kind:     by_value
      - .offset:         96
        .size:           4
        .value_kind:     by_value
      - .offset:         100
        .size:           4
        .value_kind:     by_value
      - .offset:         104
        .size:           12
        .value_kind:     by_value
      - .offset:         116
        .size:           12
        .value_kind:     by_value
    .group_segment_fixed_size: 0
    .kernarg_segment_align: 8
    .kernarg_segment_size: 128
    .language:       OpenCL C
    .language_version:
      - 2
      - 0
    .max_flat_workgroup_size: 128
    .name:           _ZL13mul_mat_f_idsIfLi64ELi13ELi2EEvPKT_PKfPKiS6_S6_Pfiiiiiiiiiiiiii15HIP_vector_typeIjLj3EES9_
    .private_segment_fixed_size: 0
    .sgpr_count:     100
    .sgpr_spill_count: 26
    .symbol:         _ZL13mul_mat_f_idsIfLi64ELi13ELi2EEvPKT_PKfPKiS6_S6_Pfiiiiiiiiiiiiii15HIP_vector_typeIjLj3EES9_.kd
    .uniform_work_group_size: 1
    .uses_dynamic_stack: false
    .vgpr_count:     112
    .vgpr_spill_count: 0
    .wavefront_size: 64
  - .agpr_count:     16
    .args:
      - .actual_access:  read_only
        .address_space:  global
        .offset:         0
        .size:           8
        .value_kind:     global_buffer
      - .actual_access:  read_only
        .address_space:  global
        .offset:         8
        .size:           8
        .value_kind:     global_buffer
      - .actual_access:  read_only
        .address_space:  global
        .offset:         16
        .size:           8
        .value_kind:     global_buffer
      - .actual_access:  write_only
        .address_space:  global
        .offset:         24
        .size:           8
        .value_kind:     global_buffer
      - .offset:         32
        .size:           4
        .value_kind:     by_value
      - .offset:         36
        .size:           4
        .value_kind:     by_value
      - .offset:         40
        .size:           4
        .value_kind:     by_value
      - .offset:         44
        .size:           4
        .value_kind:     by_value
      - .offset:         48
        .size:           4
        .value_kind:     by_value
      - .offset:         52
        .size:           4
        .value_kind:     by_value
      - .offset:         56
        .size:           4
        .value_kind:     by_value
      - .offset:         60
        .size:           4
        .value_kind:     by_value
      - .offset:         64
        .size:           4
        .value_kind:     by_value
      - .offset:         68
        .size:           4
        .value_kind:     by_value
      - .offset:         72
        .size:           4
        .value_kind:     by_value
      - .offset:         76
        .size:           4
        .value_kind:     by_value
      - .offset:         80
        .size:           4
        .value_kind:     by_value
      - .offset:         84
        .size:           4
        .value_kind:     by_value
      - .offset:         88
        .size:           4
        .value_kind:     by_value
      - .offset:         92
        .size:           4
        .value_kind:     by_value
      - .offset:         96
        .size:           4
        .value_kind:     hidden_block_count_x
      - .offset:         100
        .size:           4
        .value_kind:     hidden_block_count_y
      - .offset:         104
        .size:           4
        .value_kind:     hidden_block_count_z
      - .offset:         108
        .size:           2
        .value_kind:     hidden_group_size_x
      - .offset:         110
        .size:           2
        .value_kind:     hidden_group_size_y
      - .offset:         112
        .size:           2
        .value_kind:     hidden_group_size_z
      - .offset:         114
        .size:           2
        .value_kind:     hidden_remainder_x
      - .offset:         116
        .size:           2
        .value_kind:     hidden_remainder_y
      - .offset:         118
        .size:           2
        .value_kind:     hidden_remainder_z
      - .offset:         136
        .size:           8
        .value_kind:     hidden_global_offset_x
      - .offset:         144
        .size:           8
        .value_kind:     hidden_global_offset_y
      - .offset:         152
        .size:           8
        .value_kind:     hidden_global_offset_z
      - .offset:         160
        .size:           2
        .value_kind:     hidden_grid_dims
      - .offset:         216
        .size:           4
        .value_kind:     hidden_dynamic_lds_size
    .group_segment_fixed_size: 256
    .kernarg_segment_align: 8
    .kernarg_segment_size: 352
    .language:       OpenCL C
    .language_version:
      - 2
      - 0
    .max_flat_workgroup_size: 128
    .name:           _ZL9mul_mat_fIfLi64ELi13ELi2ELb1EEvPKT_PKfPKiPfiiiiiiiiiiiiiiii
    .private_segment_fixed_size: 0
    .sgpr_count:     100
    .sgpr_spill_count: 32
    .symbol:         _ZL9mul_mat_fIfLi64ELi13ELi2ELb1EEvPKT_PKfPKiPfiiiiiiiiiiiiiiii.kd
    .uniform_work_group_size: 1
    .uses_dynamic_stack: false
    .vgpr_count:     108
    .vgpr_spill_count: 0
    .wavefront_size: 64
  - .agpr_count:     24
    .args:
      - .actual_access:  read_only
        .address_space:  global
        .offset:         0
        .size:           8
        .value_kind:     global_buffer
      - .actual_access:  read_only
        .address_space:  global
        .offset:         8
        .size:           8
        .value_kind:     global_buffer
      - .actual_access:  read_only
        .address_space:  global
        .offset:         16
        .size:           8
        .value_kind:     global_buffer
      - .actual_access:  write_only
        .address_space:  global
        .offset:         24
        .size:           8
        .value_kind:     global_buffer
      - .offset:         32
        .size:           4
        .value_kind:     by_value
      - .offset:         36
        .size:           4
        .value_kind:     by_value
      - .offset:         40
        .size:           4
        .value_kind:     by_value
      - .offset:         44
        .size:           4
        .value_kind:     by_value
      - .offset:         48
        .size:           4
        .value_kind:     by_value
      - .offset:         52
        .size:           4
        .value_kind:     by_value
      - .offset:         56
        .size:           4
        .value_kind:     by_value
      - .offset:         60
        .size:           4
        .value_kind:     by_value
      - .offset:         64
        .size:           4
        .value_kind:     by_value
      - .offset:         68
        .size:           4
        .value_kind:     by_value
      - .offset:         72
        .size:           4
        .value_kind:     by_value
      - .offset:         76
        .size:           4
        .value_kind:     by_value
      - .offset:         80
        .size:           4
        .value_kind:     by_value
      - .offset:         84
        .size:           4
        .value_kind:     by_value
      - .offset:         88
        .size:           4
        .value_kind:     by_value
      - .offset:         92
        .size:           4
        .value_kind:     by_value
    .group_segment_fixed_size: 0
    .kernarg_segment_align: 8
    .kernarg_segment_size: 96
    .language:       OpenCL C
    .language_version:
      - 2
      - 0
    .max_flat_workgroup_size: 128
    .name:           _ZL9mul_mat_fIfLi64ELi13ELi2ELb0EEvPKT_PKfPKiPfiiiiiiiiiiiiiiii
    .private_segment_fixed_size: 0
    .sgpr_count:     94
    .sgpr_spill_count: 0
    .symbol:         _ZL9mul_mat_fIfLi64ELi13ELi2ELb0EEvPKT_PKfPKiPfiiiiiiiiiiiiiiii.kd
    .uniform_work_group_size: 1
    .uses_dynamic_stack: false
    .vgpr_count:     128
    .vgpr_spill_count: 0
    .wavefront_size: 64
  - .agpr_count:     16
    .args:
      - .actual_access:  read_only
        .address_space:  global
        .offset:         0
        .size:           8
        .value_kind:     global_buffer
      - .actual_access:  read_only
        .address_space:  global
        .offset:         8
        .size:           8
        .value_kind:     global_buffer
      - .actual_access:  read_only
        .address_space:  global
        .offset:         16
        .size:           8
        .value_kind:     global_buffer
      - .actual_access:  read_only
        .address_space:  global
        .offset:         24
        .size:           8
        .value_kind:     global_buffer
      - .actual_access:  read_only
        .address_space:  global
        .offset:         32
        .size:           8
        .value_kind:     global_buffer
      - .actual_access:  write_only
        .address_space:  global
        .offset:         40
        .size:           8
        .value_kind:     global_buffer
      - .offset:         48
        .size:           4
        .value_kind:     by_value
      - .offset:         52
        .size:           4
        .value_kind:     by_value
      - .offset:         56
        .size:           4
        .value_kind:     by_value
      - .offset:         60
        .size:           4
        .value_kind:     by_value
      - .offset:         64
        .size:           4
        .value_kind:     by_value
      - .offset:         68
        .size:           4
        .value_kind:     by_value
      - .offset:         72
        .size:           4
        .value_kind:     by_value
      - .offset:         76
        .size:           4
        .value_kind:     by_value
      - .offset:         80
        .size:           4
        .value_kind:     by_value
      - .offset:         84
        .size:           4
        .value_kind:     by_value
      - .offset:         88
        .size:           4
        .value_kind:     by_value
      - .offset:         92
        .size:           4
        .value_kind:     by_value
      - .offset:         96
        .size:           4
        .value_kind:     by_value
      - .offset:         100
        .size:           4
        .value_kind:     by_value
      - .offset:         104
        .size:           12
        .value_kind:     by_value
      - .offset:         116
        .size:           12
        .value_kind:     by_value
    .group_segment_fixed_size: 0
    .kernarg_segment_align: 8
    .kernarg_segment_size: 128
    .language:       OpenCL C
    .language_version:
      - 2
      - 0
    .max_flat_workgroup_size: 192
    .name:           _ZL13mul_mat_f_idsIfLi64ELi13ELi3EEvPKT_PKfPKiS6_S6_Pfiiiiiiiiiiiiii15HIP_vector_typeIjLj3EES9_
    .private_segment_fixed_size: 0
    .sgpr_count:     100
    .sgpr_spill_count: 26
    .symbol:         _ZL13mul_mat_f_idsIfLi64ELi13ELi3EEvPKT_PKfPKiS6_S6_Pfiiiiiiiiiiiiii15HIP_vector_typeIjLj3EES9_.kd
    .uniform_work_group_size: 1
    .uses_dynamic_stack: false
    .vgpr_count:     112
    .vgpr_spill_count: 0
    .wavefront_size: 64
  - .agpr_count:     16
    .args:
      - .actual_access:  read_only
        .address_space:  global
        .offset:         0
        .size:           8
        .value_kind:     global_buffer
      - .actual_access:  read_only
        .address_space:  global
        .offset:         8
        .size:           8
        .value_kind:     global_buffer
      - .actual_access:  read_only
        .address_space:  global
        .offset:         16
        .size:           8
        .value_kind:     global_buffer
      - .actual_access:  write_only
        .address_space:  global
        .offset:         24
        .size:           8
        .value_kind:     global_buffer
      - .offset:         32
        .size:           4
        .value_kind:     by_value
      - .offset:         36
        .size:           4
        .value_kind:     by_value
      - .offset:         40
        .size:           4
        .value_kind:     by_value
      - .offset:         44
        .size:           4
        .value_kind:     by_value
      - .offset:         48
        .size:           4
        .value_kind:     by_value
      - .offset:         52
        .size:           4
        .value_kind:     by_value
      - .offset:         56
        .size:           4
        .value_kind:     by_value
      - .offset:         60
        .size:           4
        .value_kind:     by_value
      - .offset:         64
        .size:           4
        .value_kind:     by_value
      - .offset:         68
        .size:           4
        .value_kind:     by_value
      - .offset:         72
        .size:           4
        .value_kind:     by_value
      - .offset:         76
        .size:           4
        .value_kind:     by_value
      - .offset:         80
        .size:           4
        .value_kind:     by_value
      - .offset:         84
        .size:           4
        .value_kind:     by_value
      - .offset:         88
        .size:           4
        .value_kind:     by_value
      - .offset:         92
        .size:           4
        .value_kind:     by_value
      - .offset:         96
        .size:           4
        .value_kind:     hidden_block_count_x
      - .offset:         100
        .size:           4
        .value_kind:     hidden_block_count_y
      - .offset:         104
        .size:           4
        .value_kind:     hidden_block_count_z
      - .offset:         108
        .size:           2
        .value_kind:     hidden_group_size_x
      - .offset:         110
        .size:           2
        .value_kind:     hidden_group_size_y
      - .offset:         112
        .size:           2
        .value_kind:     hidden_group_size_z
      - .offset:         114
        .size:           2
        .value_kind:     hidden_remainder_x
      - .offset:         116
        .size:           2
        .value_kind:     hidden_remainder_y
      - .offset:         118
        .size:           2
        .value_kind:     hidden_remainder_z
      - .offset:         136
        .size:           8
        .value_kind:     hidden_global_offset_x
      - .offset:         144
        .size:           8
        .value_kind:     hidden_global_offset_y
      - .offset:         152
        .size:           8
        .value_kind:     hidden_global_offset_z
      - .offset:         160
        .size:           2
        .value_kind:     hidden_grid_dims
      - .offset:         216
        .size:           4
        .value_kind:     hidden_dynamic_lds_size
    .group_segment_fixed_size: 256
    .kernarg_segment_align: 8
    .kernarg_segment_size: 352
    .language:       OpenCL C
    .language_version:
      - 2
      - 0
    .max_flat_workgroup_size: 192
    .name:           _ZL9mul_mat_fIfLi64ELi13ELi3ELb1EEvPKT_PKfPKiPfiiiiiiiiiiiiiiii
    .private_segment_fixed_size: 0
    .sgpr_count:     100
    .sgpr_spill_count: 28
    .symbol:         _ZL9mul_mat_fIfLi64ELi13ELi3ELb1EEvPKT_PKfPKiPfiiiiiiiiiiiiiiii.kd
    .uniform_work_group_size: 1
    .uses_dynamic_stack: false
    .vgpr_count:     108
    .vgpr_spill_count: 0
    .wavefront_size: 64
  - .agpr_count:     24
    .args:
      - .actual_access:  read_only
        .address_space:  global
        .offset:         0
        .size:           8
        .value_kind:     global_buffer
      - .actual_access:  read_only
        .address_space:  global
        .offset:         8
        .size:           8
        .value_kind:     global_buffer
      - .actual_access:  read_only
        .address_space:  global
        .offset:         16
        .size:           8
        .value_kind:     global_buffer
      - .actual_access:  write_only
        .address_space:  global
        .offset:         24
        .size:           8
        .value_kind:     global_buffer
      - .offset:         32
        .size:           4
        .value_kind:     by_value
      - .offset:         36
        .size:           4
        .value_kind:     by_value
      - .offset:         40
        .size:           4
        .value_kind:     by_value
      - .offset:         44
        .size:           4
        .value_kind:     by_value
      - .offset:         48
        .size:           4
        .value_kind:     by_value
      - .offset:         52
        .size:           4
        .value_kind:     by_value
      - .offset:         56
        .size:           4
        .value_kind:     by_value
      - .offset:         60
        .size:           4
        .value_kind:     by_value
      - .offset:         64
        .size:           4
        .value_kind:     by_value
      - .offset:         68
        .size:           4
        .value_kind:     by_value
      - .offset:         72
        .size:           4
        .value_kind:     by_value
      - .offset:         76
        .size:           4
        .value_kind:     by_value
      - .offset:         80
        .size:           4
        .value_kind:     by_value
      - .offset:         84
        .size:           4
        .value_kind:     by_value
      - .offset:         88
        .size:           4
        .value_kind:     by_value
      - .offset:         92
        .size:           4
        .value_kind:     by_value
    .group_segment_fixed_size: 0
    .kernarg_segment_align: 8
    .kernarg_segment_size: 96
    .language:       OpenCL C
    .language_version:
      - 2
      - 0
    .max_flat_workgroup_size: 192
    .name:           _ZL9mul_mat_fIfLi64ELi13ELi3ELb0EEvPKT_PKfPKiPfiiiiiiiiiiiiiiii
    .private_segment_fixed_size: 0
    .sgpr_count:     94
    .sgpr_spill_count: 0
    .symbol:         _ZL9mul_mat_fIfLi64ELi13ELi3ELb0EEvPKT_PKfPKiPfiiiiiiiiiiiiiiii.kd
    .uniform_work_group_size: 1
    .uses_dynamic_stack: false
    .vgpr_count:     128
    .vgpr_spill_count: 0
    .wavefront_size: 64
  - .agpr_count:     16
    .args:
      - .actual_access:  read_only
        .address_space:  global
        .offset:         0
        .size:           8
        .value_kind:     global_buffer
      - .actual_access:  read_only
        .address_space:  global
        .offset:         8
        .size:           8
        .value_kind:     global_buffer
      - .actual_access:  read_only
        .address_space:  global
        .offset:         16
        .size:           8
        .value_kind:     global_buffer
      - .actual_access:  read_only
        .address_space:  global
        .offset:         24
        .size:           8
        .value_kind:     global_buffer
      - .actual_access:  read_only
        .address_space:  global
        .offset:         32
        .size:           8
        .value_kind:     global_buffer
      - .actual_access:  write_only
        .address_space:  global
        .offset:         40
        .size:           8
        .value_kind:     global_buffer
      - .offset:         48
        .size:           4
        .value_kind:     by_value
      - .offset:         52
        .size:           4
        .value_kind:     by_value
      - .offset:         56
        .size:           4
        .value_kind:     by_value
      - .offset:         60
        .size:           4
        .value_kind:     by_value
      - .offset:         64
        .size:           4
        .value_kind:     by_value
      - .offset:         68
        .size:           4
        .value_kind:     by_value
      - .offset:         72
        .size:           4
        .value_kind:     by_value
      - .offset:         76
        .size:           4
        .value_kind:     by_value
      - .offset:         80
        .size:           4
        .value_kind:     by_value
      - .offset:         84
        .size:           4
        .value_kind:     by_value
      - .offset:         88
        .size:           4
        .value_kind:     by_value
      - .offset:         92
        .size:           4
        .value_kind:     by_value
      - .offset:         96
        .size:           4
        .value_kind:     by_value
      - .offset:         100
        .size:           4
        .value_kind:     by_value
      - .offset:         104
        .size:           12
        .value_kind:     by_value
      - .offset:         116
        .size:           12
        .value_kind:     by_value
    .group_segment_fixed_size: 0
    .kernarg_segment_align: 8
    .kernarg_segment_size: 128
    .language:       OpenCL C
    .language_version:
      - 2
      - 0
    .max_flat_workgroup_size: 256
    .name:           _ZL13mul_mat_f_idsIfLi64ELi13ELi4EEvPKT_PKfPKiS6_S6_Pfiiiiiiiiiiiiii15HIP_vector_typeIjLj3EES9_
    .private_segment_fixed_size: 0
    .sgpr_count:     100
    .sgpr_spill_count: 26
    .symbol:         _ZL13mul_mat_f_idsIfLi64ELi13ELi4EEvPKT_PKfPKiS6_S6_Pfiiiiiiiiiiiiii15HIP_vector_typeIjLj3EES9_.kd
    .uniform_work_group_size: 1
    .uses_dynamic_stack: false
    .vgpr_count:     112
    .vgpr_spill_count: 0
    .wavefront_size: 64
  - .agpr_count:     16
    .args:
      - .actual_access:  read_only
        .address_space:  global
        .offset:         0
        .size:           8
        .value_kind:     global_buffer
      - .actual_access:  read_only
        .address_space:  global
        .offset:         8
        .size:           8
        .value_kind:     global_buffer
      - .actual_access:  read_only
        .address_space:  global
        .offset:         16
        .size:           8
        .value_kind:     global_buffer
      - .actual_access:  write_only
        .address_space:  global
        .offset:         24
        .size:           8
        .value_kind:     global_buffer
      - .offset:         32
        .size:           4
        .value_kind:     by_value
      - .offset:         36
        .size:           4
        .value_kind:     by_value
      - .offset:         40
        .size:           4
        .value_kind:     by_value
      - .offset:         44
        .size:           4
        .value_kind:     by_value
      - .offset:         48
        .size:           4
        .value_kind:     by_value
      - .offset:         52
        .size:           4
        .value_kind:     by_value
      - .offset:         56
        .size:           4
        .value_kind:     by_value
      - .offset:         60
        .size:           4
        .value_kind:     by_value
      - .offset:         64
        .size:           4
        .value_kind:     by_value
      - .offset:         68
        .size:           4
        .value_kind:     by_value
      - .offset:         72
        .size:           4
        .value_kind:     by_value
      - .offset:         76
        .size:           4
        .value_kind:     by_value
      - .offset:         80
        .size:           4
        .value_kind:     by_value
      - .offset:         84
        .size:           4
        .value_kind:     by_value
      - .offset:         88
        .size:           4
        .value_kind:     by_value
      - .offset:         92
        .size:           4
        .value_kind:     by_value
      - .offset:         96
        .size:           4
        .value_kind:     hidden_block_count_x
      - .offset:         100
        .size:           4
        .value_kind:     hidden_block_count_y
      - .offset:         104
        .size:           4
        .value_kind:     hidden_block_count_z
      - .offset:         108
        .size:           2
        .value_kind:     hidden_group_size_x
      - .offset:         110
        .size:           2
        .value_kind:     hidden_group_size_y
      - .offset:         112
        .size:           2
        .value_kind:     hidden_group_size_z
      - .offset:         114
        .size:           2
        .value_kind:     hidden_remainder_x
      - .offset:         116
        .size:           2
        .value_kind:     hidden_remainder_y
      - .offset:         118
        .size:           2
        .value_kind:     hidden_remainder_z
      - .offset:         136
        .size:           8
        .value_kind:     hidden_global_offset_x
      - .offset:         144
        .size:           8
        .value_kind:     hidden_global_offset_y
      - .offset:         152
        .size:           8
        .value_kind:     hidden_global_offset_z
      - .offset:         160
        .size:           2
        .value_kind:     hidden_grid_dims
      - .offset:         216
        .size:           4
        .value_kind:     hidden_dynamic_lds_size
    .group_segment_fixed_size: 256
    .kernarg_segment_align: 8
    .kernarg_segment_size: 352
    .language:       OpenCL C
    .language_version:
      - 2
      - 0
    .max_flat_workgroup_size: 256
    .name:           _ZL9mul_mat_fIfLi64ELi13ELi4ELb1EEvPKT_PKfPKiPfiiiiiiiiiiiiiiii
    .private_segment_fixed_size: 0
    .sgpr_count:     100
    .sgpr_spill_count: 26
    .symbol:         _ZL9mul_mat_fIfLi64ELi13ELi4ELb1EEvPKT_PKfPKiPfiiiiiiiiiiiiiiii.kd
    .uniform_work_group_size: 1
    .uses_dynamic_stack: false
    .vgpr_count:     108
    .vgpr_spill_count: 0
    .wavefront_size: 64
  - .agpr_count:     24
    .args:
      - .actual_access:  read_only
        .address_space:  global
        .offset:         0
        .size:           8
        .value_kind:     global_buffer
      - .actual_access:  read_only
        .address_space:  global
        .offset:         8
        .size:           8
        .value_kind:     global_buffer
      - .actual_access:  read_only
        .address_space:  global
        .offset:         16
        .size:           8
        .value_kind:     global_buffer
      - .actual_access:  write_only
        .address_space:  global
        .offset:         24
        .size:           8
        .value_kind:     global_buffer
      - .offset:         32
        .size:           4
        .value_kind:     by_value
      - .offset:         36
        .size:           4
        .value_kind:     by_value
      - .offset:         40
        .size:           4
        .value_kind:     by_value
      - .offset:         44
        .size:           4
        .value_kind:     by_value
      - .offset:         48
        .size:           4
        .value_kind:     by_value
      - .offset:         52
        .size:           4
        .value_kind:     by_value
      - .offset:         56
        .size:           4
        .value_kind:     by_value
      - .offset:         60
        .size:           4
        .value_kind:     by_value
      - .offset:         64
        .size:           4
        .value_kind:     by_value
      - .offset:         68
        .size:           4
        .value_kind:     by_value
      - .offset:         72
        .size:           4
        .value_kind:     by_value
      - .offset:         76
        .size:           4
        .value_kind:     by_value
      - .offset:         80
        .size:           4
        .value_kind:     by_value
      - .offset:         84
        .size:           4
        .value_kind:     by_value
      - .offset:         88
        .size:           4
        .value_kind:     by_value
      - .offset:         92
        .size:           4
        .value_kind:     by_value
    .group_segment_fixed_size: 0
    .kernarg_segment_align: 8
    .kernarg_segment_size: 96
    .language:       OpenCL C
    .language_version:
      - 2
      - 0
    .max_flat_workgroup_size: 256
    .name:           _ZL9mul_mat_fIfLi64ELi13ELi4ELb0EEvPKT_PKfPKiPfiiiiiiiiiiiiiiii
    .private_segment_fixed_size: 0
    .sgpr_count:     94
    .sgpr_spill_count: 0
    .symbol:         _ZL9mul_mat_fIfLi64ELi13ELi4ELb0EEvPKT_PKfPKiPfiiiiiiiiiiiiiiii.kd
    .uniform_work_group_size: 1
    .uses_dynamic_stack: false
    .vgpr_count:     128
    .vgpr_spill_count: 0
    .wavefront_size: 64
  - .agpr_count:     0
    .args:
      - .actual_access:  read_only
        .address_space:  global
        .offset:         0
        .size:           8
        .value_kind:     global_buffer
      - .actual_access:  read_only
        .address_space:  global
        .offset:         8
        .size:           8
        .value_kind:     global_buffer
      - .actual_access:  read_only
        .address_space:  global
        .offset:         16
        .size:           8
        .value_kind:     global_buffer
      - .actual_access:  read_only
        .address_space:  global
        .offset:         24
        .size:           8
        .value_kind:     global_buffer
      - .actual_access:  read_only
        .address_space:  global
        .offset:         32
        .size:           8
        .value_kind:     global_buffer
      - .actual_access:  write_only
        .address_space:  global
        .offset:         40
        .size:           8
        .value_kind:     global_buffer
      - .offset:         48
        .size:           4
        .value_kind:     by_value
      - .offset:         52
        .size:           4
        .value_kind:     by_value
      - .offset:         56
        .size:           4
        .value_kind:     by_value
      - .offset:         60
        .size:           4
        .value_kind:     by_value
      - .offset:         64
        .size:           4
        .value_kind:     by_value
      - .offset:         68
        .size:           4
        .value_kind:     by_value
      - .offset:         72
        .size:           4
        .value_kind:     by_value
      - .offset:         76
        .size:           4
        .value_kind:     by_value
      - .offset:         80
        .size:           4
        .value_kind:     by_value
      - .offset:         84
        .size:           4
        .value_kind:     by_value
      - .offset:         88
        .size:           4
        .value_kind:     by_value
      - .offset:         92
        .size:           4
        .value_kind:     by_value
      - .offset:         96
        .size:           4
        .value_kind:     by_value
      - .offset:         100
        .size:           4
        .value_kind:     by_value
      - .offset:         104
        .size:           12
        .value_kind:     by_value
      - .offset:         116
        .size:           12
        .value_kind:     by_value
    .group_segment_fixed_size: 0
    .kernarg_segment_align: 8
    .kernarg_segment_size: 128
    .language:       OpenCL C
    .language_version:
      - 2
      - 0
    .max_flat_workgroup_size: 320
    .name:           _ZL13mul_mat_f_idsIfLi64ELi13ELi5EEvPKT_PKfPKiS6_S6_Pfiiiiiiiiiiiiii15HIP_vector_typeIjLj3EES9_
    .private_segment_fixed_size: 0
    .sgpr_count:     100
    .sgpr_spill_count: 26
    .symbol:         _ZL13mul_mat_f_idsIfLi64ELi13ELi5EEvPKT_PKfPKiS6_S6_Pfiiiiiiiiiiiiii15HIP_vector_typeIjLj3EES9_.kd
    .uniform_work_group_size: 1
    .uses_dynamic_stack: false
    .vgpr_count:     109
    .vgpr_spill_count: 0
    .wavefront_size: 64
  - .agpr_count:     0
    .args:
      - .actual_access:  read_only
        .address_space:  global
        .offset:         0
        .size:           8
        .value_kind:     global_buffer
      - .actual_access:  read_only
        .address_space:  global
        .offset:         8
        .size:           8
        .value_kind:     global_buffer
      - .actual_access:  read_only
        .address_space:  global
        .offset:         16
        .size:           8
        .value_kind:     global_buffer
      - .actual_access:  write_only
        .address_space:  global
        .offset:         24
        .size:           8
        .value_kind:     global_buffer
      - .offset:         32
        .size:           4
        .value_kind:     by_value
      - .offset:         36
        .size:           4
        .value_kind:     by_value
      - .offset:         40
        .size:           4
        .value_kind:     by_value
      - .offset:         44
        .size:           4
        .value_kind:     by_value
      - .offset:         48
        .size:           4
        .value_kind:     by_value
      - .offset:         52
        .size:           4
        .value_kind:     by_value
      - .offset:         56
        .size:           4
        .value_kind:     by_value
      - .offset:         60
        .size:           4
        .value_kind:     by_value
      - .offset:         64
        .size:           4
        .value_kind:     by_value
      - .offset:         68
        .size:           4
        .value_kind:     by_value
      - .offset:         72
        .size:           4
        .value_kind:     by_value
      - .offset:         76
        .size:           4
        .value_kind:     by_value
      - .offset:         80
        .size:           4
        .value_kind:     by_value
      - .offset:         84
        .size:           4
        .value_kind:     by_value
      - .offset:         88
        .size:           4
        .value_kind:     by_value
      - .offset:         92
        .size:           4
        .value_kind:     by_value
      - .offset:         96
        .size:           4
        .value_kind:     hidden_block_count_x
      - .offset:         100
        .size:           4
        .value_kind:     hidden_block_count_y
      - .offset:         104
        .size:           4
        .value_kind:     hidden_block_count_z
      - .offset:         108
        .size:           2
        .value_kind:     hidden_group_size_x
      - .offset:         110
        .size:           2
        .value_kind:     hidden_group_size_y
      - .offset:         112
        .size:           2
        .value_kind:     hidden_group_size_z
      - .offset:         114
        .size:           2
        .value_kind:     hidden_remainder_x
      - .offset:         116
        .size:           2
        .value_kind:     hidden_remainder_y
      - .offset:         118
        .size:           2
        .value_kind:     hidden_remainder_z
      - .offset:         136
        .size:           8
        .value_kind:     hidden_global_offset_x
      - .offset:         144
        .size:           8
        .value_kind:     hidden_global_offset_y
      - .offset:         152
        .size:           8
        .value_kind:     hidden_global_offset_z
      - .offset:         160
        .size:           2
        .value_kind:     hidden_grid_dims
      - .offset:         216
        .size:           4
        .value_kind:     hidden_dynamic_lds_size
    .group_segment_fixed_size: 256
    .kernarg_segment_align: 8
    .kernarg_segment_size: 352
    .language:       OpenCL C
    .language_version:
      - 2
      - 0
    .max_flat_workgroup_size: 320
    .name:           _ZL9mul_mat_fIfLi64ELi13ELi5ELb1EEvPKT_PKfPKiPfiiiiiiiiiiiiiiii
    .private_segment_fixed_size: 0
    .sgpr_count:     100
    .sgpr_spill_count: 24
    .symbol:         _ZL9mul_mat_fIfLi64ELi13ELi5ELb1EEvPKT_PKfPKiPfiiiiiiiiiiiiiiii.kd
    .uniform_work_group_size: 1
    .uses_dynamic_stack: false
    .vgpr_count:     104
    .vgpr_spill_count: 0
    .wavefront_size: 64
  - .agpr_count:     0
    .args:
      - .actual_access:  read_only
        .address_space:  global
        .offset:         0
        .size:           8
        .value_kind:     global_buffer
      - .actual_access:  read_only
        .address_space:  global
        .offset:         8
        .size:           8
        .value_kind:     global_buffer
      - .actual_access:  read_only
        .address_space:  global
        .offset:         16
        .size:           8
        .value_kind:     global_buffer
      - .actual_access:  write_only
        .address_space:  global
        .offset:         24
        .size:           8
        .value_kind:     global_buffer
      - .offset:         32
        .size:           4
        .value_kind:     by_value
      - .offset:         36
        .size:           4
        .value_kind:     by_value
      - .offset:         40
        .size:           4
        .value_kind:     by_value
      - .offset:         44
        .size:           4
        .value_kind:     by_value
      - .offset:         48
        .size:           4
        .value_kind:     by_value
      - .offset:         52
        .size:           4
        .value_kind:     by_value
      - .offset:         56
        .size:           4
        .value_kind:     by_value
      - .offset:         60
        .size:           4
        .value_kind:     by_value
      - .offset:         64
        .size:           4
        .value_kind:     by_value
      - .offset:         68
        .size:           4
        .value_kind:     by_value
      - .offset:         72
        .size:           4
        .value_kind:     by_value
      - .offset:         76
        .size:           4
        .value_kind:     by_value
      - .offset:         80
        .size:           4
        .value_kind:     by_value
      - .offset:         84
        .size:           4
        .value_kind:     by_value
      - .offset:         88
        .size:           4
        .value_kind:     by_value
      - .offset:         92
        .size:           4
        .value_kind:     by_value
    .group_segment_fixed_size: 0
    .kernarg_segment_align: 8
    .kernarg_segment_size: 96
    .language:       OpenCL C
    .language_version:
      - 2
      - 0
    .max_flat_workgroup_size: 320
    .name:           _ZL9mul_mat_fIfLi64ELi13ELi5ELb0EEvPKT_PKfPKiPfiiiiiiiiiiiiiiii
    .private_segment_fixed_size: 0
    .sgpr_count:     94
    .sgpr_spill_count: 0
    .symbol:         _ZL9mul_mat_fIfLi64ELi13ELi5ELb0EEvPKT_PKfPKiPfiiiiiiiiiiiiiiii.kd
    .uniform_work_group_size: 1
    .uses_dynamic_stack: false
    .vgpr_count:     104
    .vgpr_spill_count: 0
    .wavefront_size: 64
  - .agpr_count:     0
    .args:
      - .actual_access:  read_only
        .address_space:  global
        .offset:         0
        .size:           8
        .value_kind:     global_buffer
      - .actual_access:  read_only
        .address_space:  global
        .offset:         8
        .size:           8
        .value_kind:     global_buffer
      - .actual_access:  read_only
        .address_space:  global
        .offset:         16
        .size:           8
        .value_kind:     global_buffer
      - .actual_access:  read_only
        .address_space:  global
        .offset:         24
        .size:           8
        .value_kind:     global_buffer
      - .actual_access:  read_only
        .address_space:  global
        .offset:         32
        .size:           8
        .value_kind:     global_buffer
      - .actual_access:  write_only
        .address_space:  global
        .offset:         40
        .size:           8
        .value_kind:     global_buffer
      - .offset:         48
        .size:           4
        .value_kind:     by_value
      - .offset:         52
        .size:           4
        .value_kind:     by_value
      - .offset:         56
        .size:           4
        .value_kind:     by_value
      - .offset:         60
        .size:           4
        .value_kind:     by_value
      - .offset:         64
        .size:           4
        .value_kind:     by_value
      - .offset:         68
        .size:           4
        .value_kind:     by_value
      - .offset:         72
        .size:           4
        .value_kind:     by_value
      - .offset:         76
        .size:           4
        .value_kind:     by_value
      - .offset:         80
        .size:           4
        .value_kind:     by_value
      - .offset:         84
        .size:           4
        .value_kind:     by_value
      - .offset:         88
        .size:           4
        .value_kind:     by_value
      - .offset:         92
        .size:           4
        .value_kind:     by_value
      - .offset:         96
        .size:           4
        .value_kind:     by_value
      - .offset:         100
        .size:           4
        .value_kind:     by_value
      - .offset:         104
        .size:           12
        .value_kind:     by_value
      - .offset:         116
        .size:           12
        .value_kind:     by_value
    .group_segment_fixed_size: 0
    .kernarg_segment_align: 8
    .kernarg_segment_size: 128
    .language:       OpenCL C
    .language_version:
      - 2
      - 0
    .max_flat_workgroup_size: 384
    .name:           _ZL13mul_mat_f_idsIfLi64ELi13ELi6EEvPKT_PKfPKiS6_S6_Pfiiiiiiiiiiiiii15HIP_vector_typeIjLj3EES9_
    .private_segment_fixed_size: 0
    .sgpr_count:     100
    .sgpr_spill_count: 26
    .symbol:         _ZL13mul_mat_f_idsIfLi64ELi13ELi6EEvPKT_PKfPKiS6_S6_Pfiiiiiiiiiiiiii15HIP_vector_typeIjLj3EES9_.kd
    .uniform_work_group_size: 1
    .uses_dynamic_stack: false
    .vgpr_count:     109
    .vgpr_spill_count: 0
    .wavefront_size: 64
  - .agpr_count:     0
    .args:
      - .actual_access:  read_only
        .address_space:  global
        .offset:         0
        .size:           8
        .value_kind:     global_buffer
      - .actual_access:  read_only
        .address_space:  global
        .offset:         8
        .size:           8
        .value_kind:     global_buffer
      - .actual_access:  read_only
        .address_space:  global
        .offset:         16
        .size:           8
        .value_kind:     global_buffer
      - .actual_access:  write_only
        .address_space:  global
        .offset:         24
        .size:           8
        .value_kind:     global_buffer
      - .offset:         32
        .size:           4
        .value_kind:     by_value
      - .offset:         36
        .size:           4
        .value_kind:     by_value
      - .offset:         40
        .size:           4
        .value_kind:     by_value
      - .offset:         44
        .size:           4
        .value_kind:     by_value
      - .offset:         48
        .size:           4
        .value_kind:     by_value
      - .offset:         52
        .size:           4
        .value_kind:     by_value
      - .offset:         56
        .size:           4
        .value_kind:     by_value
      - .offset:         60
        .size:           4
        .value_kind:     by_value
      - .offset:         64
        .size:           4
        .value_kind:     by_value
      - .offset:         68
        .size:           4
        .value_kind:     by_value
      - .offset:         72
        .size:           4
        .value_kind:     by_value
      - .offset:         76
        .size:           4
        .value_kind:     by_value
      - .offset:         80
        .size:           4
        .value_kind:     by_value
      - .offset:         84
        .size:           4
        .value_kind:     by_value
      - .offset:         88
        .size:           4
        .value_kind:     by_value
      - .offset:         92
        .size:           4
        .value_kind:     by_value
      - .offset:         96
        .size:           4
        .value_kind:     hidden_block_count_x
      - .offset:         100
        .size:           4
        .value_kind:     hidden_block_count_y
      - .offset:         104
        .size:           4
        .value_kind:     hidden_block_count_z
      - .offset:         108
        .size:           2
        .value_kind:     hidden_group_size_x
      - .offset:         110
        .size:           2
        .value_kind:     hidden_group_size_y
      - .offset:         112
        .size:           2
        .value_kind:     hidden_group_size_z
      - .offset:         114
        .size:           2
        .value_kind:     hidden_remainder_x
      - .offset:         116
        .size:           2
        .value_kind:     hidden_remainder_y
      - .offset:         118
        .size:           2
        .value_kind:     hidden_remainder_z
      - .offset:         136
        .size:           8
        .value_kind:     hidden_global_offset_x
      - .offset:         144
        .size:           8
        .value_kind:     hidden_global_offset_y
      - .offset:         152
        .size:           8
        .value_kind:     hidden_global_offset_z
      - .offset:         160
        .size:           2
        .value_kind:     hidden_grid_dims
      - .offset:         216
        .size:           4
        .value_kind:     hidden_dynamic_lds_size
    .group_segment_fixed_size: 256
    .kernarg_segment_align: 8
    .kernarg_segment_size: 352
    .language:       OpenCL C
    .language_version:
      - 2
      - 0
    .max_flat_workgroup_size: 384
    .name:           _ZL9mul_mat_fIfLi64ELi13ELi6ELb1EEvPKT_PKfPKiPfiiiiiiiiiiiiiiii
    .private_segment_fixed_size: 0
    .sgpr_count:     100
    .sgpr_spill_count: 24
    .symbol:         _ZL9mul_mat_fIfLi64ELi13ELi6ELb1EEvPKT_PKfPKiPfiiiiiiiiiiiiiiii.kd
    .uniform_work_group_size: 1
    .uses_dynamic_stack: false
    .vgpr_count:     104
    .vgpr_spill_count: 0
    .wavefront_size: 64
  - .agpr_count:     0
    .args:
      - .actual_access:  read_only
        .address_space:  global
        .offset:         0
        .size:           8
        .value_kind:     global_buffer
      - .actual_access:  read_only
        .address_space:  global
        .offset:         8
        .size:           8
        .value_kind:     global_buffer
      - .actual_access:  read_only
        .address_space:  global
        .offset:         16
        .size:           8
        .value_kind:     global_buffer
      - .actual_access:  write_only
        .address_space:  global
        .offset:         24
        .size:           8
        .value_kind:     global_buffer
      - .offset:         32
        .size:           4
        .value_kind:     by_value
      - .offset:         36
        .size:           4
        .value_kind:     by_value
      - .offset:         40
        .size:           4
        .value_kind:     by_value
      - .offset:         44
        .size:           4
        .value_kind:     by_value
      - .offset:         48
        .size:           4
        .value_kind:     by_value
      - .offset:         52
        .size:           4
        .value_kind:     by_value
      - .offset:         56
        .size:           4
        .value_kind:     by_value
      - .offset:         60
        .size:           4
        .value_kind:     by_value
      - .offset:         64
        .size:           4
        .value_kind:     by_value
      - .offset:         68
        .size:           4
        .value_kind:     by_value
      - .offset:         72
        .size:           4
        .value_kind:     by_value
      - .offset:         76
        .size:           4
        .value_kind:     by_value
      - .offset:         80
        .size:           4
        .value_kind:     by_value
      - .offset:         84
        .size:           4
        .value_kind:     by_value
      - .offset:         88
        .size:           4
        .value_kind:     by_value
      - .offset:         92
        .size:           4
        .value_kind:     by_value
    .group_segment_fixed_size: 0
    .kernarg_segment_align: 8
    .kernarg_segment_size: 96
    .language:       OpenCL C
    .language_version:
      - 2
      - 0
    .max_flat_workgroup_size: 384
    .name:           _ZL9mul_mat_fIfLi64ELi13ELi6ELb0EEvPKT_PKfPKiPfiiiiiiiiiiiiiiii
    .private_segment_fixed_size: 0
    .sgpr_count:     94
    .sgpr_spill_count: 0
    .symbol:         _ZL9mul_mat_fIfLi64ELi13ELi6ELb0EEvPKT_PKfPKiPfiiiiiiiiiiiiiiii.kd
    .uniform_work_group_size: 1
    .uses_dynamic_stack: false
    .vgpr_count:     104
    .vgpr_spill_count: 0
    .wavefront_size: 64
  - .agpr_count:     0
    .args:
      - .actual_access:  read_only
        .address_space:  global
        .offset:         0
        .size:           8
        .value_kind:     global_buffer
      - .actual_access:  read_only
        .address_space:  global
        .offset:         8
        .size:           8
        .value_kind:     global_buffer
      - .actual_access:  read_only
        .address_space:  global
        .offset:         16
        .size:           8
        .value_kind:     global_buffer
      - .actual_access:  read_only
        .address_space:  global
        .offset:         24
        .size:           8
        .value_kind:     global_buffer
      - .actual_access:  read_only
        .address_space:  global
        .offset:         32
        .size:           8
        .value_kind:     global_buffer
      - .actual_access:  write_only
        .address_space:  global
        .offset:         40
        .size:           8
        .value_kind:     global_buffer
      - .offset:         48
        .size:           4
        .value_kind:     by_value
      - .offset:         52
        .size:           4
        .value_kind:     by_value
      - .offset:         56
        .size:           4
        .value_kind:     by_value
      - .offset:         60
        .size:           4
        .value_kind:     by_value
      - .offset:         64
        .size:           4
        .value_kind:     by_value
      - .offset:         68
        .size:           4
        .value_kind:     by_value
      - .offset:         72
        .size:           4
        .value_kind:     by_value
      - .offset:         76
        .size:           4
        .value_kind:     by_value
      - .offset:         80
        .size:           4
        .value_kind:     by_value
      - .offset:         84
        .size:           4
        .value_kind:     by_value
      - .offset:         88
        .size:           4
        .value_kind:     by_value
      - .offset:         92
        .size:           4
        .value_kind:     by_value
      - .offset:         96
        .size:           4
        .value_kind:     by_value
      - .offset:         100
        .size:           4
        .value_kind:     by_value
      - .offset:         104
        .size:           12
        .value_kind:     by_value
      - .offset:         116
        .size:           12
        .value_kind:     by_value
    .group_segment_fixed_size: 0
    .kernarg_segment_align: 8
    .kernarg_segment_size: 128
    .language:       OpenCL C
    .language_version:
      - 2
      - 0
    .max_flat_workgroup_size: 448
    .name:           _ZL13mul_mat_f_idsIfLi64ELi13ELi7EEvPKT_PKfPKiS6_S6_Pfiiiiiiiiiiiiii15HIP_vector_typeIjLj3EES9_
    .private_segment_fixed_size: 0
    .sgpr_count:     100
    .sgpr_spill_count: 26
    .symbol:         _ZL13mul_mat_f_idsIfLi64ELi13ELi7EEvPKT_PKfPKiS6_S6_Pfiiiiiiiiiiiiii15HIP_vector_typeIjLj3EES9_.kd
    .uniform_work_group_size: 1
    .uses_dynamic_stack: false
    .vgpr_count:     109
    .vgpr_spill_count: 0
    .wavefront_size: 64
  - .agpr_count:     0
    .args:
      - .actual_access:  read_only
        .address_space:  global
        .offset:         0
        .size:           8
        .value_kind:     global_buffer
      - .actual_access:  read_only
        .address_space:  global
        .offset:         8
        .size:           8
        .value_kind:     global_buffer
      - .actual_access:  read_only
        .address_space:  global
        .offset:         16
        .size:           8
        .value_kind:     global_buffer
      - .actual_access:  write_only
        .address_space:  global
        .offset:         24
        .size:           8
        .value_kind:     global_buffer
      - .offset:         32
        .size:           4
        .value_kind:     by_value
      - .offset:         36
        .size:           4
        .value_kind:     by_value
      - .offset:         40
        .size:           4
        .value_kind:     by_value
      - .offset:         44
        .size:           4
        .value_kind:     by_value
      - .offset:         48
        .size:           4
        .value_kind:     by_value
      - .offset:         52
        .size:           4
        .value_kind:     by_value
      - .offset:         56
        .size:           4
        .value_kind:     by_value
      - .offset:         60
        .size:           4
        .value_kind:     by_value
      - .offset:         64
        .size:           4
        .value_kind:     by_value
      - .offset:         68
        .size:           4
        .value_kind:     by_value
      - .offset:         72
        .size:           4
        .value_kind:     by_value
      - .offset:         76
        .size:           4
        .value_kind:     by_value
      - .offset:         80
        .size:           4
        .value_kind:     by_value
      - .offset:         84
        .size:           4
        .value_kind:     by_value
      - .offset:         88
        .size:           4
        .value_kind:     by_value
      - .offset:         92
        .size:           4
        .value_kind:     by_value
      - .offset:         96
        .size:           4
        .value_kind:     hidden_block_count_x
      - .offset:         100
        .size:           4
        .value_kind:     hidden_block_count_y
      - .offset:         104
        .size:           4
        .value_kind:     hidden_block_count_z
      - .offset:         108
        .size:           2
        .value_kind:     hidden_group_size_x
      - .offset:         110
        .size:           2
        .value_kind:     hidden_group_size_y
      - .offset:         112
        .size:           2
        .value_kind:     hidden_group_size_z
      - .offset:         114
        .size:           2
        .value_kind:     hidden_remainder_x
      - .offset:         116
        .size:           2
        .value_kind:     hidden_remainder_y
      - .offset:         118
        .size:           2
        .value_kind:     hidden_remainder_z
      - .offset:         136
        .size:           8
        .value_kind:     hidden_global_offset_x
      - .offset:         144
        .size:           8
        .value_kind:     hidden_global_offset_y
      - .offset:         152
        .size:           8
        .value_kind:     hidden_global_offset_z
      - .offset:         160
        .size:           2
        .value_kind:     hidden_grid_dims
      - .offset:         216
        .size:           4
        .value_kind:     hidden_dynamic_lds_size
    .group_segment_fixed_size: 256
    .kernarg_segment_align: 8
    .kernarg_segment_size: 352
    .language:       OpenCL C
    .language_version:
      - 2
      - 0
    .max_flat_workgroup_size: 448
    .name:           _ZL9mul_mat_fIfLi64ELi13ELi7ELb1EEvPKT_PKfPKiPfiiiiiiiiiiiiiiii
    .private_segment_fixed_size: 0
    .sgpr_count:     100
    .sgpr_spill_count: 22
    .symbol:         _ZL9mul_mat_fIfLi64ELi13ELi7ELb1EEvPKT_PKfPKiPfiiiiiiiiiiiiiiii.kd
    .uniform_work_group_size: 1
    .uses_dynamic_stack: false
    .vgpr_count:     103
    .vgpr_spill_count: 0
    .wavefront_size: 64
  - .agpr_count:     0
    .args:
      - .actual_access:  read_only
        .address_space:  global
        .offset:         0
        .size:           8
        .value_kind:     global_buffer
      - .actual_access:  read_only
        .address_space:  global
        .offset:         8
        .size:           8
        .value_kind:     global_buffer
      - .actual_access:  read_only
        .address_space:  global
        .offset:         16
        .size:           8
        .value_kind:     global_buffer
      - .actual_access:  write_only
        .address_space:  global
        .offset:         24
        .size:           8
        .value_kind:     global_buffer
      - .offset:         32
        .size:           4
        .value_kind:     by_value
      - .offset:         36
        .size:           4
        .value_kind:     by_value
      - .offset:         40
        .size:           4
        .value_kind:     by_value
      - .offset:         44
        .size:           4
        .value_kind:     by_value
      - .offset:         48
        .size:           4
        .value_kind:     by_value
      - .offset:         52
        .size:           4
        .value_kind:     by_value
      - .offset:         56
        .size:           4
        .value_kind:     by_value
      - .offset:         60
        .size:           4
        .value_kind:     by_value
      - .offset:         64
        .size:           4
        .value_kind:     by_value
      - .offset:         68
        .size:           4
        .value_kind:     by_value
      - .offset:         72
        .size:           4
        .value_kind:     by_value
      - .offset:         76
        .size:           4
        .value_kind:     by_value
      - .offset:         80
        .size:           4
        .value_kind:     by_value
      - .offset:         84
        .size:           4
        .value_kind:     by_value
      - .offset:         88
        .size:           4
        .value_kind:     by_value
      - .offset:         92
        .size:           4
        .value_kind:     by_value
    .group_segment_fixed_size: 0
    .kernarg_segment_align: 8
    .kernarg_segment_size: 96
    .language:       OpenCL C
    .language_version:
      - 2
      - 0
    .max_flat_workgroup_size: 448
    .name:           _ZL9mul_mat_fIfLi64ELi13ELi7ELb0EEvPKT_PKfPKiPfiiiiiiiiiiiiiiii
    .private_segment_fixed_size: 0
    .sgpr_count:     94
    .sgpr_spill_count: 0
    .symbol:         _ZL9mul_mat_fIfLi64ELi13ELi7ELb0EEvPKT_PKfPKiPfiiiiiiiiiiiiiiii.kd
    .uniform_work_group_size: 1
    .uses_dynamic_stack: false
    .vgpr_count:     104
    .vgpr_spill_count: 0
    .wavefront_size: 64
  - .agpr_count:     0
    .args:
      - .actual_access:  read_only
        .address_space:  global
        .offset:         0
        .size:           8
        .value_kind:     global_buffer
      - .actual_access:  read_only
        .address_space:  global
        .offset:         8
        .size:           8
        .value_kind:     global_buffer
      - .actual_access:  read_only
        .address_space:  global
        .offset:         16
        .size:           8
        .value_kind:     global_buffer
      - .actual_access:  read_only
        .address_space:  global
        .offset:         24
        .size:           8
        .value_kind:     global_buffer
      - .actual_access:  read_only
        .address_space:  global
        .offset:         32
        .size:           8
        .value_kind:     global_buffer
      - .actual_access:  write_only
        .address_space:  global
        .offset:         40
        .size:           8
        .value_kind:     global_buffer
      - .offset:         48
        .size:           4
        .value_kind:     by_value
      - .offset:         52
        .size:           4
        .value_kind:     by_value
      - .offset:         56
        .size:           4
        .value_kind:     by_value
      - .offset:         60
        .size:           4
        .value_kind:     by_value
      - .offset:         64
        .size:           4
        .value_kind:     by_value
      - .offset:         68
        .size:           4
        .value_kind:     by_value
      - .offset:         72
        .size:           4
        .value_kind:     by_value
      - .offset:         76
        .size:           4
        .value_kind:     by_value
      - .offset:         80
        .size:           4
        .value_kind:     by_value
      - .offset:         84
        .size:           4
        .value_kind:     by_value
      - .offset:         88
        .size:           4
        .value_kind:     by_value
      - .offset:         92
        .size:           4
        .value_kind:     by_value
      - .offset:         96
        .size:           4
        .value_kind:     by_value
      - .offset:         100
        .size:           4
        .value_kind:     by_value
      - .offset:         104
        .size:           12
        .value_kind:     by_value
      - .offset:         116
        .size:           12
        .value_kind:     by_value
    .group_segment_fixed_size: 0
    .kernarg_segment_align: 8
    .kernarg_segment_size: 128
    .language:       OpenCL C
    .language_version:
      - 2
      - 0
    .max_flat_workgroup_size: 512
    .name:           _ZL13mul_mat_f_idsIfLi64ELi13ELi8EEvPKT_PKfPKiS6_S6_Pfiiiiiiiiiiiiii15HIP_vector_typeIjLj3EES9_
    .private_segment_fixed_size: 0
    .sgpr_count:     100
    .sgpr_spill_count: 26
    .symbol:         _ZL13mul_mat_f_idsIfLi64ELi13ELi8EEvPKT_PKfPKiS6_S6_Pfiiiiiiiiiiiiii15HIP_vector_typeIjLj3EES9_.kd
    .uniform_work_group_size: 1
    .uses_dynamic_stack: false
    .vgpr_count:     109
    .vgpr_spill_count: 0
    .wavefront_size: 64
  - .agpr_count:     0
    .args:
      - .actual_access:  read_only
        .address_space:  global
        .offset:         0
        .size:           8
        .value_kind:     global_buffer
      - .actual_access:  read_only
        .address_space:  global
        .offset:         8
        .size:           8
        .value_kind:     global_buffer
      - .actual_access:  read_only
        .address_space:  global
        .offset:         16
        .size:           8
        .value_kind:     global_buffer
      - .actual_access:  write_only
        .address_space:  global
        .offset:         24
        .size:           8
        .value_kind:     global_buffer
      - .offset:         32
        .size:           4
        .value_kind:     by_value
      - .offset:         36
        .size:           4
        .value_kind:     by_value
      - .offset:         40
        .size:           4
        .value_kind:     by_value
      - .offset:         44
        .size:           4
        .value_kind:     by_value
      - .offset:         48
        .size:           4
        .value_kind:     by_value
      - .offset:         52
        .size:           4
        .value_kind:     by_value
      - .offset:         56
        .size:           4
        .value_kind:     by_value
      - .offset:         60
        .size:           4
        .value_kind:     by_value
      - .offset:         64
        .size:           4
        .value_kind:     by_value
      - .offset:         68
        .size:           4
        .value_kind:     by_value
      - .offset:         72
        .size:           4
        .value_kind:     by_value
      - .offset:         76
        .size:           4
        .value_kind:     by_value
      - .offset:         80
        .size:           4
        .value_kind:     by_value
      - .offset:         84
        .size:           4
        .value_kind:     by_value
      - .offset:         88
        .size:           4
        .value_kind:     by_value
      - .offset:         92
        .size:           4
        .value_kind:     by_value
      - .offset:         96
        .size:           4
        .value_kind:     hidden_block_count_x
      - .offset:         100
        .size:           4
        .value_kind:     hidden_block_count_y
      - .offset:         104
        .size:           4
        .value_kind:     hidden_block_count_z
      - .offset:         108
        .size:           2
        .value_kind:     hidden_group_size_x
      - .offset:         110
        .size:           2
        .value_kind:     hidden_group_size_y
      - .offset:         112
        .size:           2
        .value_kind:     hidden_group_size_z
      - .offset:         114
        .size:           2
        .value_kind:     hidden_remainder_x
      - .offset:         116
        .size:           2
        .value_kind:     hidden_remainder_y
      - .offset:         118
        .size:           2
        .value_kind:     hidden_remainder_z
      - .offset:         136
        .size:           8
        .value_kind:     hidden_global_offset_x
      - .offset:         144
        .size:           8
        .value_kind:     hidden_global_offset_y
      - .offset:         152
        .size:           8
        .value_kind:     hidden_global_offset_z
      - .offset:         160
        .size:           2
        .value_kind:     hidden_grid_dims
      - .offset:         216
        .size:           4
        .value_kind:     hidden_dynamic_lds_size
    .group_segment_fixed_size: 256
    .kernarg_segment_align: 8
    .kernarg_segment_size: 352
    .language:       OpenCL C
    .language_version:
      - 2
      - 0
    .max_flat_workgroup_size: 512
    .name:           _ZL9mul_mat_fIfLi64ELi13ELi8ELb1EEvPKT_PKfPKiPfiiiiiiiiiiiiiiii
    .private_segment_fixed_size: 0
    .sgpr_count:     100
    .sgpr_spill_count: 22
    .symbol:         _ZL9mul_mat_fIfLi64ELi13ELi8ELb1EEvPKT_PKfPKiPfiiiiiiiiiiiiiiii.kd
    .uniform_work_group_size: 1
    .uses_dynamic_stack: false
    .vgpr_count:     103
    .vgpr_spill_count: 0
    .wavefront_size: 64
  - .agpr_count:     0
    .args:
      - .actual_access:  read_only
        .address_space:  global
        .offset:         0
        .size:           8
        .value_kind:     global_buffer
      - .actual_access:  read_only
        .address_space:  global
        .offset:         8
        .size:           8
        .value_kind:     global_buffer
      - .actual_access:  read_only
        .address_space:  global
        .offset:         16
        .size:           8
        .value_kind:     global_buffer
      - .actual_access:  write_only
        .address_space:  global
        .offset:         24
        .size:           8
        .value_kind:     global_buffer
      - .offset:         32
        .size:           4
        .value_kind:     by_value
      - .offset:         36
        .size:           4
        .value_kind:     by_value
      - .offset:         40
        .size:           4
        .value_kind:     by_value
      - .offset:         44
        .size:           4
        .value_kind:     by_value
      - .offset:         48
        .size:           4
        .value_kind:     by_value
      - .offset:         52
        .size:           4
        .value_kind:     by_value
      - .offset:         56
        .size:           4
        .value_kind:     by_value
      - .offset:         60
        .size:           4
        .value_kind:     by_value
      - .offset:         64
        .size:           4
        .value_kind:     by_value
      - .offset:         68
        .size:           4
        .value_kind:     by_value
      - .offset:         72
        .size:           4
        .value_kind:     by_value
      - .offset:         76
        .size:           4
        .value_kind:     by_value
      - .offset:         80
        .size:           4
        .value_kind:     by_value
      - .offset:         84
        .size:           4
        .value_kind:     by_value
      - .offset:         88
        .size:           4
        .value_kind:     by_value
      - .offset:         92
        .size:           4
        .value_kind:     by_value
    .group_segment_fixed_size: 0
    .kernarg_segment_align: 8
    .kernarg_segment_size: 96
    .language:       OpenCL C
    .language_version:
      - 2
      - 0
    .max_flat_workgroup_size: 512
    .name:           _ZL9mul_mat_fIfLi64ELi13ELi8ELb0EEvPKT_PKfPKiPfiiiiiiiiiiiiiiii
    .private_segment_fixed_size: 0
    .sgpr_count:     94
    .sgpr_spill_count: 0
    .symbol:         _ZL9mul_mat_fIfLi64ELi13ELi8ELb0EEvPKT_PKfPKiPfiiiiiiiiiiiiiiii.kd
    .uniform_work_group_size: 1
    .uses_dynamic_stack: false
    .vgpr_count:     104
    .vgpr_spill_count: 0
    .wavefront_size: 64
  - .agpr_count:     16
    .args:
      - .actual_access:  read_only
        .address_space:  global
        .offset:         0
        .size:           8
        .value_kind:     global_buffer
      - .actual_access:  read_only
        .address_space:  global
        .offset:         8
        .size:           8
        .value_kind:     global_buffer
      - .actual_access:  read_only
        .address_space:  global
        .offset:         16
        .size:           8
        .value_kind:     global_buffer
      - .actual_access:  read_only
        .address_space:  global
        .offset:         24
        .size:           8
        .value_kind:     global_buffer
      - .actual_access:  read_only
        .address_space:  global
        .offset:         32
        .size:           8
        .value_kind:     global_buffer
      - .actual_access:  write_only
        .address_space:  global
        .offset:         40
        .size:           8
        .value_kind:     global_buffer
      - .offset:         48
        .size:           4
        .value_kind:     by_value
      - .offset:         52
        .size:           4
        .value_kind:     by_value
      - .offset:         56
        .size:           4
        .value_kind:     by_value
      - .offset:         60
        .size:           4
        .value_kind:     by_value
      - .offset:         64
        .size:           4
        .value_kind:     by_value
      - .offset:         68
        .size:           4
        .value_kind:     by_value
      - .offset:         72
        .size:           4
        .value_kind:     by_value
      - .offset:         76
        .size:           4
        .value_kind:     by_value
      - .offset:         80
        .size:           4
        .value_kind:     by_value
      - .offset:         84
        .size:           4
        .value_kind:     by_value
      - .offset:         88
        .size:           4
        .value_kind:     by_value
      - .offset:         92
        .size:           4
        .value_kind:     by_value
      - .offset:         96
        .size:           4
        .value_kind:     by_value
      - .offset:         100
        .size:           4
        .value_kind:     by_value
      - .offset:         104
        .size:           12
        .value_kind:     by_value
      - .offset:         116
        .size:           12
        .value_kind:     by_value
    .group_segment_fixed_size: 0
    .kernarg_segment_align: 8
    .kernarg_segment_size: 128
    .language:       OpenCL C
    .language_version:
      - 2
      - 0
    .max_flat_workgroup_size: 64
    .name:           _ZL13mul_mat_f_idsI7__half2Li64ELi13ELi1EEvPKT_PKfPKiS7_S7_Pfiiiiiiiiiiiiii15HIP_vector_typeIjLj3EESA_
    .private_segment_fixed_size: 0
    .sgpr_count:     100
    .sgpr_spill_count: 26
    .symbol:         _ZL13mul_mat_f_idsI7__half2Li64ELi13ELi1EEvPKT_PKfPKiS7_S7_Pfiiiiiiiiiiiiii15HIP_vector_typeIjLj3EESA_.kd
    .uniform_work_group_size: 1
    .uses_dynamic_stack: false
    .vgpr_count:     120
    .vgpr_spill_count: 0
    .wavefront_size: 64
  - .agpr_count:     16
    .args:
      - .actual_access:  read_only
        .address_space:  global
        .offset:         0
        .size:           8
        .value_kind:     global_buffer
      - .actual_access:  read_only
        .address_space:  global
        .offset:         8
        .size:           8
        .value_kind:     global_buffer
      - .actual_access:  read_only
        .address_space:  global
        .offset:         16
        .size:           8
        .value_kind:     global_buffer
      - .actual_access:  write_only
        .address_space:  global
        .offset:         24
        .size:           8
        .value_kind:     global_buffer
      - .offset:         32
        .size:           4
        .value_kind:     by_value
      - .offset:         36
        .size:           4
        .value_kind:     by_value
      - .offset:         40
        .size:           4
        .value_kind:     by_value
      - .offset:         44
        .size:           4
        .value_kind:     by_value
      - .offset:         48
        .size:           4
        .value_kind:     by_value
      - .offset:         52
        .size:           4
        .value_kind:     by_value
      - .offset:         56
        .size:           4
        .value_kind:     by_value
      - .offset:         60
        .size:           4
        .value_kind:     by_value
      - .offset:         64
        .size:           4
        .value_kind:     by_value
      - .offset:         68
        .size:           4
        .value_kind:     by_value
      - .offset:         72
        .size:           4
        .value_kind:     by_value
      - .offset:         76
        .size:           4
        .value_kind:     by_value
      - .offset:         80
        .size:           4
        .value_kind:     by_value
      - .offset:         84
        .size:           4
        .value_kind:     by_value
      - .offset:         88
        .size:           4
        .value_kind:     by_value
      - .offset:         92
        .size:           4
        .value_kind:     by_value
      - .offset:         96
        .size:           4
        .value_kind:     hidden_block_count_x
      - .offset:         100
        .size:           4
        .value_kind:     hidden_block_count_y
      - .offset:         104
        .size:           4
        .value_kind:     hidden_block_count_z
      - .offset:         108
        .size:           2
        .value_kind:     hidden_group_size_x
      - .offset:         110
        .size:           2
        .value_kind:     hidden_group_size_y
      - .offset:         112
        .size:           2
        .value_kind:     hidden_group_size_z
      - .offset:         114
        .size:           2
        .value_kind:     hidden_remainder_x
      - .offset:         116
        .size:           2
        .value_kind:     hidden_remainder_y
      - .offset:         118
        .size:           2
        .value_kind:     hidden_remainder_z
      - .offset:         136
        .size:           8
        .value_kind:     hidden_global_offset_x
      - .offset:         144
        .size:           8
        .value_kind:     hidden_global_offset_y
      - .offset:         152
        .size:           8
        .value_kind:     hidden_global_offset_z
      - .offset:         160
        .size:           2
        .value_kind:     hidden_grid_dims
      - .offset:         216
        .size:           4
        .value_kind:     hidden_dynamic_lds_size
    .group_segment_fixed_size: 256
    .kernarg_segment_align: 8
    .kernarg_segment_size: 352
    .language:       OpenCL C
    .language_version:
      - 2
      - 0
    .max_flat_workgroup_size: 64
    .name:           _ZL9mul_mat_fI7__half2Li64ELi13ELi1ELb1EEvPKT_PKfPKiPfiiiiiiiiiiiiiiii
    .private_segment_fixed_size: 0
    .sgpr_count:     100
    .sgpr_spill_count: 52
    .symbol:         _ZL9mul_mat_fI7__half2Li64ELi13ELi1ELb1EEvPKT_PKfPKiPfiiiiiiiiiiiiiiii.kd
    .uniform_work_group_size: 1
    .uses_dynamic_stack: false
    .vgpr_count:     112
    .vgpr_spill_count: 0
    .wavefront_size: 64
  - .agpr_count:     24
    .args:
      - .actual_access:  read_only
        .address_space:  global
        .offset:         0
        .size:           8
        .value_kind:     global_buffer
      - .actual_access:  read_only
        .address_space:  global
        .offset:         8
        .size:           8
        .value_kind:     global_buffer
      - .actual_access:  read_only
        .address_space:  global
        .offset:         16
        .size:           8
        .value_kind:     global_buffer
      - .actual_access:  write_only
        .address_space:  global
        .offset:         24
        .size:           8
        .value_kind:     global_buffer
      - .offset:         32
        .size:           4
        .value_kind:     by_value
      - .offset:         36
        .size:           4
        .value_kind:     by_value
      - .offset:         40
        .size:           4
        .value_kind:     by_value
      - .offset:         44
        .size:           4
        .value_kind:     by_value
      - .offset:         48
        .size:           4
        .value_kind:     by_value
      - .offset:         52
        .size:           4
        .value_kind:     by_value
      - .offset:         56
        .size:           4
        .value_kind:     by_value
      - .offset:         60
        .size:           4
        .value_kind:     by_value
      - .offset:         64
        .size:           4
        .value_kind:     by_value
      - .offset:         68
        .size:           4
        .value_kind:     by_value
      - .offset:         72
        .size:           4
        .value_kind:     by_value
      - .offset:         76
        .size:           4
        .value_kind:     by_value
      - .offset:         80
        .size:           4
        .value_kind:     by_value
      - .offset:         84
        .size:           4
        .value_kind:     by_value
      - .offset:         88
        .size:           4
        .value_kind:     by_value
      - .offset:         92
        .size:           4
        .value_kind:     by_value
    .group_segment_fixed_size: 0
    .kernarg_segment_align: 8
    .kernarg_segment_size: 96
    .language:       OpenCL C
    .language_version:
      - 2
      - 0
    .max_flat_workgroup_size: 64
    .name:           _ZL9mul_mat_fI7__half2Li64ELi13ELi1ELb0EEvPKT_PKfPKiPfiiiiiiiiiiiiiiii
    .private_segment_fixed_size: 0
    .sgpr_count:     95
    .sgpr_spill_count: 0
    .symbol:         _ZL9mul_mat_fI7__half2Li64ELi13ELi1ELb0EEvPKT_PKfPKiPfiiiiiiiiiiiiiiii.kd
    .uniform_work_group_size: 1
    .uses_dynamic_stack: false
    .vgpr_count:     128
    .vgpr_spill_count: 0
    .wavefront_size: 64
  - .agpr_count:     16
    .args:
      - .actual_access:  read_only
        .address_space:  global
        .offset:         0
        .size:           8
        .value_kind:     global_buffer
      - .actual_access:  read_only
        .address_space:  global
        .offset:         8
        .size:           8
        .value_kind:     global_buffer
      - .actual_access:  read_only
        .address_space:  global
        .offset:         16
        .size:           8
        .value_kind:     global_buffer
      - .actual_access:  read_only
        .address_space:  global
        .offset:         24
        .size:           8
        .value_kind:     global_buffer
      - .actual_access:  read_only
        .address_space:  global
        .offset:         32
        .size:           8
        .value_kind:     global_buffer
      - .actual_access:  write_only
        .address_space:  global
        .offset:         40
        .size:           8
        .value_kind:     global_buffer
      - .offset:         48
        .size:           4
        .value_kind:     by_value
      - .offset:         52
        .size:           4
        .value_kind:     by_value
      - .offset:         56
        .size:           4
        .value_kind:     by_value
      - .offset:         60
        .size:           4
        .value_kind:     by_value
      - .offset:         64
        .size:           4
        .value_kind:     by_value
      - .offset:         68
        .size:           4
        .value_kind:     by_value
      - .offset:         72
        .size:           4
        .value_kind:     by_value
      - .offset:         76
        .size:           4
        .value_kind:     by_value
      - .offset:         80
        .size:           4
        .value_kind:     by_value
      - .offset:         84
        .size:           4
        .value_kind:     by_value
      - .offset:         88
        .size:           4
        .value_kind:     by_value
      - .offset:         92
        .size:           4
        .value_kind:     by_value
      - .offset:         96
        .size:           4
        .value_kind:     by_value
      - .offset:         100
        .size:           4
        .value_kind:     by_value
      - .offset:         104
        .size:           12
        .value_kind:     by_value
      - .offset:         116
        .size:           12
        .value_kind:     by_value
    .group_segment_fixed_size: 0
    .kernarg_segment_align: 8
    .kernarg_segment_size: 128
    .language:       OpenCL C
    .language_version:
      - 2
      - 0
    .max_flat_workgroup_size: 128
    .name:           _ZL13mul_mat_f_idsI7__half2Li64ELi13ELi2EEvPKT_PKfPKiS7_S7_Pfiiiiiiiiiiiiii15HIP_vector_typeIjLj3EESA_
    .private_segment_fixed_size: 0
    .sgpr_count:     100
    .sgpr_spill_count: 26
    .symbol:         _ZL13mul_mat_f_idsI7__half2Li64ELi13ELi2EEvPKT_PKfPKiS7_S7_Pfiiiiiiiiiiiiii15HIP_vector_typeIjLj3EESA_.kd
    .uniform_work_group_size: 1
    .uses_dynamic_stack: false
    .vgpr_count:     120
    .vgpr_spill_count: 0
    .wavefront_size: 64
  - .agpr_count:     16
    .args:
      - .actual_access:  read_only
        .address_space:  global
        .offset:         0
        .size:           8
        .value_kind:     global_buffer
      - .actual_access:  read_only
        .address_space:  global
        .offset:         8
        .size:           8
        .value_kind:     global_buffer
      - .actual_access:  read_only
        .address_space:  global
        .offset:         16
        .size:           8
        .value_kind:     global_buffer
      - .actual_access:  write_only
        .address_space:  global
        .offset:         24
        .size:           8
        .value_kind:     global_buffer
      - .offset:         32
        .size:           4
        .value_kind:     by_value
      - .offset:         36
        .size:           4
        .value_kind:     by_value
      - .offset:         40
        .size:           4
        .value_kind:     by_value
      - .offset:         44
        .size:           4
        .value_kind:     by_value
      - .offset:         48
        .size:           4
        .value_kind:     by_value
      - .offset:         52
        .size:           4
        .value_kind:     by_value
      - .offset:         56
        .size:           4
        .value_kind:     by_value
      - .offset:         60
        .size:           4
        .value_kind:     by_value
      - .offset:         64
        .size:           4
        .value_kind:     by_value
      - .offset:         68
        .size:           4
        .value_kind:     by_value
      - .offset:         72
        .size:           4
        .value_kind:     by_value
      - .offset:         76
        .size:           4
        .value_kind:     by_value
      - .offset:         80
        .size:           4
        .value_kind:     by_value
      - .offset:         84
        .size:           4
        .value_kind:     by_value
      - .offset:         88
        .size:           4
        .value_kind:     by_value
      - .offset:         92
        .size:           4
        .value_kind:     by_value
      - .offset:         96
        .size:           4
        .value_kind:     hidden_block_count_x
      - .offset:         100
        .size:           4
        .value_kind:     hidden_block_count_y
      - .offset:         104
        .size:           4
        .value_kind:     hidden_block_count_z
      - .offset:         108
        .size:           2
        .value_kind:     hidden_group_size_x
      - .offset:         110
        .size:           2
        .value_kind:     hidden_group_size_y
      - .offset:         112
        .size:           2
        .value_kind:     hidden_group_size_z
      - .offset:         114
        .size:           2
        .value_kind:     hidden_remainder_x
      - .offset:         116
        .size:           2
        .value_kind:     hidden_remainder_y
      - .offset:         118
        .size:           2
        .value_kind:     hidden_remainder_z
      - .offset:         136
        .size:           8
        .value_kind:     hidden_global_offset_x
      - .offset:         144
        .size:           8
        .value_kind:     hidden_global_offset_y
      - .offset:         152
        .size:           8
        .value_kind:     hidden_global_offset_z
      - .offset:         160
        .size:           2
        .value_kind:     hidden_grid_dims
      - .offset:         216
        .size:           4
        .value_kind:     hidden_dynamic_lds_size
    .group_segment_fixed_size: 256
    .kernarg_segment_align: 8
    .kernarg_segment_size: 352
    .language:       OpenCL C
    .language_version:
      - 2
      - 0
    .max_flat_workgroup_size: 128
    .name:           _ZL9mul_mat_fI7__half2Li64ELi13ELi2ELb1EEvPKT_PKfPKiPfiiiiiiiiiiiiiiii
    .private_segment_fixed_size: 0
    .sgpr_count:     100
    .sgpr_spill_count: 40
    .symbol:         _ZL9mul_mat_fI7__half2Li64ELi13ELi2ELb1EEvPKT_PKfPKiPfiiiiiiiiiiiiiiii.kd
    .uniform_work_group_size: 1
    .uses_dynamic_stack: false
    .vgpr_count:     108
    .vgpr_spill_count: 0
    .wavefront_size: 64
  - .agpr_count:     24
    .args:
      - .actual_access:  read_only
        .address_space:  global
        .offset:         0
        .size:           8
        .value_kind:     global_buffer
      - .actual_access:  read_only
        .address_space:  global
        .offset:         8
        .size:           8
        .value_kind:     global_buffer
      - .actual_access:  read_only
        .address_space:  global
        .offset:         16
        .size:           8
        .value_kind:     global_buffer
      - .actual_access:  write_only
        .address_space:  global
        .offset:         24
        .size:           8
        .value_kind:     global_buffer
      - .offset:         32
        .size:           4
        .value_kind:     by_value
      - .offset:         36
        .size:           4
        .value_kind:     by_value
      - .offset:         40
        .size:           4
        .value_kind:     by_value
      - .offset:         44
        .size:           4
        .value_kind:     by_value
      - .offset:         48
        .size:           4
        .value_kind:     by_value
      - .offset:         52
        .size:           4
        .value_kind:     by_value
      - .offset:         56
        .size:           4
        .value_kind:     by_value
      - .offset:         60
        .size:           4
        .value_kind:     by_value
      - .offset:         64
        .size:           4
        .value_kind:     by_value
      - .offset:         68
        .size:           4
        .value_kind:     by_value
      - .offset:         72
        .size:           4
        .value_kind:     by_value
      - .offset:         76
        .size:           4
        .value_kind:     by_value
      - .offset:         80
        .size:           4
        .value_kind:     by_value
      - .offset:         84
        .size:           4
        .value_kind:     by_value
      - .offset:         88
        .size:           4
        .value_kind:     by_value
      - .offset:         92
        .size:           4
        .value_kind:     by_value
    .group_segment_fixed_size: 0
    .kernarg_segment_align: 8
    .kernarg_segment_size: 96
    .language:       OpenCL C
    .language_version:
      - 2
      - 0
    .max_flat_workgroup_size: 128
    .name:           _ZL9mul_mat_fI7__half2Li64ELi13ELi2ELb0EEvPKT_PKfPKiPfiiiiiiiiiiiiiiii
    .private_segment_fixed_size: 0
    .sgpr_count:     95
    .sgpr_spill_count: 0
    .symbol:         _ZL9mul_mat_fI7__half2Li64ELi13ELi2ELb0EEvPKT_PKfPKiPfiiiiiiiiiiiiiiii.kd
    .uniform_work_group_size: 1
    .uses_dynamic_stack: false
    .vgpr_count:     124
    .vgpr_spill_count: 0
    .wavefront_size: 64
  - .agpr_count:     16
    .args:
      - .actual_access:  read_only
        .address_space:  global
        .offset:         0
        .size:           8
        .value_kind:     global_buffer
      - .actual_access:  read_only
        .address_space:  global
        .offset:         8
        .size:           8
        .value_kind:     global_buffer
      - .actual_access:  read_only
        .address_space:  global
        .offset:         16
        .size:           8
        .value_kind:     global_buffer
      - .actual_access:  read_only
        .address_space:  global
        .offset:         24
        .size:           8
        .value_kind:     global_buffer
      - .actual_access:  read_only
        .address_space:  global
        .offset:         32
        .size:           8
        .value_kind:     global_buffer
      - .actual_access:  write_only
        .address_space:  global
        .offset:         40
        .size:           8
        .value_kind:     global_buffer
      - .offset:         48
        .size:           4
        .value_kind:     by_value
      - .offset:         52
        .size:           4
        .value_kind:     by_value
      - .offset:         56
        .size:           4
        .value_kind:     by_value
      - .offset:         60
        .size:           4
        .value_kind:     by_value
      - .offset:         64
        .size:           4
        .value_kind:     by_value
      - .offset:         68
        .size:           4
        .value_kind:     by_value
      - .offset:         72
        .size:           4
        .value_kind:     by_value
      - .offset:         76
        .size:           4
        .value_kind:     by_value
      - .offset:         80
        .size:           4
        .value_kind:     by_value
      - .offset:         84
        .size:           4
        .value_kind:     by_value
      - .offset:         88
        .size:           4
        .value_kind:     by_value
      - .offset:         92
        .size:           4
        .value_kind:     by_value
      - .offset:         96
        .size:           4
        .value_kind:     by_value
      - .offset:         100
        .size:           4
        .value_kind:     by_value
      - .offset:         104
        .size:           12
        .value_kind:     by_value
      - .offset:         116
        .size:           12
        .value_kind:     by_value
    .group_segment_fixed_size: 0
    .kernarg_segment_align: 8
    .kernarg_segment_size: 128
    .language:       OpenCL C
    .language_version:
      - 2
      - 0
    .max_flat_workgroup_size: 192
    .name:           _ZL13mul_mat_f_idsI7__half2Li64ELi13ELi3EEvPKT_PKfPKiS7_S7_Pfiiiiiiiiiiiiii15HIP_vector_typeIjLj3EESA_
    .private_segment_fixed_size: 0
    .sgpr_count:     100
    .sgpr_spill_count: 26
    .symbol:         _ZL13mul_mat_f_idsI7__half2Li64ELi13ELi3EEvPKT_PKfPKiS7_S7_Pfiiiiiiiiiiiiii15HIP_vector_typeIjLj3EESA_.kd
    .uniform_work_group_size: 1
    .uses_dynamic_stack: false
    .vgpr_count:     120
    .vgpr_spill_count: 0
    .wavefront_size: 64
  - .agpr_count:     16
    .args:
      - .actual_access:  read_only
        .address_space:  global
        .offset:         0
        .size:           8
        .value_kind:     global_buffer
      - .actual_access:  read_only
        .address_space:  global
        .offset:         8
        .size:           8
        .value_kind:     global_buffer
      - .actual_access:  read_only
        .address_space:  global
        .offset:         16
        .size:           8
        .value_kind:     global_buffer
      - .actual_access:  write_only
        .address_space:  global
        .offset:         24
        .size:           8
        .value_kind:     global_buffer
      - .offset:         32
        .size:           4
        .value_kind:     by_value
      - .offset:         36
        .size:           4
        .value_kind:     by_value
      - .offset:         40
        .size:           4
        .value_kind:     by_value
      - .offset:         44
        .size:           4
        .value_kind:     by_value
      - .offset:         48
        .size:           4
        .value_kind:     by_value
      - .offset:         52
        .size:           4
        .value_kind:     by_value
      - .offset:         56
        .size:           4
        .value_kind:     by_value
      - .offset:         60
        .size:           4
        .value_kind:     by_value
      - .offset:         64
        .size:           4
        .value_kind:     by_value
      - .offset:         68
        .size:           4
        .value_kind:     by_value
      - .offset:         72
        .size:           4
        .value_kind:     by_value
      - .offset:         76
        .size:           4
        .value_kind:     by_value
      - .offset:         80
        .size:           4
        .value_kind:     by_value
      - .offset:         84
        .size:           4
        .value_kind:     by_value
      - .offset:         88
        .size:           4
        .value_kind:     by_value
      - .offset:         92
        .size:           4
        .value_kind:     by_value
      - .offset:         96
        .size:           4
        .value_kind:     hidden_block_count_x
      - .offset:         100
        .size:           4
        .value_kind:     hidden_block_count_y
      - .offset:         104
        .size:           4
        .value_kind:     hidden_block_count_z
      - .offset:         108
        .size:           2
        .value_kind:     hidden_group_size_x
      - .offset:         110
        .size:           2
        .value_kind:     hidden_group_size_y
      - .offset:         112
        .size:           2
        .value_kind:     hidden_group_size_z
      - .offset:         114
        .size:           2
        .value_kind:     hidden_remainder_x
      - .offset:         116
        .size:           2
        .value_kind:     hidden_remainder_y
      - .offset:         118
        .size:           2
        .value_kind:     hidden_remainder_z
      - .offset:         136
        .size:           8
        .value_kind:     hidden_global_offset_x
      - .offset:         144
        .size:           8
        .value_kind:     hidden_global_offset_y
      - .offset:         152
        .size:           8
        .value_kind:     hidden_global_offset_z
      - .offset:         160
        .size:           2
        .value_kind:     hidden_grid_dims
      - .offset:         216
        .size:           4
        .value_kind:     hidden_dynamic_lds_size
    .group_segment_fixed_size: 256
    .kernarg_segment_align: 8
    .kernarg_segment_size: 352
    .language:       OpenCL C
    .language_version:
      - 2
      - 0
    .max_flat_workgroup_size: 192
    .name:           _ZL9mul_mat_fI7__half2Li64ELi13ELi3ELb1EEvPKT_PKfPKiPfiiiiiiiiiiiiiiii
    .private_segment_fixed_size: 0
    .sgpr_count:     100
    .sgpr_spill_count: 36
    .symbol:         _ZL9mul_mat_fI7__half2Li64ELi13ELi3ELb1EEvPKT_PKfPKiPfiiiiiiiiiiiiiiii.kd
    .uniform_work_group_size: 1
    .uses_dynamic_stack: false
    .vgpr_count:     104
    .vgpr_spill_count: 0
    .wavefront_size: 64
  - .agpr_count:     24
    .args:
      - .actual_access:  read_only
        .address_space:  global
        .offset:         0
        .size:           8
        .value_kind:     global_buffer
      - .actual_access:  read_only
        .address_space:  global
        .offset:         8
        .size:           8
        .value_kind:     global_buffer
      - .actual_access:  read_only
        .address_space:  global
        .offset:         16
        .size:           8
        .value_kind:     global_buffer
      - .actual_access:  write_only
        .address_space:  global
        .offset:         24
        .size:           8
        .value_kind:     global_buffer
      - .offset:         32
        .size:           4
        .value_kind:     by_value
      - .offset:         36
        .size:           4
        .value_kind:     by_value
      - .offset:         40
        .size:           4
        .value_kind:     by_value
      - .offset:         44
        .size:           4
        .value_kind:     by_value
      - .offset:         48
        .size:           4
        .value_kind:     by_value
      - .offset:         52
        .size:           4
        .value_kind:     by_value
      - .offset:         56
        .size:           4
        .value_kind:     by_value
      - .offset:         60
        .size:           4
        .value_kind:     by_value
      - .offset:         64
        .size:           4
        .value_kind:     by_value
      - .offset:         68
        .size:           4
        .value_kind:     by_value
      - .offset:         72
        .size:           4
        .value_kind:     by_value
      - .offset:         76
        .size:           4
        .value_kind:     by_value
      - .offset:         80
        .size:           4
        .value_kind:     by_value
      - .offset:         84
        .size:           4
        .value_kind:     by_value
      - .offset:         88
        .size:           4
        .value_kind:     by_value
      - .offset:         92
        .size:           4
        .value_kind:     by_value
    .group_segment_fixed_size: 0
    .kernarg_segment_align: 8
    .kernarg_segment_size: 96
    .language:       OpenCL C
    .language_version:
      - 2
      - 0
    .max_flat_workgroup_size: 192
    .name:           _ZL9mul_mat_fI7__half2Li64ELi13ELi3ELb0EEvPKT_PKfPKiPfiiiiiiiiiiiiiiii
    .private_segment_fixed_size: 0
    .sgpr_count:     95
    .sgpr_spill_count: 0
    .symbol:         _ZL9mul_mat_fI7__half2Li64ELi13ELi3ELb0EEvPKT_PKfPKiPfiiiiiiiiiiiiiiii.kd
    .uniform_work_group_size: 1
    .uses_dynamic_stack: false
    .vgpr_count:     124
    .vgpr_spill_count: 0
    .wavefront_size: 64
  - .agpr_count:     16
    .args:
      - .actual_access:  read_only
        .address_space:  global
        .offset:         0
        .size:           8
        .value_kind:     global_buffer
      - .actual_access:  read_only
        .address_space:  global
        .offset:         8
        .size:           8
        .value_kind:     global_buffer
      - .actual_access:  read_only
        .address_space:  global
        .offset:         16
        .size:           8
        .value_kind:     global_buffer
      - .actual_access:  read_only
        .address_space:  global
        .offset:         24
        .size:           8
        .value_kind:     global_buffer
      - .actual_access:  read_only
        .address_space:  global
        .offset:         32
        .size:           8
        .value_kind:     global_buffer
      - .actual_access:  write_only
        .address_space:  global
        .offset:         40
        .size:           8
        .value_kind:     global_buffer
      - .offset:         48
        .size:           4
        .value_kind:     by_value
      - .offset:         52
        .size:           4
        .value_kind:     by_value
      - .offset:         56
        .size:           4
        .value_kind:     by_value
      - .offset:         60
        .size:           4
        .value_kind:     by_value
      - .offset:         64
        .size:           4
        .value_kind:     by_value
      - .offset:         68
        .size:           4
        .value_kind:     by_value
      - .offset:         72
        .size:           4
        .value_kind:     by_value
      - .offset:         76
        .size:           4
        .value_kind:     by_value
      - .offset:         80
        .size:           4
        .value_kind:     by_value
      - .offset:         84
        .size:           4
        .value_kind:     by_value
      - .offset:         88
        .size:           4
        .value_kind:     by_value
      - .offset:         92
        .size:           4
        .value_kind:     by_value
      - .offset:         96
        .size:           4
        .value_kind:     by_value
      - .offset:         100
        .size:           4
        .value_kind:     by_value
      - .offset:         104
        .size:           12
        .value_kind:     by_value
      - .offset:         116
        .size:           12
        .value_kind:     by_value
    .group_segment_fixed_size: 0
    .kernarg_segment_align: 8
    .kernarg_segment_size: 128
    .language:       OpenCL C
    .language_version:
      - 2
      - 0
    .max_flat_workgroup_size: 256
    .name:           _ZL13mul_mat_f_idsI7__half2Li64ELi13ELi4EEvPKT_PKfPKiS7_S7_Pfiiiiiiiiiiiiii15HIP_vector_typeIjLj3EESA_
    .private_segment_fixed_size: 0
    .sgpr_count:     100
    .sgpr_spill_count: 26
    .symbol:         _ZL13mul_mat_f_idsI7__half2Li64ELi13ELi4EEvPKT_PKfPKiS7_S7_Pfiiiiiiiiiiiiii15HIP_vector_typeIjLj3EESA_.kd
    .uniform_work_group_size: 1
    .uses_dynamic_stack: false
    .vgpr_count:     120
    .vgpr_spill_count: 0
    .wavefront_size: 64
  - .agpr_count:     16
    .args:
      - .actual_access:  read_only
        .address_space:  global
        .offset:         0
        .size:           8
        .value_kind:     global_buffer
      - .actual_access:  read_only
        .address_space:  global
        .offset:         8
        .size:           8
        .value_kind:     global_buffer
      - .actual_access:  read_only
        .address_space:  global
        .offset:         16
        .size:           8
        .value_kind:     global_buffer
      - .actual_access:  write_only
        .address_space:  global
        .offset:         24
        .size:           8
        .value_kind:     global_buffer
      - .offset:         32
        .size:           4
        .value_kind:     by_value
      - .offset:         36
        .size:           4
        .value_kind:     by_value
      - .offset:         40
        .size:           4
        .value_kind:     by_value
      - .offset:         44
        .size:           4
        .value_kind:     by_value
      - .offset:         48
        .size:           4
        .value_kind:     by_value
      - .offset:         52
        .size:           4
        .value_kind:     by_value
      - .offset:         56
        .size:           4
        .value_kind:     by_value
      - .offset:         60
        .size:           4
        .value_kind:     by_value
      - .offset:         64
        .size:           4
        .value_kind:     by_value
      - .offset:         68
        .size:           4
        .value_kind:     by_value
      - .offset:         72
        .size:           4
        .value_kind:     by_value
      - .offset:         76
        .size:           4
        .value_kind:     by_value
      - .offset:         80
        .size:           4
        .value_kind:     by_value
      - .offset:         84
        .size:           4
        .value_kind:     by_value
      - .offset:         88
        .size:           4
        .value_kind:     by_value
      - .offset:         92
        .size:           4
        .value_kind:     by_value
      - .offset:         96
        .size:           4
        .value_kind:     hidden_block_count_x
      - .offset:         100
        .size:           4
        .value_kind:     hidden_block_count_y
      - .offset:         104
        .size:           4
        .value_kind:     hidden_block_count_z
      - .offset:         108
        .size:           2
        .value_kind:     hidden_group_size_x
      - .offset:         110
        .size:           2
        .value_kind:     hidden_group_size_y
      - .offset:         112
        .size:           2
        .value_kind:     hidden_group_size_z
      - .offset:         114
        .size:           2
        .value_kind:     hidden_remainder_x
      - .offset:         116
        .size:           2
        .value_kind:     hidden_remainder_y
      - .offset:         118
        .size:           2
        .value_kind:     hidden_remainder_z
      - .offset:         136
        .size:           8
        .value_kind:     hidden_global_offset_x
      - .offset:         144
        .size:           8
        .value_kind:     hidden_global_offset_y
      - .offset:         152
        .size:           8
        .value_kind:     hidden_global_offset_z
      - .offset:         160
        .size:           2
        .value_kind:     hidden_grid_dims
      - .offset:         216
        .size:           4
        .value_kind:     hidden_dynamic_lds_size
    .group_segment_fixed_size: 256
    .kernarg_segment_align: 8
    .kernarg_segment_size: 352
    .language:       OpenCL C
    .language_version:
      - 2
      - 0
    .max_flat_workgroup_size: 256
    .name:           _ZL9mul_mat_fI7__half2Li64ELi13ELi4ELb1EEvPKT_PKfPKiPfiiiiiiiiiiiiiiii
    .private_segment_fixed_size: 0
    .sgpr_count:     100
    .sgpr_spill_count: 34
    .symbol:         _ZL9mul_mat_fI7__half2Li64ELi13ELi4ELb1EEvPKT_PKfPKiPfiiiiiiiiiiiiiiii.kd
    .uniform_work_group_size: 1
    .uses_dynamic_stack: false
    .vgpr_count:     104
    .vgpr_spill_count: 0
    .wavefront_size: 64
  - .agpr_count:     24
    .args:
      - .actual_access:  read_only
        .address_space:  global
        .offset:         0
        .size:           8
        .value_kind:     global_buffer
      - .actual_access:  read_only
        .address_space:  global
        .offset:         8
        .size:           8
        .value_kind:     global_buffer
      - .actual_access:  read_only
        .address_space:  global
        .offset:         16
        .size:           8
        .value_kind:     global_buffer
      - .actual_access:  write_only
        .address_space:  global
        .offset:         24
        .size:           8
        .value_kind:     global_buffer
      - .offset:         32
        .size:           4
        .value_kind:     by_value
      - .offset:         36
        .size:           4
        .value_kind:     by_value
      - .offset:         40
        .size:           4
        .value_kind:     by_value
      - .offset:         44
        .size:           4
        .value_kind:     by_value
      - .offset:         48
        .size:           4
        .value_kind:     by_value
      - .offset:         52
        .size:           4
        .value_kind:     by_value
      - .offset:         56
        .size:           4
        .value_kind:     by_value
      - .offset:         60
        .size:           4
        .value_kind:     by_value
      - .offset:         64
        .size:           4
        .value_kind:     by_value
      - .offset:         68
        .size:           4
        .value_kind:     by_value
      - .offset:         72
        .size:           4
        .value_kind:     by_value
      - .offset:         76
        .size:           4
        .value_kind:     by_value
      - .offset:         80
        .size:           4
        .value_kind:     by_value
      - .offset:         84
        .size:           4
        .value_kind:     by_value
      - .offset:         88
        .size:           4
        .value_kind:     by_value
      - .offset:         92
        .size:           4
        .value_kind:     by_value
    .group_segment_fixed_size: 0
    .kernarg_segment_align: 8
    .kernarg_segment_size: 96
    .language:       OpenCL C
    .language_version:
      - 2
      - 0
    .max_flat_workgroup_size: 256
    .name:           _ZL9mul_mat_fI7__half2Li64ELi13ELi4ELb0EEvPKT_PKfPKiPfiiiiiiiiiiiiiiii
    .private_segment_fixed_size: 0
    .sgpr_count:     95
    .sgpr_spill_count: 0
    .symbol:         _ZL9mul_mat_fI7__half2Li64ELi13ELi4ELb0EEvPKT_PKfPKiPfiiiiiiiiiiiiiiii.kd
    .uniform_work_group_size: 1
    .uses_dynamic_stack: false
    .vgpr_count:     124
    .vgpr_spill_count: 0
    .wavefront_size: 64
  - .agpr_count:     0
    .args:
      - .actual_access:  read_only
        .address_space:  global
        .offset:         0
        .size:           8
        .value_kind:     global_buffer
      - .actual_access:  read_only
        .address_space:  global
        .offset:         8
        .size:           8
        .value_kind:     global_buffer
      - .actual_access:  read_only
        .address_space:  global
        .offset:         16
        .size:           8
        .value_kind:     global_buffer
      - .actual_access:  read_only
        .address_space:  global
        .offset:         24
        .size:           8
        .value_kind:     global_buffer
      - .actual_access:  read_only
        .address_space:  global
        .offset:         32
        .size:           8
        .value_kind:     global_buffer
      - .actual_access:  write_only
        .address_space:  global
        .offset:         40
        .size:           8
        .value_kind:     global_buffer
      - .offset:         48
        .size:           4
        .value_kind:     by_value
      - .offset:         52
        .size:           4
        .value_kind:     by_value
      - .offset:         56
        .size:           4
        .value_kind:     by_value
      - .offset:         60
        .size:           4
        .value_kind:     by_value
      - .offset:         64
        .size:           4
        .value_kind:     by_value
      - .offset:         68
        .size:           4
        .value_kind:     by_value
      - .offset:         72
        .size:           4
        .value_kind:     by_value
      - .offset:         76
        .size:           4
        .value_kind:     by_value
      - .offset:         80
        .size:           4
        .value_kind:     by_value
      - .offset:         84
        .size:           4
        .value_kind:     by_value
      - .offset:         88
        .size:           4
        .value_kind:     by_value
      - .offset:         92
        .size:           4
        .value_kind:     by_value
      - .offset:         96
        .size:           4
        .value_kind:     by_value
      - .offset:         100
        .size:           4
        .value_kind:     by_value
      - .offset:         104
        .size:           12
        .value_kind:     by_value
      - .offset:         116
        .size:           12
        .value_kind:     by_value
    .group_segment_fixed_size: 0
    .kernarg_segment_align: 8
    .kernarg_segment_size: 128
    .language:       OpenCL C
    .language_version:
      - 2
      - 0
    .max_flat_workgroup_size: 320
    .name:           _ZL13mul_mat_f_idsI7__half2Li64ELi13ELi5EEvPKT_PKfPKiS7_S7_Pfiiiiiiiiiiiiii15HIP_vector_typeIjLj3EESA_
    .private_segment_fixed_size: 0
    .sgpr_count:     100
    .sgpr_spill_count: 26
    .symbol:         _ZL13mul_mat_f_idsI7__half2Li64ELi13ELi5EEvPKT_PKfPKiS7_S7_Pfiiiiiiiiiiiiii15HIP_vector_typeIjLj3EESA_.kd
    .uniform_work_group_size: 1
    .uses_dynamic_stack: false
    .vgpr_count:     120
    .vgpr_spill_count: 0
    .wavefront_size: 64
  - .agpr_count:     0
    .args:
      - .actual_access:  read_only
        .address_space:  global
        .offset:         0
        .size:           8
        .value_kind:     global_buffer
      - .actual_access:  read_only
        .address_space:  global
        .offset:         8
        .size:           8
        .value_kind:     global_buffer
      - .actual_access:  read_only
        .address_space:  global
        .offset:         16
        .size:           8
        .value_kind:     global_buffer
      - .actual_access:  write_only
        .address_space:  global
        .offset:         24
        .size:           8
        .value_kind:     global_buffer
      - .offset:         32
        .size:           4
        .value_kind:     by_value
      - .offset:         36
        .size:           4
        .value_kind:     by_value
      - .offset:         40
        .size:           4
        .value_kind:     by_value
      - .offset:         44
        .size:           4
        .value_kind:     by_value
      - .offset:         48
        .size:           4
        .value_kind:     by_value
      - .offset:         52
        .size:           4
        .value_kind:     by_value
      - .offset:         56
        .size:           4
        .value_kind:     by_value
      - .offset:         60
        .size:           4
        .value_kind:     by_value
      - .offset:         64
        .size:           4
        .value_kind:     by_value
      - .offset:         68
        .size:           4
        .value_kind:     by_value
      - .offset:         72
        .size:           4
        .value_kind:     by_value
      - .offset:         76
        .size:           4
        .value_kind:     by_value
      - .offset:         80
        .size:           4
        .value_kind:     by_value
      - .offset:         84
        .size:           4
        .value_kind:     by_value
      - .offset:         88
        .size:           4
        .value_kind:     by_value
      - .offset:         92
        .size:           4
        .value_kind:     by_value
      - .offset:         96
        .size:           4
        .value_kind:     hidden_block_count_x
      - .offset:         100
        .size:           4
        .value_kind:     hidden_block_count_y
      - .offset:         104
        .size:           4
        .value_kind:     hidden_block_count_z
      - .offset:         108
        .size:           2
        .value_kind:     hidden_group_size_x
      - .offset:         110
        .size:           2
        .value_kind:     hidden_group_size_y
      - .offset:         112
        .size:           2
        .value_kind:     hidden_group_size_z
      - .offset:         114
        .size:           2
        .value_kind:     hidden_remainder_x
      - .offset:         116
        .size:           2
        .value_kind:     hidden_remainder_y
      - .offset:         118
        .size:           2
        .value_kind:     hidden_remainder_z
      - .offset:         136
        .size:           8
        .value_kind:     hidden_global_offset_x
      - .offset:         144
        .size:           8
        .value_kind:     hidden_global_offset_y
      - .offset:         152
        .size:           8
        .value_kind:     hidden_global_offset_z
      - .offset:         160
        .size:           2
        .value_kind:     hidden_grid_dims
      - .offset:         216
        .size:           4
        .value_kind:     hidden_dynamic_lds_size
    .group_segment_fixed_size: 256
    .kernarg_segment_align: 8
    .kernarg_segment_size: 352
    .language:       OpenCL C
    .language_version:
      - 2
      - 0
    .max_flat_workgroup_size: 320
    .name:           _ZL9mul_mat_fI7__half2Li64ELi13ELi5ELb1EEvPKT_PKfPKiPfiiiiiiiiiiiiiiii
    .private_segment_fixed_size: 0
    .sgpr_count:     100
    .sgpr_spill_count: 32
    .symbol:         _ZL9mul_mat_fI7__half2Li64ELi13ELi5ELb1EEvPKT_PKfPKiPfiiiiiiiiiiiiiiii.kd
    .uniform_work_group_size: 1
    .uses_dynamic_stack: false
    .vgpr_count:     105
    .vgpr_spill_count: 0
    .wavefront_size: 64
  - .agpr_count:     0
    .args:
      - .actual_access:  read_only
        .address_space:  global
        .offset:         0
        .size:           8
        .value_kind:     global_buffer
      - .actual_access:  read_only
        .address_space:  global
        .offset:         8
        .size:           8
        .value_kind:     global_buffer
      - .actual_access:  read_only
        .address_space:  global
        .offset:         16
        .size:           8
        .value_kind:     global_buffer
      - .actual_access:  write_only
        .address_space:  global
        .offset:         24
        .size:           8
        .value_kind:     global_buffer
      - .offset:         32
        .size:           4
        .value_kind:     by_value
      - .offset:         36
        .size:           4
        .value_kind:     by_value
      - .offset:         40
        .size:           4
        .value_kind:     by_value
      - .offset:         44
        .size:           4
        .value_kind:     by_value
      - .offset:         48
        .size:           4
        .value_kind:     by_value
      - .offset:         52
        .size:           4
        .value_kind:     by_value
      - .offset:         56
        .size:           4
        .value_kind:     by_value
      - .offset:         60
        .size:           4
        .value_kind:     by_value
      - .offset:         64
        .size:           4
        .value_kind:     by_value
      - .offset:         68
        .size:           4
        .value_kind:     by_value
      - .offset:         72
        .size:           4
        .value_kind:     by_value
      - .offset:         76
        .size:           4
        .value_kind:     by_value
      - .offset:         80
        .size:           4
        .value_kind:     by_value
      - .offset:         84
        .size:           4
        .value_kind:     by_value
      - .offset:         88
        .size:           4
        .value_kind:     by_value
      - .offset:         92
        .size:           4
        .value_kind:     by_value
    .group_segment_fixed_size: 0
    .kernarg_segment_align: 8
    .kernarg_segment_size: 96
    .language:       OpenCL C
    .language_version:
      - 2
      - 0
    .max_flat_workgroup_size: 320
    .name:           _ZL9mul_mat_fI7__half2Li64ELi13ELi5ELb0EEvPKT_PKfPKiPfiiiiiiiiiiiiiiii
    .private_segment_fixed_size: 0
    .sgpr_count:     95
    .sgpr_spill_count: 0
    .symbol:         _ZL9mul_mat_fI7__half2Li64ELi13ELi5ELb0EEvPKT_PKfPKiPfiiiiiiiiiiiiiiii.kd
    .uniform_work_group_size: 1
    .uses_dynamic_stack: false
    .vgpr_count:     100
    .vgpr_spill_count: 0
    .wavefront_size: 64
  - .agpr_count:     0
    .args:
      - .actual_access:  read_only
        .address_space:  global
        .offset:         0
        .size:           8
        .value_kind:     global_buffer
      - .actual_access:  read_only
        .address_space:  global
        .offset:         8
        .size:           8
        .value_kind:     global_buffer
      - .actual_access:  read_only
        .address_space:  global
        .offset:         16
        .size:           8
        .value_kind:     global_buffer
      - .actual_access:  read_only
        .address_space:  global
        .offset:         24
        .size:           8
        .value_kind:     global_buffer
      - .actual_access:  read_only
        .address_space:  global
        .offset:         32
        .size:           8
        .value_kind:     global_buffer
      - .actual_access:  write_only
        .address_space:  global
        .offset:         40
        .size:           8
        .value_kind:     global_buffer
      - .offset:         48
        .size:           4
        .value_kind:     by_value
      - .offset:         52
        .size:           4
        .value_kind:     by_value
      - .offset:         56
        .size:           4
        .value_kind:     by_value
      - .offset:         60
        .size:           4
        .value_kind:     by_value
      - .offset:         64
        .size:           4
        .value_kind:     by_value
      - .offset:         68
        .size:           4
        .value_kind:     by_value
      - .offset:         72
        .size:           4
        .value_kind:     by_value
      - .offset:         76
        .size:           4
        .value_kind:     by_value
      - .offset:         80
        .size:           4
        .value_kind:     by_value
      - .offset:         84
        .size:           4
        .value_kind:     by_value
      - .offset:         88
        .size:           4
        .value_kind:     by_value
      - .offset:         92
        .size:           4
        .value_kind:     by_value
      - .offset:         96
        .size:           4
        .value_kind:     by_value
      - .offset:         100
        .size:           4
        .value_kind:     by_value
      - .offset:         104
        .size:           12
        .value_kind:     by_value
      - .offset:         116
        .size:           12
        .value_kind:     by_value
    .group_segment_fixed_size: 0
    .kernarg_segment_align: 8
    .kernarg_segment_size: 128
    .language:       OpenCL C
    .language_version:
      - 2
      - 0
    .max_flat_workgroup_size: 384
    .name:           _ZL13mul_mat_f_idsI7__half2Li64ELi13ELi6EEvPKT_PKfPKiS7_S7_Pfiiiiiiiiiiiiii15HIP_vector_typeIjLj3EESA_
    .private_segment_fixed_size: 0
    .sgpr_count:     100
    .sgpr_spill_count: 26
    .symbol:         _ZL13mul_mat_f_idsI7__half2Li64ELi13ELi6EEvPKT_PKfPKiS7_S7_Pfiiiiiiiiiiiiii15HIP_vector_typeIjLj3EESA_.kd
    .uniform_work_group_size: 1
    .uses_dynamic_stack: false
    .vgpr_count:     120
    .vgpr_spill_count: 0
    .wavefront_size: 64
  - .agpr_count:     0
    .args:
      - .actual_access:  read_only
        .address_space:  global
        .offset:         0
        .size:           8
        .value_kind:     global_buffer
      - .actual_access:  read_only
        .address_space:  global
        .offset:         8
        .size:           8
        .value_kind:     global_buffer
      - .actual_access:  read_only
        .address_space:  global
        .offset:         16
        .size:           8
        .value_kind:     global_buffer
      - .actual_access:  write_only
        .address_space:  global
        .offset:         24
        .size:           8
        .value_kind:     global_buffer
      - .offset:         32
        .size:           4
        .value_kind:     by_value
      - .offset:         36
        .size:           4
        .value_kind:     by_value
      - .offset:         40
        .size:           4
        .value_kind:     by_value
      - .offset:         44
        .size:           4
        .value_kind:     by_value
      - .offset:         48
        .size:           4
        .value_kind:     by_value
      - .offset:         52
        .size:           4
        .value_kind:     by_value
      - .offset:         56
        .size:           4
        .value_kind:     by_value
      - .offset:         60
        .size:           4
        .value_kind:     by_value
      - .offset:         64
        .size:           4
        .value_kind:     by_value
      - .offset:         68
        .size:           4
        .value_kind:     by_value
      - .offset:         72
        .size:           4
        .value_kind:     by_value
      - .offset:         76
        .size:           4
        .value_kind:     by_value
      - .offset:         80
        .size:           4
        .value_kind:     by_value
      - .offset:         84
        .size:           4
        .value_kind:     by_value
      - .offset:         88
        .size:           4
        .value_kind:     by_value
      - .offset:         92
        .size:           4
        .value_kind:     by_value
      - .offset:         96
        .size:           4
        .value_kind:     hidden_block_count_x
      - .offset:         100
        .size:           4
        .value_kind:     hidden_block_count_y
      - .offset:         104
        .size:           4
        .value_kind:     hidden_block_count_z
      - .offset:         108
        .size:           2
        .value_kind:     hidden_group_size_x
      - .offset:         110
        .size:           2
        .value_kind:     hidden_group_size_y
      - .offset:         112
        .size:           2
        .value_kind:     hidden_group_size_z
      - .offset:         114
        .size:           2
        .value_kind:     hidden_remainder_x
      - .offset:         116
        .size:           2
        .value_kind:     hidden_remainder_y
      - .offset:         118
        .size:           2
        .value_kind:     hidden_remainder_z
      - .offset:         136
        .size:           8
        .value_kind:     hidden_global_offset_x
      - .offset:         144
        .size:           8
        .value_kind:     hidden_global_offset_y
      - .offset:         152
        .size:           8
        .value_kind:     hidden_global_offset_z
      - .offset:         160
        .size:           2
        .value_kind:     hidden_grid_dims
      - .offset:         216
        .size:           4
        .value_kind:     hidden_dynamic_lds_size
    .group_segment_fixed_size: 256
    .kernarg_segment_align: 8
    .kernarg_segment_size: 352
    .language:       OpenCL C
    .language_version:
      - 2
      - 0
    .max_flat_workgroup_size: 384
    .name:           _ZL9mul_mat_fI7__half2Li64ELi13ELi6ELb1EEvPKT_PKfPKiPfiiiiiiiiiiiiiiii
    .private_segment_fixed_size: 0
    .sgpr_count:     100
    .sgpr_spill_count: 32
    .symbol:         _ZL9mul_mat_fI7__half2Li64ELi13ELi6ELb1EEvPKT_PKfPKiPfiiiiiiiiiiiiiiii.kd
    .uniform_work_group_size: 1
    .uses_dynamic_stack: false
    .vgpr_count:     105
    .vgpr_spill_count: 0
    .wavefront_size: 64
  - .agpr_count:     0
    .args:
      - .actual_access:  read_only
        .address_space:  global
        .offset:         0
        .size:           8
        .value_kind:     global_buffer
      - .actual_access:  read_only
        .address_space:  global
        .offset:         8
        .size:           8
        .value_kind:     global_buffer
      - .actual_access:  read_only
        .address_space:  global
        .offset:         16
        .size:           8
        .value_kind:     global_buffer
      - .actual_access:  write_only
        .address_space:  global
        .offset:         24
        .size:           8
        .value_kind:     global_buffer
      - .offset:         32
        .size:           4
        .value_kind:     by_value
      - .offset:         36
        .size:           4
        .value_kind:     by_value
      - .offset:         40
        .size:           4
        .value_kind:     by_value
      - .offset:         44
        .size:           4
        .value_kind:     by_value
      - .offset:         48
        .size:           4
        .value_kind:     by_value
      - .offset:         52
        .size:           4
        .value_kind:     by_value
      - .offset:         56
        .size:           4
        .value_kind:     by_value
      - .offset:         60
        .size:           4
        .value_kind:     by_value
      - .offset:         64
        .size:           4
        .value_kind:     by_value
      - .offset:         68
        .size:           4
        .value_kind:     by_value
      - .offset:         72
        .size:           4
        .value_kind:     by_value
      - .offset:         76
        .size:           4
        .value_kind:     by_value
      - .offset:         80
        .size:           4
        .value_kind:     by_value
      - .offset:         84
        .size:           4
        .value_kind:     by_value
      - .offset:         88
        .size:           4
        .value_kind:     by_value
      - .offset:         92
        .size:           4
        .value_kind:     by_value
    .group_segment_fixed_size: 0
    .kernarg_segment_align: 8
    .kernarg_segment_size: 96
    .language:       OpenCL C
    .language_version:
      - 2
      - 0
    .max_flat_workgroup_size: 384
    .name:           _ZL9mul_mat_fI7__half2Li64ELi13ELi6ELb0EEvPKT_PKfPKiPfiiiiiiiiiiiiiiii
    .private_segment_fixed_size: 0
    .sgpr_count:     95
    .sgpr_spill_count: 0
    .symbol:         _ZL9mul_mat_fI7__half2Li64ELi13ELi6ELb0EEvPKT_PKfPKiPfiiiiiiiiiiiiiiii.kd
    .uniform_work_group_size: 1
    .uses_dynamic_stack: false
    .vgpr_count:     100
    .vgpr_spill_count: 0
    .wavefront_size: 64
  - .agpr_count:     0
    .args:
      - .actual_access:  read_only
        .address_space:  global
        .offset:         0
        .size:           8
        .value_kind:     global_buffer
      - .actual_access:  read_only
        .address_space:  global
        .offset:         8
        .size:           8
        .value_kind:     global_buffer
      - .actual_access:  read_only
        .address_space:  global
        .offset:         16
        .size:           8
        .value_kind:     global_buffer
      - .actual_access:  read_only
        .address_space:  global
        .offset:         24
        .size:           8
        .value_kind:     global_buffer
      - .actual_access:  read_only
        .address_space:  global
        .offset:         32
        .size:           8
        .value_kind:     global_buffer
      - .actual_access:  write_only
        .address_space:  global
        .offset:         40
        .size:           8
        .value_kind:     global_buffer
      - .offset:         48
        .size:           4
        .value_kind:     by_value
      - .offset:         52
        .size:           4
        .value_kind:     by_value
      - .offset:         56
        .size:           4
        .value_kind:     by_value
      - .offset:         60
        .size:           4
        .value_kind:     by_value
      - .offset:         64
        .size:           4
        .value_kind:     by_value
      - .offset:         68
        .size:           4
        .value_kind:     by_value
      - .offset:         72
        .size:           4
        .value_kind:     by_value
      - .offset:         76
        .size:           4
        .value_kind:     by_value
      - .offset:         80
        .size:           4
        .value_kind:     by_value
      - .offset:         84
        .size:           4
        .value_kind:     by_value
      - .offset:         88
        .size:           4
        .value_kind:     by_value
      - .offset:         92
        .size:           4
        .value_kind:     by_value
      - .offset:         96
        .size:           4
        .value_kind:     by_value
      - .offset:         100
        .size:           4
        .value_kind:     by_value
      - .offset:         104
        .size:           12
        .value_kind:     by_value
      - .offset:         116
        .size:           12
        .value_kind:     by_value
    .group_segment_fixed_size: 0
    .kernarg_segment_align: 8
    .kernarg_segment_size: 128
    .language:       OpenCL C
    .language_version:
      - 2
      - 0
    .max_flat_workgroup_size: 448
    .name:           _ZL13mul_mat_f_idsI7__half2Li64ELi13ELi7EEvPKT_PKfPKiS7_S7_Pfiiiiiiiiiiiiii15HIP_vector_typeIjLj3EESA_
    .private_segment_fixed_size: 0
    .sgpr_count:     100
    .sgpr_spill_count: 26
    .symbol:         _ZL13mul_mat_f_idsI7__half2Li64ELi13ELi7EEvPKT_PKfPKiS7_S7_Pfiiiiiiiiiiiiii15HIP_vector_typeIjLj3EESA_.kd
    .uniform_work_group_size: 1
    .uses_dynamic_stack: false
    .vgpr_count:     120
    .vgpr_spill_count: 0
    .wavefront_size: 64
  - .agpr_count:     0
    .args:
      - .actual_access:  read_only
        .address_space:  global
        .offset:         0
        .size:           8
        .value_kind:     global_buffer
      - .actual_access:  read_only
        .address_space:  global
        .offset:         8
        .size:           8
        .value_kind:     global_buffer
      - .actual_access:  read_only
        .address_space:  global
        .offset:         16
        .size:           8
        .value_kind:     global_buffer
      - .actual_access:  write_only
        .address_space:  global
        .offset:         24
        .size:           8
        .value_kind:     global_buffer
      - .offset:         32
        .size:           4
        .value_kind:     by_value
      - .offset:         36
        .size:           4
        .value_kind:     by_value
      - .offset:         40
        .size:           4
        .value_kind:     by_value
      - .offset:         44
        .size:           4
        .value_kind:     by_value
      - .offset:         48
        .size:           4
        .value_kind:     by_value
      - .offset:         52
        .size:           4
        .value_kind:     by_value
      - .offset:         56
        .size:           4
        .value_kind:     by_value
      - .offset:         60
        .size:           4
        .value_kind:     by_value
      - .offset:         64
        .size:           4
        .value_kind:     by_value
      - .offset:         68
        .size:           4
        .value_kind:     by_value
      - .offset:         72
        .size:           4
        .value_kind:     by_value
      - .offset:         76
        .size:           4
        .value_kind:     by_value
      - .offset:         80
        .size:           4
        .value_kind:     by_value
      - .offset:         84
        .size:           4
        .value_kind:     by_value
      - .offset:         88
        .size:           4
        .value_kind:     by_value
      - .offset:         92
        .size:           4
        .value_kind:     by_value
      - .offset:         96
        .size:           4
        .value_kind:     hidden_block_count_x
      - .offset:         100
        .size:           4
        .value_kind:     hidden_block_count_y
      - .offset:         104
        .size:           4
        .value_kind:     hidden_block_count_z
      - .offset:         108
        .size:           2
        .value_kind:     hidden_group_size_x
      - .offset:         110
        .size:           2
        .value_kind:     hidden_group_size_y
      - .offset:         112
        .size:           2
        .value_kind:     hidden_group_size_z
      - .offset:         114
        .size:           2
        .value_kind:     hidden_remainder_x
      - .offset:         116
        .size:           2
        .value_kind:     hidden_remainder_y
      - .offset:         118
        .size:           2
        .value_kind:     hidden_remainder_z
      - .offset:         136
        .size:           8
        .value_kind:     hidden_global_offset_x
      - .offset:         144
        .size:           8
        .value_kind:     hidden_global_offset_y
      - .offset:         152
        .size:           8
        .value_kind:     hidden_global_offset_z
      - .offset:         160
        .size:           2
        .value_kind:     hidden_grid_dims
      - .offset:         216
        .size:           4
        .value_kind:     hidden_dynamic_lds_size
    .group_segment_fixed_size: 256
    .kernarg_segment_align: 8
    .kernarg_segment_size: 352
    .language:       OpenCL C
    .language_version:
      - 2
      - 0
    .max_flat_workgroup_size: 448
    .name:           _ZL9mul_mat_fI7__half2Li64ELi13ELi7ELb1EEvPKT_PKfPKiPfiiiiiiiiiiiiiiii
    .private_segment_fixed_size: 0
    .sgpr_count:     100
    .sgpr_spill_count: 30
    .symbol:         _ZL9mul_mat_fI7__half2Li64ELi13ELi7ELb1EEvPKT_PKfPKiPfiiiiiiiiiiiiiiii.kd
    .uniform_work_group_size: 1
    .uses_dynamic_stack: false
    .vgpr_count:     104
    .vgpr_spill_count: 0
    .wavefront_size: 64
  - .agpr_count:     0
    .args:
      - .actual_access:  read_only
        .address_space:  global
        .offset:         0
        .size:           8
        .value_kind:     global_buffer
      - .actual_access:  read_only
        .address_space:  global
        .offset:         8
        .size:           8
        .value_kind:     global_buffer
      - .actual_access:  read_only
        .address_space:  global
        .offset:         16
        .size:           8
        .value_kind:     global_buffer
      - .actual_access:  write_only
        .address_space:  global
        .offset:         24
        .size:           8
        .value_kind:     global_buffer
      - .offset:         32
        .size:           4
        .value_kind:     by_value
      - .offset:         36
        .size:           4
        .value_kind:     by_value
      - .offset:         40
        .size:           4
        .value_kind:     by_value
      - .offset:         44
        .size:           4
        .value_kind:     by_value
      - .offset:         48
        .size:           4
        .value_kind:     by_value
      - .offset:         52
        .size:           4
        .value_kind:     by_value
      - .offset:         56
        .size:           4
        .value_kind:     by_value
      - .offset:         60
        .size:           4
        .value_kind:     by_value
      - .offset:         64
        .size:           4
        .value_kind:     by_value
      - .offset:         68
        .size:           4
        .value_kind:     by_value
      - .offset:         72
        .size:           4
        .value_kind:     by_value
      - .offset:         76
        .size:           4
        .value_kind:     by_value
      - .offset:         80
        .size:           4
        .value_kind:     by_value
      - .offset:         84
        .size:           4
        .value_kind:     by_value
      - .offset:         88
        .size:           4
        .value_kind:     by_value
      - .offset:         92
        .size:           4
        .value_kind:     by_value
    .group_segment_fixed_size: 0
    .kernarg_segment_align: 8
    .kernarg_segment_size: 96
    .language:       OpenCL C
    .language_version:
      - 2
      - 0
    .max_flat_workgroup_size: 448
    .name:           _ZL9mul_mat_fI7__half2Li64ELi13ELi7ELb0EEvPKT_PKfPKiPfiiiiiiiiiiiiiiii
    .private_segment_fixed_size: 0
    .sgpr_count:     95
    .sgpr_spill_count: 0
    .symbol:         _ZL9mul_mat_fI7__half2Li64ELi13ELi7ELb0EEvPKT_PKfPKiPfiiiiiiiiiiiiiiii.kd
    .uniform_work_group_size: 1
    .uses_dynamic_stack: false
    .vgpr_count:     100
    .vgpr_spill_count: 0
    .wavefront_size: 64
  - .agpr_count:     0
    .args:
      - .actual_access:  read_only
        .address_space:  global
        .offset:         0
        .size:           8
        .value_kind:     global_buffer
      - .actual_access:  read_only
        .address_space:  global
        .offset:         8
        .size:           8
        .value_kind:     global_buffer
      - .actual_access:  read_only
        .address_space:  global
        .offset:         16
        .size:           8
        .value_kind:     global_buffer
      - .actual_access:  read_only
        .address_space:  global
        .offset:         24
        .size:           8
        .value_kind:     global_buffer
      - .actual_access:  read_only
        .address_space:  global
        .offset:         32
        .size:           8
        .value_kind:     global_buffer
      - .actual_access:  write_only
        .address_space:  global
        .offset:         40
        .size:           8
        .value_kind:     global_buffer
      - .offset:         48
        .size:           4
        .value_kind:     by_value
      - .offset:         52
        .size:           4
        .value_kind:     by_value
      - .offset:         56
        .size:           4
        .value_kind:     by_value
      - .offset:         60
        .size:           4
        .value_kind:     by_value
      - .offset:         64
        .size:           4
        .value_kind:     by_value
      - .offset:         68
        .size:           4
        .value_kind:     by_value
      - .offset:         72
        .size:           4
        .value_kind:     by_value
      - .offset:         76
        .size:           4
        .value_kind:     by_value
      - .offset:         80
        .size:           4
        .value_kind:     by_value
      - .offset:         84
        .size:           4
        .value_kind:     by_value
      - .offset:         88
        .size:           4
        .value_kind:     by_value
      - .offset:         92
        .size:           4
        .value_kind:     by_value
      - .offset:         96
        .size:           4
        .value_kind:     by_value
      - .offset:         100
        .size:           4
        .value_kind:     by_value
      - .offset:         104
        .size:           12
        .value_kind:     by_value
      - .offset:         116
        .size:           12
        .value_kind:     by_value
    .group_segment_fixed_size: 0
    .kernarg_segment_align: 8
    .kernarg_segment_size: 128
    .language:       OpenCL C
    .language_version:
      - 2
      - 0
    .max_flat_workgroup_size: 512
    .name:           _ZL13mul_mat_f_idsI7__half2Li64ELi13ELi8EEvPKT_PKfPKiS7_S7_Pfiiiiiiiiiiiiii15HIP_vector_typeIjLj3EESA_
    .private_segment_fixed_size: 0
    .sgpr_count:     100
    .sgpr_spill_count: 26
    .symbol:         _ZL13mul_mat_f_idsI7__half2Li64ELi13ELi8EEvPKT_PKfPKiS7_S7_Pfiiiiiiiiiiiiii15HIP_vector_typeIjLj3EESA_.kd
    .uniform_work_group_size: 1
    .uses_dynamic_stack: false
    .vgpr_count:     120
    .vgpr_spill_count: 0
    .wavefront_size: 64
  - .agpr_count:     0
    .args:
      - .actual_access:  read_only
        .address_space:  global
        .offset:         0
        .size:           8
        .value_kind:     global_buffer
      - .actual_access:  read_only
        .address_space:  global
        .offset:         8
        .size:           8
        .value_kind:     global_buffer
      - .actual_access:  read_only
        .address_space:  global
        .offset:         16
        .size:           8
        .value_kind:     global_buffer
      - .actual_access:  write_only
        .address_space:  global
        .offset:         24
        .size:           8
        .value_kind:     global_buffer
      - .offset:         32
        .size:           4
        .value_kind:     by_value
      - .offset:         36
        .size:           4
        .value_kind:     by_value
      - .offset:         40
        .size:           4
        .value_kind:     by_value
      - .offset:         44
        .size:           4
        .value_kind:     by_value
      - .offset:         48
        .size:           4
        .value_kind:     by_value
      - .offset:         52
        .size:           4
        .value_kind:     by_value
      - .offset:         56
        .size:           4
        .value_kind:     by_value
      - .offset:         60
        .size:           4
        .value_kind:     by_value
      - .offset:         64
        .size:           4
        .value_kind:     by_value
      - .offset:         68
        .size:           4
        .value_kind:     by_value
      - .offset:         72
        .size:           4
        .value_kind:     by_value
      - .offset:         76
        .size:           4
        .value_kind:     by_value
      - .offset:         80
        .size:           4
        .value_kind:     by_value
      - .offset:         84
        .size:           4
        .value_kind:     by_value
      - .offset:         88
        .size:           4
        .value_kind:     by_value
      - .offset:         92
        .size:           4
        .value_kind:     by_value
      - .offset:         96
        .size:           4
        .value_kind:     hidden_block_count_x
      - .offset:         100
        .size:           4
        .value_kind:     hidden_block_count_y
      - .offset:         104
        .size:           4
        .value_kind:     hidden_block_count_z
      - .offset:         108
        .size:           2
        .value_kind:     hidden_group_size_x
      - .offset:         110
        .size:           2
        .value_kind:     hidden_group_size_y
      - .offset:         112
        .size:           2
        .value_kind:     hidden_group_size_z
      - .offset:         114
        .size:           2
        .value_kind:     hidden_remainder_x
      - .offset:         116
        .size:           2
        .value_kind:     hidden_remainder_y
      - .offset:         118
        .size:           2
        .value_kind:     hidden_remainder_z
      - .offset:         136
        .size:           8
        .value_kind:     hidden_global_offset_x
      - .offset:         144
        .size:           8
        .value_kind:     hidden_global_offset_y
      - .offset:         152
        .size:           8
        .value_kind:     hidden_global_offset_z
      - .offset:         160
        .size:           2
        .value_kind:     hidden_grid_dims
      - .offset:         216
        .size:           4
        .value_kind:     hidden_dynamic_lds_size
    .group_segment_fixed_size: 256
    .kernarg_segment_align: 8
    .kernarg_segment_size: 352
    .language:       OpenCL C
    .language_version:
      - 2
      - 0
    .max_flat_workgroup_size: 512
    .name:           _ZL9mul_mat_fI7__half2Li64ELi13ELi8ELb1EEvPKT_PKfPKiPfiiiiiiiiiiiiiiii
    .private_segment_fixed_size: 0
    .sgpr_count:     100
    .sgpr_spill_count: 30
    .symbol:         _ZL9mul_mat_fI7__half2Li64ELi13ELi8ELb1EEvPKT_PKfPKiPfiiiiiiiiiiiiiiii.kd
    .uniform_work_group_size: 1
    .uses_dynamic_stack: false
    .vgpr_count:     104
    .vgpr_spill_count: 0
    .wavefront_size: 64
  - .agpr_count:     0
    .args:
      - .actual_access:  read_only
        .address_space:  global
        .offset:         0
        .size:           8
        .value_kind:     global_buffer
      - .actual_access:  read_only
        .address_space:  global
        .offset:         8
        .size:           8
        .value_kind:     global_buffer
      - .actual_access:  read_only
        .address_space:  global
        .offset:         16
        .size:           8
        .value_kind:     global_buffer
      - .actual_access:  write_only
        .address_space:  global
        .offset:         24
        .size:           8
        .value_kind:     global_buffer
      - .offset:         32
        .size:           4
        .value_kind:     by_value
      - .offset:         36
        .size:           4
        .value_kind:     by_value
      - .offset:         40
        .size:           4
        .value_kind:     by_value
      - .offset:         44
        .size:           4
        .value_kind:     by_value
      - .offset:         48
        .size:           4
        .value_kind:     by_value
      - .offset:         52
        .size:           4
        .value_kind:     by_value
      - .offset:         56
        .size:           4
        .value_kind:     by_value
      - .offset:         60
        .size:           4
        .value_kind:     by_value
      - .offset:         64
        .size:           4
        .value_kind:     by_value
      - .offset:         68
        .size:           4
        .value_kind:     by_value
      - .offset:         72
        .size:           4
        .value_kind:     by_value
      - .offset:         76
        .size:           4
        .value_kind:     by_value
      - .offset:         80
        .size:           4
        .value_kind:     by_value
      - .offset:         84
        .size:           4
        .value_kind:     by_value
      - .offset:         88
        .size:           4
        .value_kind:     by_value
      - .offset:         92
        .size:           4
        .value_kind:     by_value
    .group_segment_fixed_size: 0
    .kernarg_segment_align: 8
    .kernarg_segment_size: 96
    .language:       OpenCL C
    .language_version:
      - 2
      - 0
    .max_flat_workgroup_size: 512
    .name:           _ZL9mul_mat_fI7__half2Li64ELi13ELi8ELb0EEvPKT_PKfPKiPfiiiiiiiiiiiiiiii
    .private_segment_fixed_size: 0
    .sgpr_count:     95
    .sgpr_spill_count: 0
    .symbol:         _ZL9mul_mat_fI7__half2Li64ELi13ELi8ELb0EEvPKT_PKfPKiPfiiiiiiiiiiiiiiii.kd
    .uniform_work_group_size: 1
    .uses_dynamic_stack: false
    .vgpr_count:     100
    .vgpr_spill_count: 0
    .wavefront_size: 64
  - .agpr_count:     16
    .args:
      - .actual_access:  read_only
        .address_space:  global
        .offset:         0
        .size:           8
        .value_kind:     global_buffer
      - .actual_access:  read_only
        .address_space:  global
        .offset:         8
        .size:           8
        .value_kind:     global_buffer
      - .actual_access:  read_only
        .address_space:  global
        .offset:         16
        .size:           8
        .value_kind:     global_buffer
      - .actual_access:  read_only
        .address_space:  global
        .offset:         24
        .size:           8
        .value_kind:     global_buffer
      - .actual_access:  read_only
        .address_space:  global
        .offset:         32
        .size:           8
        .value_kind:     global_buffer
      - .actual_access:  write_only
        .address_space:  global
        .offset:         40
        .size:           8
        .value_kind:     global_buffer
      - .offset:         48
        .size:           4
        .value_kind:     by_value
      - .offset:         52
        .size:           4
        .value_kind:     by_value
      - .offset:         56
        .size:           4
        .value_kind:     by_value
      - .offset:         60
        .size:           4
        .value_kind:     by_value
      - .offset:         64
        .size:           4
        .value_kind:     by_value
      - .offset:         68
        .size:           4
        .value_kind:     by_value
      - .offset:         72
        .size:           4
        .value_kind:     by_value
      - .offset:         76
        .size:           4
        .value_kind:     by_value
      - .offset:         80
        .size:           4
        .value_kind:     by_value
      - .offset:         84
        .size:           4
        .value_kind:     by_value
      - .offset:         88
        .size:           4
        .value_kind:     by_value
      - .offset:         92
        .size:           4
        .value_kind:     by_value
      - .offset:         96
        .size:           4
        .value_kind:     by_value
      - .offset:         100
        .size:           4
        .value_kind:     by_value
      - .offset:         104
        .size:           12
        .value_kind:     by_value
      - .offset:         116
        .size:           12
        .value_kind:     by_value
    .group_segment_fixed_size: 0
    .kernarg_segment_align: 8
    .kernarg_segment_size: 128
    .language:       OpenCL C
    .language_version:
      - 2
      - 0
    .max_flat_workgroup_size: 64
    .name:           _ZL13mul_mat_f_idsI15__hip_bfloat162Li64ELi13ELi1EEvPKT_PKfPKiS7_S7_Pfiiiiiiiiiiiiii15HIP_vector_typeIjLj3EESA_
    .private_segment_fixed_size: 0
    .sgpr_count:     100
    .sgpr_spill_count: 30
    .symbol:         _ZL13mul_mat_f_idsI15__hip_bfloat162Li64ELi13ELi1EEvPKT_PKfPKiS7_S7_Pfiiiiiiiiiiiiii15HIP_vector_typeIjLj3EESA_.kd
    .uniform_work_group_size: 1
    .uses_dynamic_stack: false
    .vgpr_count:     136
    .vgpr_spill_count: 0
    .wavefront_size: 64
  - .agpr_count:     20
    .args:
      - .actual_access:  read_only
        .address_space:  global
        .offset:         0
        .size:           8
        .value_kind:     global_buffer
      - .actual_access:  read_only
        .address_space:  global
        .offset:         8
        .size:           8
        .value_kind:     global_buffer
      - .actual_access:  read_only
        .address_space:  global
        .offset:         16
        .size:           8
        .value_kind:     global_buffer
      - .actual_access:  write_only
        .address_space:  global
        .offset:         24
        .size:           8
        .value_kind:     global_buffer
      - .offset:         32
        .size:           4
        .value_kind:     by_value
      - .offset:         36
        .size:           4
        .value_kind:     by_value
      - .offset:         40
        .size:           4
        .value_kind:     by_value
      - .offset:         44
        .size:           4
        .value_kind:     by_value
      - .offset:         48
        .size:           4
        .value_kind:     by_value
      - .offset:         52
        .size:           4
        .value_kind:     by_value
      - .offset:         56
        .size:           4
        .value_kind:     by_value
      - .offset:         60
        .size:           4
        .value_kind:     by_value
      - .offset:         64
        .size:           4
        .value_kind:     by_value
      - .offset:         68
        .size:           4
        .value_kind:     by_value
      - .offset:         72
        .size:           4
        .value_kind:     by_value
      - .offset:         76
        .size:           4
        .value_kind:     by_value
      - .offset:         80
        .size:           4
        .value_kind:     by_value
      - .offset:         84
        .size:           4
        .value_kind:     by_value
      - .offset:         88
        .size:           4
        .value_kind:     by_value
      - .offset:         92
        .size:           4
        .value_kind:     by_value
      - .offset:         96
        .size:           4
        .value_kind:     hidden_block_count_x
      - .offset:         100
        .size:           4
        .value_kind:     hidden_block_count_y
      - .offset:         104
        .size:           4
        .value_kind:     hidden_block_count_z
      - .offset:         108
        .size:           2
        .value_kind:     hidden_group_size_x
      - .offset:         110
        .size:           2
        .value_kind:     hidden_group_size_y
      - .offset:         112
        .size:           2
        .value_kind:     hidden_group_size_z
      - .offset:         114
        .size:           2
        .value_kind:     hidden_remainder_x
      - .offset:         116
        .size:           2
        .value_kind:     hidden_remainder_y
      - .offset:         118
        .size:           2
        .value_kind:     hidden_remainder_z
      - .offset:         136
        .size:           8
        .value_kind:     hidden_global_offset_x
      - .offset:         144
        .size:           8
        .value_kind:     hidden_global_offset_y
      - .offset:         152
        .size:           8
        .value_kind:     hidden_global_offset_z
      - .offset:         160
        .size:           2
        .value_kind:     hidden_grid_dims
      - .offset:         216
        .size:           4
        .value_kind:     hidden_dynamic_lds_size
    .group_segment_fixed_size: 256
    .kernarg_segment_align: 8
    .kernarg_segment_size: 352
    .language:       OpenCL C
    .language_version:
      - 2
      - 0
    .max_flat_workgroup_size: 64
    .name:           _ZL9mul_mat_fI15__hip_bfloat162Li64ELi13ELi1ELb1EEvPKT_PKfPKiPfiiiiiiiiiiiiiiii
    .private_segment_fixed_size: 0
    .sgpr_count:     100
    .sgpr_spill_count: 57
    .symbol:         _ZL9mul_mat_fI15__hip_bfloat162Li64ELi13ELi1ELb1EEvPKT_PKfPKiPfiiiiiiiiiiiiiiii.kd
    .uniform_work_group_size: 1
    .uses_dynamic_stack: false
    .vgpr_count:     136
    .vgpr_spill_count: 0
    .wavefront_size: 64
  - .agpr_count:     24
    .args:
      - .actual_access:  read_only
        .address_space:  global
        .offset:         0
        .size:           8
        .value_kind:     global_buffer
      - .actual_access:  read_only
        .address_space:  global
        .offset:         8
        .size:           8
        .value_kind:     global_buffer
      - .actual_access:  read_only
        .address_space:  global
        .offset:         16
        .size:           8
        .value_kind:     global_buffer
      - .actual_access:  write_only
        .address_space:  global
        .offset:         24
        .size:           8
        .value_kind:     global_buffer
      - .offset:         32
        .size:           4
        .value_kind:     by_value
      - .offset:         36
        .size:           4
        .value_kind:     by_value
      - .offset:         40
        .size:           4
        .value_kind:     by_value
      - .offset:         44
        .size:           4
        .value_kind:     by_value
      - .offset:         48
        .size:           4
        .value_kind:     by_value
      - .offset:         52
        .size:           4
        .value_kind:     by_value
      - .offset:         56
        .size:           4
        .value_kind:     by_value
      - .offset:         60
        .size:           4
        .value_kind:     by_value
      - .offset:         64
        .size:           4
        .value_kind:     by_value
      - .offset:         68
        .size:           4
        .value_kind:     by_value
      - .offset:         72
        .size:           4
        .value_kind:     by_value
      - .offset:         76
        .size:           4
        .value_kind:     by_value
      - .offset:         80
        .size:           4
        .value_kind:     by_value
      - .offset:         84
        .size:           4
        .value_kind:     by_value
      - .offset:         88
        .size:           4
        .value_kind:     by_value
      - .offset:         92
        .size:           4
        .value_kind:     by_value
    .group_segment_fixed_size: 0
    .kernarg_segment_align: 8
    .kernarg_segment_size: 96
    .language:       OpenCL C
    .language_version:
      - 2
      - 0
    .max_flat_workgroup_size: 64
    .name:           _ZL9mul_mat_fI15__hip_bfloat162Li64ELi13ELi1ELb0EEvPKT_PKfPKiPfiiiiiiiiiiiiiiii
    .private_segment_fixed_size: 0
    .sgpr_count:     100
    .sgpr_spill_count: 2
    .symbol:         _ZL9mul_mat_fI15__hip_bfloat162Li64ELi13ELi1ELb0EEvPKT_PKfPKiPfiiiiiiiiiiiiiiii.kd
    .uniform_work_group_size: 1
    .uses_dynamic_stack: false
    .vgpr_count:     128
    .vgpr_spill_count: 0
    .wavefront_size: 64
  - .agpr_count:     16
    .args:
      - .actual_access:  read_only
        .address_space:  global
        .offset:         0
        .size:           8
        .value_kind:     global_buffer
      - .actual_access:  read_only
        .address_space:  global
        .offset:         8
        .size:           8
        .value_kind:     global_buffer
      - .actual_access:  read_only
        .address_space:  global
        .offset:         16
        .size:           8
        .value_kind:     global_buffer
      - .actual_access:  read_only
        .address_space:  global
        .offset:         24
        .size:           8
        .value_kind:     global_buffer
      - .actual_access:  read_only
        .address_space:  global
        .offset:         32
        .size:           8
        .value_kind:     global_buffer
      - .actual_access:  write_only
        .address_space:  global
        .offset:         40
        .size:           8
        .value_kind:     global_buffer
      - .offset:         48
        .size:           4
        .value_kind:     by_value
      - .offset:         52
        .size:           4
        .value_kind:     by_value
      - .offset:         56
        .size:           4
        .value_kind:     by_value
      - .offset:         60
        .size:           4
        .value_kind:     by_value
      - .offset:         64
        .size:           4
        .value_kind:     by_value
      - .offset:         68
        .size:           4
        .value_kind:     by_value
      - .offset:         72
        .size:           4
        .value_kind:     by_value
      - .offset:         76
        .size:           4
        .value_kind:     by_value
      - .offset:         80
        .size:           4
        .value_kind:     by_value
      - .offset:         84
        .size:           4
        .value_kind:     by_value
      - .offset:         88
        .size:           4
        .value_kind:     by_value
      - .offset:         92
        .size:           4
        .value_kind:     by_value
      - .offset:         96
        .size:           4
        .value_kind:     by_value
      - .offset:         100
        .size:           4
        .value_kind:     by_value
      - .offset:         104
        .size:           12
        .value_kind:     by_value
      - .offset:         116
        .size:           12
        .value_kind:     by_value
    .group_segment_fixed_size: 0
    .kernarg_segment_align: 8
    .kernarg_segment_size: 128
    .language:       OpenCL C
    .language_version:
      - 2
      - 0
    .max_flat_workgroup_size: 128
    .name:           _ZL13mul_mat_f_idsI15__hip_bfloat162Li64ELi13ELi2EEvPKT_PKfPKiS7_S7_Pfiiiiiiiiiiiiii15HIP_vector_typeIjLj3EESA_
    .private_segment_fixed_size: 0
    .sgpr_count:     100
    .sgpr_spill_count: 30
    .symbol:         _ZL13mul_mat_f_idsI15__hip_bfloat162Li64ELi13ELi2EEvPKT_PKfPKiS7_S7_Pfiiiiiiiiiiiiii15HIP_vector_typeIjLj3EESA_.kd
    .uniform_work_group_size: 1
    .uses_dynamic_stack: false
    .vgpr_count:     136
    .vgpr_spill_count: 0
    .wavefront_size: 64
  - .agpr_count:     20
    .args:
      - .actual_access:  read_only
        .address_space:  global
        .offset:         0
        .size:           8
        .value_kind:     global_buffer
      - .actual_access:  read_only
        .address_space:  global
        .offset:         8
        .size:           8
        .value_kind:     global_buffer
      - .actual_access:  read_only
        .address_space:  global
        .offset:         16
        .size:           8
        .value_kind:     global_buffer
      - .actual_access:  write_only
        .address_space:  global
        .offset:         24
        .size:           8
        .value_kind:     global_buffer
      - .offset:         32
        .size:           4
        .value_kind:     by_value
      - .offset:         36
        .size:           4
        .value_kind:     by_value
      - .offset:         40
        .size:           4
        .value_kind:     by_value
      - .offset:         44
        .size:           4
        .value_kind:     by_value
      - .offset:         48
        .size:           4
        .value_kind:     by_value
      - .offset:         52
        .size:           4
        .value_kind:     by_value
      - .offset:         56
        .size:           4
        .value_kind:     by_value
      - .offset:         60
        .size:           4
        .value_kind:     by_value
      - .offset:         64
        .size:           4
        .value_kind:     by_value
      - .offset:         68
        .size:           4
        .value_kind:     by_value
      - .offset:         72
        .size:           4
        .value_kind:     by_value
      - .offset:         76
        .size:           4
        .value_kind:     by_value
      - .offset:         80
        .size:           4
        .value_kind:     by_value
      - .offset:         84
        .size:           4
        .value_kind:     by_value
      - .offset:         88
        .size:           4
        .value_kind:     by_value
      - .offset:         92
        .size:           4
        .value_kind:     by_value
      - .offset:         96
        .size:           4
        .value_kind:     hidden_block_count_x
      - .offset:         100
        .size:           4
        .value_kind:     hidden_block_count_y
      - .offset:         104
        .size:           4
        .value_kind:     hidden_block_count_z
      - .offset:         108
        .size:           2
        .value_kind:     hidden_group_size_x
      - .offset:         110
        .size:           2
        .value_kind:     hidden_group_size_y
      - .offset:         112
        .size:           2
        .value_kind:     hidden_group_size_z
      - .offset:         114
        .size:           2
        .value_kind:     hidden_remainder_x
      - .offset:         116
        .size:           2
        .value_kind:     hidden_remainder_y
      - .offset:         118
        .size:           2
        .value_kind:     hidden_remainder_z
      - .offset:         136
        .size:           8
        .value_kind:     hidden_global_offset_x
      - .offset:         144
        .size:           8
        .value_kind:     hidden_global_offset_y
      - .offset:         152
        .size:           8
        .value_kind:     hidden_global_offset_z
      - .offset:         160
        .size:           2
        .value_kind:     hidden_grid_dims
      - .offset:         216
        .size:           4
        .value_kind:     hidden_dynamic_lds_size
    .group_segment_fixed_size: 256
    .kernarg_segment_align: 8
    .kernarg_segment_size: 352
    .language:       OpenCL C
    .language_version:
      - 2
      - 0
    .max_flat_workgroup_size: 128
    .name:           _ZL9mul_mat_fI15__hip_bfloat162Li64ELi13ELi2ELb1EEvPKT_PKfPKiPfiiiiiiiiiiiiiiii
    .private_segment_fixed_size: 0
    .sgpr_count:     100
    .sgpr_spill_count: 45
    .symbol:         _ZL9mul_mat_fI15__hip_bfloat162Li64ELi13ELi2ELb1EEvPKT_PKfPKiPfiiiiiiiiiiiiiiii.kd
    .uniform_work_group_size: 1
    .uses_dynamic_stack: false
    .vgpr_count:     128
    .vgpr_spill_count: 0
    .wavefront_size: 64
  - .agpr_count:     24
    .args:
      - .actual_access:  read_only
        .address_space:  global
        .offset:         0
        .size:           8
        .value_kind:     global_buffer
      - .actual_access:  read_only
        .address_space:  global
        .offset:         8
        .size:           8
        .value_kind:     global_buffer
      - .actual_access:  read_only
        .address_space:  global
        .offset:         16
        .size:           8
        .value_kind:     global_buffer
      - .actual_access:  write_only
        .address_space:  global
        .offset:         24
        .size:           8
        .value_kind:     global_buffer
      - .offset:         32
        .size:           4
        .value_kind:     by_value
      - .offset:         36
        .size:           4
        .value_kind:     by_value
      - .offset:         40
        .size:           4
        .value_kind:     by_value
      - .offset:         44
        .size:           4
        .value_kind:     by_value
      - .offset:         48
        .size:           4
        .value_kind:     by_value
      - .offset:         52
        .size:           4
        .value_kind:     by_value
      - .offset:         56
        .size:           4
        .value_kind:     by_value
      - .offset:         60
        .size:           4
        .value_kind:     by_value
      - .offset:         64
        .size:           4
        .value_kind:     by_value
      - .offset:         68
        .size:           4
        .value_kind:     by_value
      - .offset:         72
        .size:           4
        .value_kind:     by_value
      - .offset:         76
        .size:           4
        .value_kind:     by_value
      - .offset:         80
        .size:           4
        .value_kind:     by_value
      - .offset:         84
        .size:           4
        .value_kind:     by_value
      - .offset:         88
        .size:           4
        .value_kind:     by_value
      - .offset:         92
        .size:           4
        .value_kind:     by_value
    .group_segment_fixed_size: 0
    .kernarg_segment_align: 8
    .kernarg_segment_size: 96
    .language:       OpenCL C
    .language_version:
      - 2
      - 0
    .max_flat_workgroup_size: 128
    .name:           _ZL9mul_mat_fI15__hip_bfloat162Li64ELi13ELi2ELb0EEvPKT_PKfPKiPfiiiiiiiiiiiiiiii
    .private_segment_fixed_size: 0
    .sgpr_count:     100
    .sgpr_spill_count: 2
    .symbol:         _ZL9mul_mat_fI15__hip_bfloat162Li64ELi13ELi2ELb0EEvPKT_PKfPKiPfiiiiiiiiiiiiiiii.kd
    .uniform_work_group_size: 1
    .uses_dynamic_stack: false
    .vgpr_count:     128
    .vgpr_spill_count: 0
    .wavefront_size: 64
  - .agpr_count:     16
    .args:
      - .actual_access:  read_only
        .address_space:  global
        .offset:         0
        .size:           8
        .value_kind:     global_buffer
      - .actual_access:  read_only
        .address_space:  global
        .offset:         8
        .size:           8
        .value_kind:     global_buffer
      - .actual_access:  read_only
        .address_space:  global
        .offset:         16
        .size:           8
        .value_kind:     global_buffer
      - .actual_access:  read_only
        .address_space:  global
        .offset:         24
        .size:           8
        .value_kind:     global_buffer
      - .actual_access:  read_only
        .address_space:  global
        .offset:         32
        .size:           8
        .value_kind:     global_buffer
      - .actual_access:  write_only
        .address_space:  global
        .offset:         40
        .size:           8
        .value_kind:     global_buffer
      - .offset:         48
        .size:           4
        .value_kind:     by_value
      - .offset:         52
        .size:           4
        .value_kind:     by_value
      - .offset:         56
        .size:           4
        .value_kind:     by_value
      - .offset:         60
        .size:           4
        .value_kind:     by_value
      - .offset:         64
        .size:           4
        .value_kind:     by_value
      - .offset:         68
        .size:           4
        .value_kind:     by_value
      - .offset:         72
        .size:           4
        .value_kind:     by_value
      - .offset:         76
        .size:           4
        .value_kind:     by_value
      - .offset:         80
        .size:           4
        .value_kind:     by_value
      - .offset:         84
        .size:           4
        .value_kind:     by_value
      - .offset:         88
        .size:           4
        .value_kind:     by_value
      - .offset:         92
        .size:           4
        .value_kind:     by_value
      - .offset:         96
        .size:           4
        .value_kind:     by_value
      - .offset:         100
        .size:           4
        .value_kind:     by_value
      - .offset:         104
        .size:           12
        .value_kind:     by_value
      - .offset:         116
        .size:           12
        .value_kind:     by_value
    .group_segment_fixed_size: 0
    .kernarg_segment_align: 8
    .kernarg_segment_size: 128
    .language:       OpenCL C
    .language_version:
      - 2
      - 0
    .max_flat_workgroup_size: 192
    .name:           _ZL13mul_mat_f_idsI15__hip_bfloat162Li64ELi13ELi3EEvPKT_PKfPKiS7_S7_Pfiiiiiiiiiiiiii15HIP_vector_typeIjLj3EESA_
    .private_segment_fixed_size: 0
    .sgpr_count:     100
    .sgpr_spill_count: 30
    .symbol:         _ZL13mul_mat_f_idsI15__hip_bfloat162Li64ELi13ELi3EEvPKT_PKfPKiS7_S7_Pfiiiiiiiiiiiiii15HIP_vector_typeIjLj3EESA_.kd
    .uniform_work_group_size: 1
    .uses_dynamic_stack: false
    .vgpr_count:     136
    .vgpr_spill_count: 0
    .wavefront_size: 64
  - .agpr_count:     20
    .args:
      - .actual_access:  read_only
        .address_space:  global
        .offset:         0
        .size:           8
        .value_kind:     global_buffer
      - .actual_access:  read_only
        .address_space:  global
        .offset:         8
        .size:           8
        .value_kind:     global_buffer
      - .actual_access:  read_only
        .address_space:  global
        .offset:         16
        .size:           8
        .value_kind:     global_buffer
      - .actual_access:  write_only
        .address_space:  global
        .offset:         24
        .size:           8
        .value_kind:     global_buffer
      - .offset:         32
        .size:           4
        .value_kind:     by_value
      - .offset:         36
        .size:           4
        .value_kind:     by_value
      - .offset:         40
        .size:           4
        .value_kind:     by_value
      - .offset:         44
        .size:           4
        .value_kind:     by_value
      - .offset:         48
        .size:           4
        .value_kind:     by_value
      - .offset:         52
        .size:           4
        .value_kind:     by_value
      - .offset:         56
        .size:           4
        .value_kind:     by_value
      - .offset:         60
        .size:           4
        .value_kind:     by_value
      - .offset:         64
        .size:           4
        .value_kind:     by_value
      - .offset:         68
        .size:           4
        .value_kind:     by_value
      - .offset:         72
        .size:           4
        .value_kind:     by_value
      - .offset:         76
        .size:           4
        .value_kind:     by_value
      - .offset:         80
        .size:           4
        .value_kind:     by_value
      - .offset:         84
        .size:           4
        .value_kind:     by_value
      - .offset:         88
        .size:           4
        .value_kind:     by_value
      - .offset:         92
        .size:           4
        .value_kind:     by_value
      - .offset:         96
        .size:           4
        .value_kind:     hidden_block_count_x
      - .offset:         100
        .size:           4
        .value_kind:     hidden_block_count_y
      - .offset:         104
        .size:           4
        .value_kind:     hidden_block_count_z
      - .offset:         108
        .size:           2
        .value_kind:     hidden_group_size_x
      - .offset:         110
        .size:           2
        .value_kind:     hidden_group_size_y
      - .offset:         112
        .size:           2
        .value_kind:     hidden_group_size_z
      - .offset:         114
        .size:           2
        .value_kind:     hidden_remainder_x
      - .offset:         116
        .size:           2
        .value_kind:     hidden_remainder_y
      - .offset:         118
        .size:           2
        .value_kind:     hidden_remainder_z
      - .offset:         136
        .size:           8
        .value_kind:     hidden_global_offset_x
      - .offset:         144
        .size:           8
        .value_kind:     hidden_global_offset_y
      - .offset:         152
        .size:           8
        .value_kind:     hidden_global_offset_z
      - .offset:         160
        .size:           2
        .value_kind:     hidden_grid_dims
      - .offset:         216
        .size:           4
        .value_kind:     hidden_dynamic_lds_size
    .group_segment_fixed_size: 256
    .kernarg_segment_align: 8
    .kernarg_segment_size: 352
    .language:       OpenCL C
    .language_version:
      - 2
      - 0
    .max_flat_workgroup_size: 192
    .name:           _ZL9mul_mat_fI15__hip_bfloat162Li64ELi13ELi3ELb1EEvPKT_PKfPKiPfiiiiiiiiiiiiiiii
    .private_segment_fixed_size: 0
    .sgpr_count:     100
    .sgpr_spill_count: 41
    .symbol:         _ZL9mul_mat_fI15__hip_bfloat162Li64ELi13ELi3ELb1EEvPKT_PKfPKiPfiiiiiiiiiiiiiiii.kd
    .uniform_work_group_size: 1
    .uses_dynamic_stack: false
    .vgpr_count:     128
    .vgpr_spill_count: 0
    .wavefront_size: 64
  - .agpr_count:     24
    .args:
      - .actual_access:  read_only
        .address_space:  global
        .offset:         0
        .size:           8
        .value_kind:     global_buffer
      - .actual_access:  read_only
        .address_space:  global
        .offset:         8
        .size:           8
        .value_kind:     global_buffer
      - .actual_access:  read_only
        .address_space:  global
        .offset:         16
        .size:           8
        .value_kind:     global_buffer
      - .actual_access:  write_only
        .address_space:  global
        .offset:         24
        .size:           8
        .value_kind:     global_buffer
      - .offset:         32
        .size:           4
        .value_kind:     by_value
      - .offset:         36
        .size:           4
        .value_kind:     by_value
      - .offset:         40
        .size:           4
        .value_kind:     by_value
      - .offset:         44
        .size:           4
        .value_kind:     by_value
      - .offset:         48
        .size:           4
        .value_kind:     by_value
      - .offset:         52
        .size:           4
        .value_kind:     by_value
      - .offset:         56
        .size:           4
        .value_kind:     by_value
      - .offset:         60
        .size:           4
        .value_kind:     by_value
      - .offset:         64
        .size:           4
        .value_kind:     by_value
      - .offset:         68
        .size:           4
        .value_kind:     by_value
      - .offset:         72
        .size:           4
        .value_kind:     by_value
      - .offset:         76
        .size:           4
        .value_kind:     by_value
      - .offset:         80
        .size:           4
        .value_kind:     by_value
      - .offset:         84
        .size:           4
        .value_kind:     by_value
      - .offset:         88
        .size:           4
        .value_kind:     by_value
      - .offset:         92
        .size:           4
        .value_kind:     by_value
    .group_segment_fixed_size: 0
    .kernarg_segment_align: 8
    .kernarg_segment_size: 96
    .language:       OpenCL C
    .language_version:
      - 2
      - 0
    .max_flat_workgroup_size: 192
    .name:           _ZL9mul_mat_fI15__hip_bfloat162Li64ELi13ELi3ELb0EEvPKT_PKfPKiPfiiiiiiiiiiiiiiii
    .private_segment_fixed_size: 0
    .sgpr_count:     100
    .sgpr_spill_count: 2
    .symbol:         _ZL9mul_mat_fI15__hip_bfloat162Li64ELi13ELi3ELb0EEvPKT_PKfPKiPfiiiiiiiiiiiiiiii.kd
    .uniform_work_group_size: 1
    .uses_dynamic_stack: false
    .vgpr_count:     128
    .vgpr_spill_count: 0
    .wavefront_size: 64
  - .agpr_count:     16
    .args:
      - .actual_access:  read_only
        .address_space:  global
        .offset:         0
        .size:           8
        .value_kind:     global_buffer
      - .actual_access:  read_only
        .address_space:  global
        .offset:         8
        .size:           8
        .value_kind:     global_buffer
      - .actual_access:  read_only
        .address_space:  global
        .offset:         16
        .size:           8
        .value_kind:     global_buffer
      - .actual_access:  read_only
        .address_space:  global
        .offset:         24
        .size:           8
        .value_kind:     global_buffer
      - .actual_access:  read_only
        .address_space:  global
        .offset:         32
        .size:           8
        .value_kind:     global_buffer
      - .actual_access:  write_only
        .address_space:  global
        .offset:         40
        .size:           8
        .value_kind:     global_buffer
      - .offset:         48
        .size:           4
        .value_kind:     by_value
      - .offset:         52
        .size:           4
        .value_kind:     by_value
      - .offset:         56
        .size:           4
        .value_kind:     by_value
      - .offset:         60
        .size:           4
        .value_kind:     by_value
      - .offset:         64
        .size:           4
        .value_kind:     by_value
      - .offset:         68
        .size:           4
        .value_kind:     by_value
      - .offset:         72
        .size:           4
        .value_kind:     by_value
      - .offset:         76
        .size:           4
        .value_kind:     by_value
      - .offset:         80
        .size:           4
        .value_kind:     by_value
      - .offset:         84
        .size:           4
        .value_kind:     by_value
      - .offset:         88
        .size:           4
        .value_kind:     by_value
      - .offset:         92
        .size:           4
        .value_kind:     by_value
      - .offset:         96
        .size:           4
        .value_kind:     by_value
      - .offset:         100
        .size:           4
        .value_kind:     by_value
      - .offset:         104
        .size:           12
        .value_kind:     by_value
      - .offset:         116
        .size:           12
        .value_kind:     by_value
    .group_segment_fixed_size: 0
    .kernarg_segment_align: 8
    .kernarg_segment_size: 128
    .language:       OpenCL C
    .language_version:
      - 2
      - 0
    .max_flat_workgroup_size: 256
    .name:           _ZL13mul_mat_f_idsI15__hip_bfloat162Li64ELi13ELi4EEvPKT_PKfPKiS7_S7_Pfiiiiiiiiiiiiii15HIP_vector_typeIjLj3EESA_
    .private_segment_fixed_size: 0
    .sgpr_count:     100
    .sgpr_spill_count: 30
    .symbol:         _ZL13mul_mat_f_idsI15__hip_bfloat162Li64ELi13ELi4EEvPKT_PKfPKiS7_S7_Pfiiiiiiiiiiiiii15HIP_vector_typeIjLj3EESA_.kd
    .uniform_work_group_size: 1
    .uses_dynamic_stack: false
    .vgpr_count:     136
    .vgpr_spill_count: 0
    .wavefront_size: 64
  - .agpr_count:     20
    .args:
      - .actual_access:  read_only
        .address_space:  global
        .offset:         0
        .size:           8
        .value_kind:     global_buffer
      - .actual_access:  read_only
        .address_space:  global
        .offset:         8
        .size:           8
        .value_kind:     global_buffer
      - .actual_access:  read_only
        .address_space:  global
        .offset:         16
        .size:           8
        .value_kind:     global_buffer
      - .actual_access:  write_only
        .address_space:  global
        .offset:         24
        .size:           8
        .value_kind:     global_buffer
      - .offset:         32
        .size:           4
        .value_kind:     by_value
      - .offset:         36
        .size:           4
        .value_kind:     by_value
      - .offset:         40
        .size:           4
        .value_kind:     by_value
      - .offset:         44
        .size:           4
        .value_kind:     by_value
      - .offset:         48
        .size:           4
        .value_kind:     by_value
      - .offset:         52
        .size:           4
        .value_kind:     by_value
      - .offset:         56
        .size:           4
        .value_kind:     by_value
      - .offset:         60
        .size:           4
        .value_kind:     by_value
      - .offset:         64
        .size:           4
        .value_kind:     by_value
      - .offset:         68
        .size:           4
        .value_kind:     by_value
      - .offset:         72
        .size:           4
        .value_kind:     by_value
      - .offset:         76
        .size:           4
        .value_kind:     by_value
      - .offset:         80
        .size:           4
        .value_kind:     by_value
      - .offset:         84
        .size:           4
        .value_kind:     by_value
      - .offset:         88
        .size:           4
        .value_kind:     by_value
      - .offset:         92
        .size:           4
        .value_kind:     by_value
      - .offset:         96
        .size:           4
        .value_kind:     hidden_block_count_x
      - .offset:         100
        .size:           4
        .value_kind:     hidden_block_count_y
      - .offset:         104
        .size:           4
        .value_kind:     hidden_block_count_z
      - .offset:         108
        .size:           2
        .value_kind:     hidden_group_size_x
      - .offset:         110
        .size:           2
        .value_kind:     hidden_group_size_y
      - .offset:         112
        .size:           2
        .value_kind:     hidden_group_size_z
      - .offset:         114
        .size:           2
        .value_kind:     hidden_remainder_x
      - .offset:         116
        .size:           2
        .value_kind:     hidden_remainder_y
      - .offset:         118
        .size:           2
        .value_kind:     hidden_remainder_z
      - .offset:         136
        .size:           8
        .value_kind:     hidden_global_offset_x
      - .offset:         144
        .size:           8
        .value_kind:     hidden_global_offset_y
      - .offset:         152
        .size:           8
        .value_kind:     hidden_global_offset_z
      - .offset:         160
        .size:           2
        .value_kind:     hidden_grid_dims
      - .offset:         216
        .size:           4
        .value_kind:     hidden_dynamic_lds_size
    .group_segment_fixed_size: 256
    .kernarg_segment_align: 8
    .kernarg_segment_size: 352
    .language:       OpenCL C
    .language_version:
      - 2
      - 0
    .max_flat_workgroup_size: 256
    .name:           _ZL9mul_mat_fI15__hip_bfloat162Li64ELi13ELi4ELb1EEvPKT_PKfPKiPfiiiiiiiiiiiiiiii
    .private_segment_fixed_size: 0
    .sgpr_count:     100
    .sgpr_spill_count: 39
    .symbol:         _ZL9mul_mat_fI15__hip_bfloat162Li64ELi13ELi4ELb1EEvPKT_PKfPKiPfiiiiiiiiiiiiiiii.kd
    .uniform_work_group_size: 1
    .uses_dynamic_stack: false
    .vgpr_count:     128
    .vgpr_spill_count: 0
    .wavefront_size: 64
  - .agpr_count:     24
    .args:
      - .actual_access:  read_only
        .address_space:  global
        .offset:         0
        .size:           8
        .value_kind:     global_buffer
      - .actual_access:  read_only
        .address_space:  global
        .offset:         8
        .size:           8
        .value_kind:     global_buffer
      - .actual_access:  read_only
        .address_space:  global
        .offset:         16
        .size:           8
        .value_kind:     global_buffer
      - .actual_access:  write_only
        .address_space:  global
        .offset:         24
        .size:           8
        .value_kind:     global_buffer
      - .offset:         32
        .size:           4
        .value_kind:     by_value
      - .offset:         36
        .size:           4
        .value_kind:     by_value
      - .offset:         40
        .size:           4
        .value_kind:     by_value
      - .offset:         44
        .size:           4
        .value_kind:     by_value
      - .offset:         48
        .size:           4
        .value_kind:     by_value
      - .offset:         52
        .size:           4
        .value_kind:     by_value
      - .offset:         56
        .size:           4
        .value_kind:     by_value
      - .offset:         60
        .size:           4
        .value_kind:     by_value
      - .offset:         64
        .size:           4
        .value_kind:     by_value
      - .offset:         68
        .size:           4
        .value_kind:     by_value
      - .offset:         72
        .size:           4
        .value_kind:     by_value
      - .offset:         76
        .size:           4
        .value_kind:     by_value
      - .offset:         80
        .size:           4
        .value_kind:     by_value
      - .offset:         84
        .size:           4
        .value_kind:     by_value
      - .offset:         88
        .size:           4
        .value_kind:     by_value
      - .offset:         92
        .size:           4
        .value_kind:     by_value
    .group_segment_fixed_size: 0
    .kernarg_segment_align: 8
    .kernarg_segment_size: 96
    .language:       OpenCL C
    .language_version:
      - 2
      - 0
    .max_flat_workgroup_size: 256
    .name:           _ZL9mul_mat_fI15__hip_bfloat162Li64ELi13ELi4ELb0EEvPKT_PKfPKiPfiiiiiiiiiiiiiiii
    .private_segment_fixed_size: 0
    .sgpr_count:     100
    .sgpr_spill_count: 2
    .symbol:         _ZL9mul_mat_fI15__hip_bfloat162Li64ELi13ELi4ELb0EEvPKT_PKfPKiPfiiiiiiiiiiiiiiii.kd
    .uniform_work_group_size: 1
    .uses_dynamic_stack: false
    .vgpr_count:     128
    .vgpr_spill_count: 0
    .wavefront_size: 64
  - .agpr_count:     0
    .args:
      - .actual_access:  read_only
        .address_space:  global
        .offset:         0
        .size:           8
        .value_kind:     global_buffer
      - .actual_access:  read_only
        .address_space:  global
        .offset:         8
        .size:           8
        .value_kind:     global_buffer
      - .actual_access:  read_only
        .address_space:  global
        .offset:         16
        .size:           8
        .value_kind:     global_buffer
      - .actual_access:  read_only
        .address_space:  global
        .offset:         24
        .size:           8
        .value_kind:     global_buffer
      - .actual_access:  read_only
        .address_space:  global
        .offset:         32
        .size:           8
        .value_kind:     global_buffer
      - .actual_access:  write_only
        .address_space:  global
        .offset:         40
        .size:           8
        .value_kind:     global_buffer
      - .offset:         48
        .size:           4
        .value_kind:     by_value
      - .offset:         52
        .size:           4
        .value_kind:     by_value
      - .offset:         56
        .size:           4
        .value_kind:     by_value
      - .offset:         60
        .size:           4
        .value_kind:     by_value
      - .offset:         64
        .size:           4
        .value_kind:     by_value
      - .offset:         68
        .size:           4
        .value_kind:     by_value
      - .offset:         72
        .size:           4
        .value_kind:     by_value
      - .offset:         76
        .size:           4
        .value_kind:     by_value
      - .offset:         80
        .size:           4
        .value_kind:     by_value
      - .offset:         84
        .size:           4
        .value_kind:     by_value
      - .offset:         88
        .size:           4
        .value_kind:     by_value
      - .offset:         92
        .size:           4
        .value_kind:     by_value
      - .offset:         96
        .size:           4
        .value_kind:     by_value
      - .offset:         100
        .size:           4
        .value_kind:     by_value
      - .offset:         104
        .size:           12
        .value_kind:     by_value
      - .offset:         116
        .size:           12
        .value_kind:     by_value
    .group_segment_fixed_size: 0
    .kernarg_segment_align: 8
    .kernarg_segment_size: 128
    .language:       OpenCL C
    .language_version:
      - 2
      - 0
    .max_flat_workgroup_size: 320
    .name:           _ZL13mul_mat_f_idsI15__hip_bfloat162Li64ELi13ELi5EEvPKT_PKfPKiS7_S7_Pfiiiiiiiiiiiiii15HIP_vector_typeIjLj3EESA_
    .private_segment_fixed_size: 0
    .sgpr_count:     100
    .sgpr_spill_count: 30
    .symbol:         _ZL13mul_mat_f_idsI15__hip_bfloat162Li64ELi13ELi5EEvPKT_PKfPKiS7_S7_Pfiiiiiiiiiiiiii15HIP_vector_typeIjLj3EESA_.kd
    .uniform_work_group_size: 1
    .uses_dynamic_stack: false
    .vgpr_count:     120
    .vgpr_spill_count: 0
    .wavefront_size: 64
  - .agpr_count:     0
    .args:
      - .actual_access:  read_only
        .address_space:  global
        .offset:         0
        .size:           8
        .value_kind:     global_buffer
      - .actual_access:  read_only
        .address_space:  global
        .offset:         8
        .size:           8
        .value_kind:     global_buffer
      - .actual_access:  read_only
        .address_space:  global
        .offset:         16
        .size:           8
        .value_kind:     global_buffer
      - .actual_access:  write_only
        .address_space:  global
        .offset:         24
        .size:           8
        .value_kind:     global_buffer
      - .offset:         32
        .size:           4
        .value_kind:     by_value
      - .offset:         36
        .size:           4
        .value_kind:     by_value
      - .offset:         40
        .size:           4
        .value_kind:     by_value
      - .offset:         44
        .size:           4
        .value_kind:     by_value
      - .offset:         48
        .size:           4
        .value_kind:     by_value
      - .offset:         52
        .size:           4
        .value_kind:     by_value
      - .offset:         56
        .size:           4
        .value_kind:     by_value
      - .offset:         60
        .size:           4
        .value_kind:     by_value
      - .offset:         64
        .size:           4
        .value_kind:     by_value
      - .offset:         68
        .size:           4
        .value_kind:     by_value
      - .offset:         72
        .size:           4
        .value_kind:     by_value
      - .offset:         76
        .size:           4
        .value_kind:     by_value
      - .offset:         80
        .size:           4
        .value_kind:     by_value
      - .offset:         84
        .size:           4
        .value_kind:     by_value
      - .offset:         88
        .size:           4
        .value_kind:     by_value
      - .offset:         92
        .size:           4
        .value_kind:     by_value
      - .offset:         96
        .size:           4
        .value_kind:     hidden_block_count_x
      - .offset:         100
        .size:           4
        .value_kind:     hidden_block_count_y
      - .offset:         104
        .size:           4
        .value_kind:     hidden_block_count_z
      - .offset:         108
        .size:           2
        .value_kind:     hidden_group_size_x
      - .offset:         110
        .size:           2
        .value_kind:     hidden_group_size_y
      - .offset:         112
        .size:           2
        .value_kind:     hidden_group_size_z
      - .offset:         114
        .size:           2
        .value_kind:     hidden_remainder_x
      - .offset:         116
        .size:           2
        .value_kind:     hidden_remainder_y
      - .offset:         118
        .size:           2
        .value_kind:     hidden_remainder_z
      - .offset:         136
        .size:           8
        .value_kind:     hidden_global_offset_x
      - .offset:         144
        .size:           8
        .value_kind:     hidden_global_offset_y
      - .offset:         152
        .size:           8
        .value_kind:     hidden_global_offset_z
      - .offset:         160
        .size:           2
        .value_kind:     hidden_grid_dims
      - .offset:         216
        .size:           4
        .value_kind:     hidden_dynamic_lds_size
    .group_segment_fixed_size: 256
    .kernarg_segment_align: 8
    .kernarg_segment_size: 352
    .language:       OpenCL C
    .language_version:
      - 2
      - 0
    .max_flat_workgroup_size: 320
    .name:           _ZL9mul_mat_fI15__hip_bfloat162Li64ELi13ELi5ELb1EEvPKT_PKfPKiPfiiiiiiiiiiiiiiii
    .private_segment_fixed_size: 0
    .sgpr_count:     100
    .sgpr_spill_count: 37
    .symbol:         _ZL9mul_mat_fI15__hip_bfloat162Li64ELi13ELi5ELb1EEvPKT_PKfPKiPfiiiiiiiiiiiiiiii.kd
    .uniform_work_group_size: 1
    .uses_dynamic_stack: false
    .vgpr_count:     105
    .vgpr_spill_count: 0
    .wavefront_size: 64
  - .agpr_count:     0
    .args:
      - .actual_access:  read_only
        .address_space:  global
        .offset:         0
        .size:           8
        .value_kind:     global_buffer
      - .actual_access:  read_only
        .address_space:  global
        .offset:         8
        .size:           8
        .value_kind:     global_buffer
      - .actual_access:  read_only
        .address_space:  global
        .offset:         16
        .size:           8
        .value_kind:     global_buffer
      - .actual_access:  write_only
        .address_space:  global
        .offset:         24
        .size:           8
        .value_kind:     global_buffer
      - .offset:         32
        .size:           4
        .value_kind:     by_value
      - .offset:         36
        .size:           4
        .value_kind:     by_value
      - .offset:         40
        .size:           4
        .value_kind:     by_value
      - .offset:         44
        .size:           4
        .value_kind:     by_value
      - .offset:         48
        .size:           4
        .value_kind:     by_value
      - .offset:         52
        .size:           4
        .value_kind:     by_value
      - .offset:         56
        .size:           4
        .value_kind:     by_value
      - .offset:         60
        .size:           4
        .value_kind:     by_value
      - .offset:         64
        .size:           4
        .value_kind:     by_value
      - .offset:         68
        .size:           4
        .value_kind:     by_value
      - .offset:         72
        .size:           4
        .value_kind:     by_value
      - .offset:         76
        .size:           4
        .value_kind:     by_value
      - .offset:         80
        .size:           4
        .value_kind:     by_value
      - .offset:         84
        .size:           4
        .value_kind:     by_value
      - .offset:         88
        .size:           4
        .value_kind:     by_value
      - .offset:         92
        .size:           4
        .value_kind:     by_value
    .group_segment_fixed_size: 0
    .kernarg_segment_align: 8
    .kernarg_segment_size: 96
    .language:       OpenCL C
    .language_version:
      - 2
      - 0
    .max_flat_workgroup_size: 320
    .name:           _ZL9mul_mat_fI15__hip_bfloat162Li64ELi13ELi5ELb0EEvPKT_PKfPKiPfiiiiiiiiiiiiiiii
    .private_segment_fixed_size: 0
    .sgpr_count:     100
    .sgpr_spill_count: 2
    .symbol:         _ZL9mul_mat_fI15__hip_bfloat162Li64ELi13ELi5ELb0EEvPKT_PKfPKiPfiiiiiiiiiiiiiiii.kd
    .uniform_work_group_size: 1
    .uses_dynamic_stack: false
    .vgpr_count:     105
    .vgpr_spill_count: 0
    .wavefront_size: 64
  - .agpr_count:     0
    .args:
      - .actual_access:  read_only
        .address_space:  global
        .offset:         0
        .size:           8
        .value_kind:     global_buffer
      - .actual_access:  read_only
        .address_space:  global
        .offset:         8
        .size:           8
        .value_kind:     global_buffer
      - .actual_access:  read_only
        .address_space:  global
        .offset:         16
        .size:           8
        .value_kind:     global_buffer
      - .actual_access:  read_only
        .address_space:  global
        .offset:         24
        .size:           8
        .value_kind:     global_buffer
      - .actual_access:  read_only
        .address_space:  global
        .offset:         32
        .size:           8
        .value_kind:     global_buffer
      - .actual_access:  write_only
        .address_space:  global
        .offset:         40
        .size:           8
        .value_kind:     global_buffer
      - .offset:         48
        .size:           4
        .value_kind:     by_value
      - .offset:         52
        .size:           4
        .value_kind:     by_value
      - .offset:         56
        .size:           4
        .value_kind:     by_value
      - .offset:         60
        .size:           4
        .value_kind:     by_value
      - .offset:         64
        .size:           4
        .value_kind:     by_value
      - .offset:         68
        .size:           4
        .value_kind:     by_value
      - .offset:         72
        .size:           4
        .value_kind:     by_value
      - .offset:         76
        .size:           4
        .value_kind:     by_value
      - .offset:         80
        .size:           4
        .value_kind:     by_value
      - .offset:         84
        .size:           4
        .value_kind:     by_value
      - .offset:         88
        .size:           4
        .value_kind:     by_value
      - .offset:         92
        .size:           4
        .value_kind:     by_value
      - .offset:         96
        .size:           4
        .value_kind:     by_value
      - .offset:         100
        .size:           4
        .value_kind:     by_value
      - .offset:         104
        .size:           12
        .value_kind:     by_value
      - .offset:         116
        .size:           12
        .value_kind:     by_value
    .group_segment_fixed_size: 0
    .kernarg_segment_align: 8
    .kernarg_segment_size: 128
    .language:       OpenCL C
    .language_version:
      - 2
      - 0
    .max_flat_workgroup_size: 384
    .name:           _ZL13mul_mat_f_idsI15__hip_bfloat162Li64ELi13ELi6EEvPKT_PKfPKiS7_S7_Pfiiiiiiiiiiiiii15HIP_vector_typeIjLj3EESA_
    .private_segment_fixed_size: 0
    .sgpr_count:     100
    .sgpr_spill_count: 30
    .symbol:         _ZL13mul_mat_f_idsI15__hip_bfloat162Li64ELi13ELi6EEvPKT_PKfPKiS7_S7_Pfiiiiiiiiiiiiii15HIP_vector_typeIjLj3EESA_.kd
    .uniform_work_group_size: 1
    .uses_dynamic_stack: false
    .vgpr_count:     120
    .vgpr_spill_count: 0
    .wavefront_size: 64
  - .agpr_count:     0
    .args:
      - .actual_access:  read_only
        .address_space:  global
        .offset:         0
        .size:           8
        .value_kind:     global_buffer
      - .actual_access:  read_only
        .address_space:  global
        .offset:         8
        .size:           8
        .value_kind:     global_buffer
      - .actual_access:  read_only
        .address_space:  global
        .offset:         16
        .size:           8
        .value_kind:     global_buffer
      - .actual_access:  write_only
        .address_space:  global
        .offset:         24
        .size:           8
        .value_kind:     global_buffer
      - .offset:         32
        .size:           4
        .value_kind:     by_value
      - .offset:         36
        .size:           4
        .value_kind:     by_value
      - .offset:         40
        .size:           4
        .value_kind:     by_value
      - .offset:         44
        .size:           4
        .value_kind:     by_value
      - .offset:         48
        .size:           4
        .value_kind:     by_value
      - .offset:         52
        .size:           4
        .value_kind:     by_value
      - .offset:         56
        .size:           4
        .value_kind:     by_value
      - .offset:         60
        .size:           4
        .value_kind:     by_value
      - .offset:         64
        .size:           4
        .value_kind:     by_value
      - .offset:         68
        .size:           4
        .value_kind:     by_value
      - .offset:         72
        .size:           4
        .value_kind:     by_value
      - .offset:         76
        .size:           4
        .value_kind:     by_value
      - .offset:         80
        .size:           4
        .value_kind:     by_value
      - .offset:         84
        .size:           4
        .value_kind:     by_value
      - .offset:         88
        .size:           4
        .value_kind:     by_value
      - .offset:         92
        .size:           4
        .value_kind:     by_value
      - .offset:         96
        .size:           4
        .value_kind:     hidden_block_count_x
      - .offset:         100
        .size:           4
        .value_kind:     hidden_block_count_y
      - .offset:         104
        .size:           4
        .value_kind:     hidden_block_count_z
      - .offset:         108
        .size:           2
        .value_kind:     hidden_group_size_x
      - .offset:         110
        .size:           2
        .value_kind:     hidden_group_size_y
      - .offset:         112
        .size:           2
        .value_kind:     hidden_group_size_z
      - .offset:         114
        .size:           2
        .value_kind:     hidden_remainder_x
      - .offset:         116
        .size:           2
        .value_kind:     hidden_remainder_y
      - .offset:         118
        .size:           2
        .value_kind:     hidden_remainder_z
      - .offset:         136
        .size:           8
        .value_kind:     hidden_global_offset_x
      - .offset:         144
        .size:           8
        .value_kind:     hidden_global_offset_y
      - .offset:         152
        .size:           8
        .value_kind:     hidden_global_offset_z
      - .offset:         160
        .size:           2
        .value_kind:     hidden_grid_dims
      - .offset:         216
        .size:           4
        .value_kind:     hidden_dynamic_lds_size
    .group_segment_fixed_size: 256
    .kernarg_segment_align: 8
    .kernarg_segment_size: 352
    .language:       OpenCL C
    .language_version:
      - 2
      - 0
    .max_flat_workgroup_size: 384
    .name:           _ZL9mul_mat_fI15__hip_bfloat162Li64ELi13ELi6ELb1EEvPKT_PKfPKiPfiiiiiiiiiiiiiiii
    .private_segment_fixed_size: 0
    .sgpr_count:     100
    .sgpr_spill_count: 37
    .symbol:         _ZL9mul_mat_fI15__hip_bfloat162Li64ELi13ELi6ELb1EEvPKT_PKfPKiPfiiiiiiiiiiiiiiii.kd
    .uniform_work_group_size: 1
    .uses_dynamic_stack: false
    .vgpr_count:     105
    .vgpr_spill_count: 0
    .wavefront_size: 64
  - .agpr_count:     0
    .args:
      - .actual_access:  read_only
        .address_space:  global
        .offset:         0
        .size:           8
        .value_kind:     global_buffer
      - .actual_access:  read_only
        .address_space:  global
        .offset:         8
        .size:           8
        .value_kind:     global_buffer
      - .actual_access:  read_only
        .address_space:  global
        .offset:         16
        .size:           8
        .value_kind:     global_buffer
      - .actual_access:  write_only
        .address_space:  global
        .offset:         24
        .size:           8
        .value_kind:     global_buffer
      - .offset:         32
        .size:           4
        .value_kind:     by_value
      - .offset:         36
        .size:           4
        .value_kind:     by_value
      - .offset:         40
        .size:           4
        .value_kind:     by_value
      - .offset:         44
        .size:           4
        .value_kind:     by_value
      - .offset:         48
        .size:           4
        .value_kind:     by_value
      - .offset:         52
        .size:           4
        .value_kind:     by_value
      - .offset:         56
        .size:           4
        .value_kind:     by_value
      - .offset:         60
        .size:           4
        .value_kind:     by_value
      - .offset:         64
        .size:           4
        .value_kind:     by_value
      - .offset:         68
        .size:           4
        .value_kind:     by_value
      - .offset:         72
        .size:           4
        .value_kind:     by_value
      - .offset:         76
        .size:           4
        .value_kind:     by_value
      - .offset:         80
        .size:           4
        .value_kind:     by_value
      - .offset:         84
        .size:           4
        .value_kind:     by_value
      - .offset:         88
        .size:           4
        .value_kind:     by_value
      - .offset:         92
        .size:           4
        .value_kind:     by_value
    .group_segment_fixed_size: 0
    .kernarg_segment_align: 8
    .kernarg_segment_size: 96
    .language:       OpenCL C
    .language_version:
      - 2
      - 0
    .max_flat_workgroup_size: 384
    .name:           _ZL9mul_mat_fI15__hip_bfloat162Li64ELi13ELi6ELb0EEvPKT_PKfPKiPfiiiiiiiiiiiiiiii
    .private_segment_fixed_size: 0
    .sgpr_count:     100
    .sgpr_spill_count: 2
    .symbol:         _ZL9mul_mat_fI15__hip_bfloat162Li64ELi13ELi6ELb0EEvPKT_PKfPKiPfiiiiiiiiiiiiiiii.kd
    .uniform_work_group_size: 1
    .uses_dynamic_stack: false
    .vgpr_count:     105
    .vgpr_spill_count: 0
    .wavefront_size: 64
  - .agpr_count:     0
    .args:
      - .actual_access:  read_only
        .address_space:  global
        .offset:         0
        .size:           8
        .value_kind:     global_buffer
      - .actual_access:  read_only
        .address_space:  global
        .offset:         8
        .size:           8
        .value_kind:     global_buffer
      - .actual_access:  read_only
        .address_space:  global
        .offset:         16
        .size:           8
        .value_kind:     global_buffer
      - .actual_access:  read_only
        .address_space:  global
        .offset:         24
        .size:           8
        .value_kind:     global_buffer
      - .actual_access:  read_only
        .address_space:  global
        .offset:         32
        .size:           8
        .value_kind:     global_buffer
      - .actual_access:  write_only
        .address_space:  global
        .offset:         40
        .size:           8
        .value_kind:     global_buffer
      - .offset:         48
        .size:           4
        .value_kind:     by_value
      - .offset:         52
        .size:           4
        .value_kind:     by_value
      - .offset:         56
        .size:           4
        .value_kind:     by_value
      - .offset:         60
        .size:           4
        .value_kind:     by_value
      - .offset:         64
        .size:           4
        .value_kind:     by_value
      - .offset:         68
        .size:           4
        .value_kind:     by_value
      - .offset:         72
        .size:           4
        .value_kind:     by_value
      - .offset:         76
        .size:           4
        .value_kind:     by_value
      - .offset:         80
        .size:           4
        .value_kind:     by_value
      - .offset:         84
        .size:           4
        .value_kind:     by_value
      - .offset:         88
        .size:           4
        .value_kind:     by_value
      - .offset:         92
        .size:           4
        .value_kind:     by_value
      - .offset:         96
        .size:           4
        .value_kind:     by_value
      - .offset:         100
        .size:           4
        .value_kind:     by_value
      - .offset:         104
        .size:           12
        .value_kind:     by_value
      - .offset:         116
        .size:           12
        .value_kind:     by_value
    .group_segment_fixed_size: 0
    .kernarg_segment_align: 8
    .kernarg_segment_size: 128
    .language:       OpenCL C
    .language_version:
      - 2
      - 0
    .max_flat_workgroup_size: 448
    .name:           _ZL13mul_mat_f_idsI15__hip_bfloat162Li64ELi13ELi7EEvPKT_PKfPKiS7_S7_Pfiiiiiiiiiiiiii15HIP_vector_typeIjLj3EESA_
    .private_segment_fixed_size: 0
    .sgpr_count:     100
    .sgpr_spill_count: 30
    .symbol:         _ZL13mul_mat_f_idsI15__hip_bfloat162Li64ELi13ELi7EEvPKT_PKfPKiS7_S7_Pfiiiiiiiiiiiiii15HIP_vector_typeIjLj3EESA_.kd
    .uniform_work_group_size: 1
    .uses_dynamic_stack: false
    .vgpr_count:     120
    .vgpr_spill_count: 0
    .wavefront_size: 64
  - .agpr_count:     0
    .args:
      - .actual_access:  read_only
        .address_space:  global
        .offset:         0
        .size:           8
        .value_kind:     global_buffer
      - .actual_access:  read_only
        .address_space:  global
        .offset:         8
        .size:           8
        .value_kind:     global_buffer
      - .actual_access:  read_only
        .address_space:  global
        .offset:         16
        .size:           8
        .value_kind:     global_buffer
      - .actual_access:  write_only
        .address_space:  global
        .offset:         24
        .size:           8
        .value_kind:     global_buffer
      - .offset:         32
        .size:           4
        .value_kind:     by_value
      - .offset:         36
        .size:           4
        .value_kind:     by_value
      - .offset:         40
        .size:           4
        .value_kind:     by_value
      - .offset:         44
        .size:           4
        .value_kind:     by_value
      - .offset:         48
        .size:           4
        .value_kind:     by_value
      - .offset:         52
        .size:           4
        .value_kind:     by_value
      - .offset:         56
        .size:           4
        .value_kind:     by_value
      - .offset:         60
        .size:           4
        .value_kind:     by_value
      - .offset:         64
        .size:           4
        .value_kind:     by_value
      - .offset:         68
        .size:           4
        .value_kind:     by_value
      - .offset:         72
        .size:           4
        .value_kind:     by_value
      - .offset:         76
        .size:           4
        .value_kind:     by_value
      - .offset:         80
        .size:           4
        .value_kind:     by_value
      - .offset:         84
        .size:           4
        .value_kind:     by_value
      - .offset:         88
        .size:           4
        .value_kind:     by_value
      - .offset:         92
        .size:           4
        .value_kind:     by_value
      - .offset:         96
        .size:           4
        .value_kind:     hidden_block_count_x
      - .offset:         100
        .size:           4
        .value_kind:     hidden_block_count_y
      - .offset:         104
        .size:           4
        .value_kind:     hidden_block_count_z
      - .offset:         108
        .size:           2
        .value_kind:     hidden_group_size_x
      - .offset:         110
        .size:           2
        .value_kind:     hidden_group_size_y
      - .offset:         112
        .size:           2
        .value_kind:     hidden_group_size_z
      - .offset:         114
        .size:           2
        .value_kind:     hidden_remainder_x
      - .offset:         116
        .size:           2
        .value_kind:     hidden_remainder_y
      - .offset:         118
        .size:           2
        .value_kind:     hidden_remainder_z
      - .offset:         136
        .size:           8
        .value_kind:     hidden_global_offset_x
      - .offset:         144
        .size:           8
        .value_kind:     hidden_global_offset_y
      - .offset:         152
        .size:           8
        .value_kind:     hidden_global_offset_z
      - .offset:         160
        .size:           2
        .value_kind:     hidden_grid_dims
      - .offset:         216
        .size:           4
        .value_kind:     hidden_dynamic_lds_size
    .group_segment_fixed_size: 256
    .kernarg_segment_align: 8
    .kernarg_segment_size: 352
    .language:       OpenCL C
    .language_version:
      - 2
      - 0
    .max_flat_workgroup_size: 448
    .name:           _ZL9mul_mat_fI15__hip_bfloat162Li64ELi13ELi7ELb1EEvPKT_PKfPKiPfiiiiiiiiiiiiiiii
    .private_segment_fixed_size: 0
    .sgpr_count:     100
    .sgpr_spill_count: 35
    .symbol:         _ZL9mul_mat_fI15__hip_bfloat162Li64ELi13ELi7ELb1EEvPKT_PKfPKiPfiiiiiiiiiiiiiiii.kd
    .uniform_work_group_size: 1
    .uses_dynamic_stack: false
    .vgpr_count:     104
    .vgpr_spill_count: 0
    .wavefront_size: 64
  - .agpr_count:     0
    .args:
      - .actual_access:  read_only
        .address_space:  global
        .offset:         0
        .size:           8
        .value_kind:     global_buffer
      - .actual_access:  read_only
        .address_space:  global
        .offset:         8
        .size:           8
        .value_kind:     global_buffer
      - .actual_access:  read_only
        .address_space:  global
        .offset:         16
        .size:           8
        .value_kind:     global_buffer
      - .actual_access:  write_only
        .address_space:  global
        .offset:         24
        .size:           8
        .value_kind:     global_buffer
      - .offset:         32
        .size:           4
        .value_kind:     by_value
      - .offset:         36
        .size:           4
        .value_kind:     by_value
      - .offset:         40
        .size:           4
        .value_kind:     by_value
      - .offset:         44
        .size:           4
        .value_kind:     by_value
      - .offset:         48
        .size:           4
        .value_kind:     by_value
      - .offset:         52
        .size:           4
        .value_kind:     by_value
      - .offset:         56
        .size:           4
        .value_kind:     by_value
      - .offset:         60
        .size:           4
        .value_kind:     by_value
      - .offset:         64
        .size:           4
        .value_kind:     by_value
      - .offset:         68
        .size:           4
        .value_kind:     by_value
      - .offset:         72
        .size:           4
        .value_kind:     by_value
      - .offset:         76
        .size:           4
        .value_kind:     by_value
      - .offset:         80
        .size:           4
        .value_kind:     by_value
      - .offset:         84
        .size:           4
        .value_kind:     by_value
      - .offset:         88
        .size:           4
        .value_kind:     by_value
      - .offset:         92
        .size:           4
        .value_kind:     by_value
    .group_segment_fixed_size: 0
    .kernarg_segment_align: 8
    .kernarg_segment_size: 96
    .language:       OpenCL C
    .language_version:
      - 2
      - 0
    .max_flat_workgroup_size: 448
    .name:           _ZL9mul_mat_fI15__hip_bfloat162Li64ELi13ELi7ELb0EEvPKT_PKfPKiPfiiiiiiiiiiiiiiii
    .private_segment_fixed_size: 0
    .sgpr_count:     100
    .sgpr_spill_count: 2
    .symbol:         _ZL9mul_mat_fI15__hip_bfloat162Li64ELi13ELi7ELb0EEvPKT_PKfPKiPfiiiiiiiiiiiiiiii.kd
    .uniform_work_group_size: 1
    .uses_dynamic_stack: false
    .vgpr_count:     105
    .vgpr_spill_count: 0
    .wavefront_size: 64
  - .agpr_count:     0
    .args:
      - .actual_access:  read_only
        .address_space:  global
        .offset:         0
        .size:           8
        .value_kind:     global_buffer
      - .actual_access:  read_only
        .address_space:  global
        .offset:         8
        .size:           8
        .value_kind:     global_buffer
      - .actual_access:  read_only
        .address_space:  global
        .offset:         16
        .size:           8
        .value_kind:     global_buffer
      - .actual_access:  read_only
        .address_space:  global
        .offset:         24
        .size:           8
        .value_kind:     global_buffer
      - .actual_access:  read_only
        .address_space:  global
        .offset:         32
        .size:           8
        .value_kind:     global_buffer
      - .actual_access:  write_only
        .address_space:  global
        .offset:         40
        .size:           8
        .value_kind:     global_buffer
      - .offset:         48
        .size:           4
        .value_kind:     by_value
      - .offset:         52
        .size:           4
        .value_kind:     by_value
      - .offset:         56
        .size:           4
        .value_kind:     by_value
      - .offset:         60
        .size:           4
        .value_kind:     by_value
      - .offset:         64
        .size:           4
        .value_kind:     by_value
      - .offset:         68
        .size:           4
        .value_kind:     by_value
      - .offset:         72
        .size:           4
        .value_kind:     by_value
      - .offset:         76
        .size:           4
        .value_kind:     by_value
      - .offset:         80
        .size:           4
        .value_kind:     by_value
      - .offset:         84
        .size:           4
        .value_kind:     by_value
      - .offset:         88
        .size:           4
        .value_kind:     by_value
      - .offset:         92
        .size:           4
        .value_kind:     by_value
      - .offset:         96
        .size:           4
        .value_kind:     by_value
      - .offset:         100
        .size:           4
        .value_kind:     by_value
      - .offset:         104
        .size:           12
        .value_kind:     by_value
      - .offset:         116
        .size:           12
        .value_kind:     by_value
    .group_segment_fixed_size: 0
    .kernarg_segment_align: 8
    .kernarg_segment_size: 128
    .language:       OpenCL C
    .language_version:
      - 2
      - 0
    .max_flat_workgroup_size: 512
    .name:           _ZL13mul_mat_f_idsI15__hip_bfloat162Li64ELi13ELi8EEvPKT_PKfPKiS7_S7_Pfiiiiiiiiiiiiii15HIP_vector_typeIjLj3EESA_
    .private_segment_fixed_size: 0
    .sgpr_count:     100
    .sgpr_spill_count: 30
    .symbol:         _ZL13mul_mat_f_idsI15__hip_bfloat162Li64ELi13ELi8EEvPKT_PKfPKiS7_S7_Pfiiiiiiiiiiiiii15HIP_vector_typeIjLj3EESA_.kd
    .uniform_work_group_size: 1
    .uses_dynamic_stack: false
    .vgpr_count:     120
    .vgpr_spill_count: 0
    .wavefront_size: 64
  - .agpr_count:     0
    .args:
      - .actual_access:  read_only
        .address_space:  global
        .offset:         0
        .size:           8
        .value_kind:     global_buffer
      - .actual_access:  read_only
        .address_space:  global
        .offset:         8
        .size:           8
        .value_kind:     global_buffer
      - .actual_access:  read_only
        .address_space:  global
        .offset:         16
        .size:           8
        .value_kind:     global_buffer
      - .actual_access:  write_only
        .address_space:  global
        .offset:         24
        .size:           8
        .value_kind:     global_buffer
      - .offset:         32
        .size:           4
        .value_kind:     by_value
      - .offset:         36
        .size:           4
        .value_kind:     by_value
      - .offset:         40
        .size:           4
        .value_kind:     by_value
      - .offset:         44
        .size:           4
        .value_kind:     by_value
      - .offset:         48
        .size:           4
        .value_kind:     by_value
      - .offset:         52
        .size:           4
        .value_kind:     by_value
      - .offset:         56
        .size:           4
        .value_kind:     by_value
      - .offset:         60
        .size:           4
        .value_kind:     by_value
      - .offset:         64
        .size:           4
        .value_kind:     by_value
      - .offset:         68
        .size:           4
        .value_kind:     by_value
      - .offset:         72
        .size:           4
        .value_kind:     by_value
      - .offset:         76
        .size:           4
        .value_kind:     by_value
      - .offset:         80
        .size:           4
        .value_kind:     by_value
      - .offset:         84
        .size:           4
        .value_kind:     by_value
      - .offset:         88
        .size:           4
        .value_kind:     by_value
      - .offset:         92
        .size:           4
        .value_kind:     by_value
      - .offset:         96
        .size:           4
        .value_kind:     hidden_block_count_x
      - .offset:         100
        .size:           4
        .value_kind:     hidden_block_count_y
      - .offset:         104
        .size:           4
        .value_kind:     hidden_block_count_z
      - .offset:         108
        .size:           2
        .value_kind:     hidden_group_size_x
      - .offset:         110
        .size:           2
        .value_kind:     hidden_group_size_y
      - .offset:         112
        .size:           2
        .value_kind:     hidden_group_size_z
      - .offset:         114
        .size:           2
        .value_kind:     hidden_remainder_x
      - .offset:         116
        .size:           2
        .value_kind:     hidden_remainder_y
      - .offset:         118
        .size:           2
        .value_kind:     hidden_remainder_z
      - .offset:         136
        .size:           8
        .value_kind:     hidden_global_offset_x
      - .offset:         144
        .size:           8
        .value_kind:     hidden_global_offset_y
      - .offset:         152
        .size:           8
        .value_kind:     hidden_global_offset_z
      - .offset:         160
        .size:           2
        .value_kind:     hidden_grid_dims
      - .offset:         216
        .size:           4
        .value_kind:     hidden_dynamic_lds_size
    .group_segment_fixed_size: 256
    .kernarg_segment_align: 8
    .kernarg_segment_size: 352
    .language:       OpenCL C
    .language_version:
      - 2
      - 0
    .max_flat_workgroup_size: 512
    .name:           _ZL9mul_mat_fI15__hip_bfloat162Li64ELi13ELi8ELb1EEvPKT_PKfPKiPfiiiiiiiiiiiiiiii
    .private_segment_fixed_size: 0
    .sgpr_count:     100
    .sgpr_spill_count: 35
    .symbol:         _ZL9mul_mat_fI15__hip_bfloat162Li64ELi13ELi8ELb1EEvPKT_PKfPKiPfiiiiiiiiiiiiiiii.kd
    .uniform_work_group_size: 1
    .uses_dynamic_stack: false
    .vgpr_count:     104
    .vgpr_spill_count: 0
    .wavefront_size: 64
  - .agpr_count:     0
    .args:
      - .actual_access:  read_only
        .address_space:  global
        .offset:         0
        .size:           8
        .value_kind:     global_buffer
      - .actual_access:  read_only
        .address_space:  global
        .offset:         8
        .size:           8
        .value_kind:     global_buffer
      - .actual_access:  read_only
        .address_space:  global
        .offset:         16
        .size:           8
        .value_kind:     global_buffer
      - .actual_access:  write_only
        .address_space:  global
        .offset:         24
        .size:           8
        .value_kind:     global_buffer
      - .offset:         32
        .size:           4
        .value_kind:     by_value
      - .offset:         36
        .size:           4
        .value_kind:     by_value
      - .offset:         40
        .size:           4
        .value_kind:     by_value
      - .offset:         44
        .size:           4
        .value_kind:     by_value
      - .offset:         48
        .size:           4
        .value_kind:     by_value
      - .offset:         52
        .size:           4
        .value_kind:     by_value
      - .offset:         56
        .size:           4
        .value_kind:     by_value
      - .offset:         60
        .size:           4
        .value_kind:     by_value
      - .offset:         64
        .size:           4
        .value_kind:     by_value
      - .offset:         68
        .size:           4
        .value_kind:     by_value
      - .offset:         72
        .size:           4
        .value_kind:     by_value
      - .offset:         76
        .size:           4
        .value_kind:     by_value
      - .offset:         80
        .size:           4
        .value_kind:     by_value
      - .offset:         84
        .size:           4
        .value_kind:     by_value
      - .offset:         88
        .size:           4
        .value_kind:     by_value
      - .offset:         92
        .size:           4
        .value_kind:     by_value
    .group_segment_fixed_size: 0
    .kernarg_segment_align: 8
    .kernarg_segment_size: 96
    .language:       OpenCL C
    .language_version:
      - 2
      - 0
    .max_flat_workgroup_size: 512
    .name:           _ZL9mul_mat_fI15__hip_bfloat162Li64ELi13ELi8ELb0EEvPKT_PKfPKiPfiiiiiiiiiiiiiiii
    .private_segment_fixed_size: 0
    .sgpr_count:     100
    .sgpr_spill_count: 2
    .symbol:         _ZL9mul_mat_fI15__hip_bfloat162Li64ELi13ELi8ELb0EEvPKT_PKfPKiPfiiiiiiiiiiiiiiii.kd
    .uniform_work_group_size: 1
    .uses_dynamic_stack: false
    .vgpr_count:     105
    .vgpr_spill_count: 0
    .wavefront_size: 64
amdhsa.target:   amdgcn-amd-amdhsa--gfx90a
amdhsa.version:
  - 1
  - 2
...

	.end_amdgpu_metadata
